;; amdgpu-corpus repo=pytorch/pytorch kind=compiled arch=gfx1201 opt=O3
	.amdgcn_target "amdgcn-amd-amdhsa--gfx1201"
	.amdhsa_code_object_version 6
	.section	.text._ZN2at6native12_GLOBAL__N_125multi_tensor_apply_kernelINS1_18TensorListMetadataILi1EEENS1_21BinaryOpScalarFunctorIhLi1ELi1ELi0EEEJSt4plusIhEhEEEvT_T0_DpT1_,"axG",@progbits,_ZN2at6native12_GLOBAL__N_125multi_tensor_apply_kernelINS1_18TensorListMetadataILi1EEENS1_21BinaryOpScalarFunctorIhLi1ELi1ELi0EEEJSt4plusIhEhEEEvT_T0_DpT1_,comdat
	.globl	_ZN2at6native12_GLOBAL__N_125multi_tensor_apply_kernelINS1_18TensorListMetadataILi1EEENS1_21BinaryOpScalarFunctorIhLi1ELi1ELi0EEEJSt4plusIhEhEEEvT_T0_DpT1_ ; -- Begin function _ZN2at6native12_GLOBAL__N_125multi_tensor_apply_kernelINS1_18TensorListMetadataILi1EEENS1_21BinaryOpScalarFunctorIhLi1ELi1ELi0EEEJSt4plusIhEhEEEvT_T0_DpT1_
	.p2align	8
	.type	_ZN2at6native12_GLOBAL__N_125multi_tensor_apply_kernelINS1_18TensorListMetadataILi1EEENS1_21BinaryOpScalarFunctorIhLi1ELi1ELi0EEEJSt4plusIhEhEEEvT_T0_DpT1_,@function
_ZN2at6native12_GLOBAL__N_125multi_tensor_apply_kernelINS1_18TensorListMetadataILi1EEENS1_21BinaryOpScalarFunctorIhLi1ELi1ELi0EEEJSt4plusIhEhEEEvT_T0_DpT1_: ; @_ZN2at6native12_GLOBAL__N_125multi_tensor_apply_kernelINS1_18TensorListMetadataILi1EEENS1_21BinaryOpScalarFunctorIhLi1ELi1ELi0EEEJSt4plusIhEhEEEvT_T0_DpT1_
; %bb.0:
	s_load_u8 s6, s[0:1], ttmp9 offset:0x6e0
	s_mov_b32 s2, ttmp9
	s_mov_b32 s3, 0
	s_delay_alu instid0(SALU_CYCLE_1) | instskip(SKIP_1) | instid1(SALU_CYCLE_1)
	s_mul_u64 s[4:5], s[2:3], 3
	s_add_nc_u64 s[2:3], s[0:1], s[2:3]
	s_add_nc_u64 s[2:3], s[2:3], s[4:5]
	s_load_b32 s2, s[2:3], 0x820
	s_wait_kmcnt 0x0
	s_lshl_b32 s3, s6, 3
	s_clause 0x2
	s_load_b64 s[4:5], s[0:1], s3 offset:0x370
	s_load_b64 s[6:7], s[0:1], s3 offset:0x0
	s_load_b32 s20, s[0:1], 0xd28
	s_ashr_i32 s3, s2, 31
	s_wait_kmcnt 0x0
	s_or_b32 s8, s4, s6
	s_delay_alu instid0(SALU_CYCLE_1)
	s_and_b32 s10, s8, 3
	s_lshl_b64 s[8:9], s[2:3], 16
	s_cmp_eq_u32 s10, 0
	s_sub_nc_u64 s[10:11], s[4:5], s[8:9]
	s_cbranch_scc1 .LBB0_21
; %bb.1:
	v_cmp_lt_i64_e64 s2, s[10:11], 1
	s_and_b32 vcc_lo, exec_lo, s2
	s_cbranch_vccnz .LBB0_20
; %bb.2:
	s_load_b32 s2, s[0:1], 0xd3c
	v_cmp_gt_i64_e64 s4, 0x10000, s[10:11]
	s_mov_b32 s3, 0
	v_cmp_gt_u64_e64 s14, 0x10000, s[10:11]
	s_mov_b32 s19, s3
	v_add_co_u32 v11, s5, s8, v0
	s_and_b32 s4, s4, exec_lo
	s_cselect_b32 s13, s11, 0
	s_cselect_b32 s12, s10, 0x10000
	v_add_co_ci_u32_e64 v12, null, s9, 0, s5
	s_mov_b32 s5, s3
	v_add_co_u32 v1, vcc_lo, s6, v11
	s_delay_alu instid0(VALU_DEP_1)
	v_add_co_ci_u32_e64 v2, null, s7, v12, vcc_lo
	s_wait_kmcnt 0x0
	s_and_b32 s2, s2, 0xffff
	s_and_b32 s4, s14, exec_lo
	s_mul_i32 s18, s2, 3
	s_cselect_b32 s15, s11, 0
	s_add_nc_u64 s[22:23], s[8:9], s[18:19]
	s_cselect_b32 s14, s10, 0x10000
	s_add_nc_u64 s[22:23], s[6:7], s[22:23]
	s_lshl_b32 s4, s2, 1
	v_add_co_u32 v3, s17, s22, v0
	s_delay_alu instid0(VALU_DEP_1)
	v_add_co_ci_u32_e64 v4, null, s23, 0, s17
	s_wait_alu 0xfffe
	s_add_nc_u64 s[22:23], s[8:9], s[4:5]
	v_add_co_u32 v5, s5, s18, v0
	s_wait_alu 0xfffe
	s_add_nc_u64 s[18:19], s[6:7], s[22:23]
	v_add_co_ci_u32_e64 v6, null, 0, 0, s5
	s_wait_alu 0xfffe
	v_add_co_u32 v7, s5, s18, v0
	v_add_co_u32 v9, s4, s4, v0
	s_wait_alu 0xf1ff
	v_add_co_ci_u32_e64 v8, null, s19, 0, s5
	v_add_co_ci_u32_e64 v10, null, 0, 0, s4
	s_add_nc_u64 s[4:5], s[6:7], s[2:3]
	s_lshl_b32 s16, s2, 2
	s_wait_alu 0xfffe
	v_add_co_u32 v11, vcc_lo, s4, v11
	v_add_co_u32 v13, s2, v0, s2
	s_wait_alu 0xfffd
	v_add_co_ci_u32_e64 v12, null, s5, v12, vcc_lo
	s_wait_alu 0xf1ff
	v_add_co_ci_u32_e64 v14, null, 0, 0, s2
	s_mov_b32 s17, s3
	s_mov_b64 s[18:19], 0
	s_lshr_b32 s21, s20, 16
	s_branch .LBB0_4
.LBB0_3:                                ;   in Loop: Header=BB0_4 Depth=1
	s_wait_alu 0xfffe
	s_or_b32 exec_lo, exec_lo, s2
	s_add_nc_u64 s[18:19], s[18:19], s[16:17]
	s_wait_alu 0xfffe
	v_cmp_lt_i64_e64 s2, s[18:19], s[12:13]
	s_and_b32 vcc_lo, exec_lo, s2
	s_wait_alu 0xfffe
	s_cbranch_vccz .LBB0_20
.LBB0_4:                                ; =>This Inner Loop Header: Depth=1
	s_wait_loadcnt 0x0
	s_wait_alu 0xfffe
	v_add_co_u32 v15, s2, v0, s18
	s_wait_alu 0xf1ff
	v_add_co_ci_u32_e64 v16, null, 0, s19, s2
	s_delay_alu instid0(VALU_DEP_1)
	v_cmp_gt_u64_e32 vcc_lo, s[14:15], v[15:16]
	v_mov_b32_e32 v16, 0
	s_and_saveexec_b32 s3, vcc_lo
	s_cbranch_execz .LBB0_6
; %bb.5:                                ;   in Loop: Header=BB0_4 Depth=1
	v_add_co_u32 v15, s2, v1, s18
	s_wait_alu 0xf1ff
	v_add_co_ci_u32_e64 v16, null, s19, v2, s2
	global_load_u8 v16, v[15:16], off
.LBB0_6:                                ;   in Loop: Header=BB0_4 Depth=1
	s_wait_alu 0xfffe
	s_or_b32 exec_lo, exec_lo, s3
	v_add_co_u32 v17, s2, v13, s18
	s_wait_alu 0xf1ff
	v_add_co_ci_u32_e64 v18, null, s19, v14, s2
	v_mov_b32_e32 v15, 0
	s_delay_alu instid0(VALU_DEP_2)
	v_cmp_gt_u64_e64 s2, s[14:15], v[17:18]
	v_mov_b32_e32 v17, 0
	s_and_saveexec_b32 s4, s2
	s_cbranch_execz .LBB0_8
; %bb.7:                                ;   in Loop: Header=BB0_4 Depth=1
	v_add_co_u32 v17, s3, v11, s18
	s_wait_alu 0xf1ff
	v_add_co_ci_u32_e64 v18, null, s19, v12, s3
	global_load_u8 v17, v[17:18], off
.LBB0_8:                                ;   in Loop: Header=BB0_4 Depth=1
	s_wait_alu 0xfffe
	s_or_b32 exec_lo, exec_lo, s4
	v_add_co_u32 v18, s3, v9, s18
	s_wait_alu 0xf1ff
	v_add_co_ci_u32_e64 v19, null, s19, v10, s3
	s_delay_alu instid0(VALU_DEP_1)
	v_cmp_gt_u64_e64 s3, s[14:15], v[18:19]
	s_and_saveexec_b32 s5, s3
	s_cbranch_execz .LBB0_10
; %bb.9:                                ;   in Loop: Header=BB0_4 Depth=1
	v_add_co_u32 v18, s4, v7, s18
	s_wait_alu 0xf1ff
	v_add_co_ci_u32_e64 v19, null, s19, v8, s4
	global_load_u8 v15, v[18:19], off
.LBB0_10:                               ;   in Loop: Header=BB0_4 Depth=1
	s_wait_alu 0xfffe
	s_or_b32 exec_lo, exec_lo, s5
	v_add_co_u32 v18, s4, v5, s18
	s_wait_alu 0xf1ff
	v_add_co_ci_u32_e64 v19, null, s19, v6, s4
	s_delay_alu instid0(VALU_DEP_1)
	v_cmp_gt_u64_e64 s4, s[14:15], v[18:19]
	v_mov_b32_e32 v18, 0
	s_and_saveexec_b32 s22, s4
	s_cbranch_execnz .LBB0_15
; %bb.11:                               ;   in Loop: Header=BB0_4 Depth=1
	s_wait_alu 0xfffe
	s_or_b32 exec_lo, exec_lo, s22
	s_and_saveexec_b32 s5, vcc_lo
	s_cbranch_execnz .LBB0_16
.LBB0_12:                               ;   in Loop: Header=BB0_4 Depth=1
	s_wait_alu 0xfffe
	s_or_b32 exec_lo, exec_lo, s5
	s_and_saveexec_b32 s5, s2
	s_cbranch_execnz .LBB0_17
.LBB0_13:                               ;   in Loop: Header=BB0_4 Depth=1
	s_wait_alu 0xfffe
	s_or_b32 exec_lo, exec_lo, s5
	s_and_saveexec_b32 s2, s3
	s_cbranch_execnz .LBB0_18
.LBB0_14:                               ;   in Loop: Header=BB0_4 Depth=1
	s_wait_alu 0xfffe
	s_or_b32 exec_lo, exec_lo, s2
	s_and_saveexec_b32 s2, s4
	s_cbranch_execz .LBB0_3
	s_branch .LBB0_19
.LBB0_15:                               ;   in Loop: Header=BB0_4 Depth=1
	v_add_co_u32 v18, s5, v3, s18
	s_wait_alu 0xf1ff
	v_add_co_ci_u32_e64 v19, null, s19, v4, s5
	global_load_u8 v18, v[18:19], off
	s_wait_alu 0xfffe
	s_or_b32 exec_lo, exec_lo, s22
	s_and_saveexec_b32 s5, vcc_lo
	s_cbranch_execz .LBB0_12
.LBB0_16:                               ;   in Loop: Header=BB0_4 Depth=1
	v_add_co_u32 v19, vcc_lo, v1, s18
	s_wait_loadcnt 0x0
	v_add_nc_u16 v16, v16, s21
	s_wait_alu 0xfffd
	v_add_co_ci_u32_e64 v20, null, s19, v2, vcc_lo
	global_store_b8 v[19:20], v16, off
	s_wait_alu 0xfffe
	s_or_b32 exec_lo, exec_lo, s5
	s_and_saveexec_b32 s5, s2
	s_cbranch_execz .LBB0_13
.LBB0_17:                               ;   in Loop: Header=BB0_4 Depth=1
	s_wait_loadcnt 0x0
	v_add_co_u32 v16, vcc_lo, v11, s18
	v_add_nc_u16 v19, v17, s21
	s_wait_alu 0xfffd
	v_add_co_ci_u32_e64 v17, null, s19, v12, vcc_lo
	global_store_b8 v[16:17], v19, off
	s_wait_alu 0xfffe
	s_or_b32 exec_lo, exec_lo, s5
	s_and_saveexec_b32 s2, s3
	s_cbranch_execz .LBB0_14
.LBB0_18:                               ;   in Loop: Header=BB0_4 Depth=1
	s_wait_loadcnt 0x0
	v_add_nc_u16 v17, v15, s21
	v_add_co_u32 v15, vcc_lo, v7, s18
	s_wait_alu 0xfffd
	v_add_co_ci_u32_e64 v16, null, s19, v8, vcc_lo
	global_store_b8 v[15:16], v17, off
	s_wait_alu 0xfffe
	s_or_b32 exec_lo, exec_lo, s2
	s_and_saveexec_b32 s2, s4
	s_cbranch_execz .LBB0_3
.LBB0_19:                               ;   in Loop: Header=BB0_4 Depth=1
	s_wait_loadcnt 0x0
	v_add_co_u32 v15, vcc_lo, v3, s18
	v_add_nc_u16 v17, v18, s21
	s_wait_alu 0xfffd
	v_add_co_ci_u32_e64 v16, null, s19, v4, vcc_lo
	global_store_b8 v[15:16], v17, off
	s_branch .LBB0_3
.LBB0_20:
	s_cbranch_execz .LBB0_22
	s_branch .LBB0_25
.LBB0_21:
.LBB0_22:
	v_cmp_gt_i64_e64 s2, 0x10000, s[10:11]
	v_dual_mov_b32 v3, 0 :: v_dual_lshlrev_b32 v2, 2, v0
	s_mov_b32 s4, 0
	s_mov_b32 s5, exec_lo
	s_and_b32 s2, s2, exec_lo
	s_cselect_b32 s3, s11, 0
	s_cselect_b32 s2, s10, 0x10000
	s_wait_alu 0xfffe
	v_cmpx_gt_i64_e64 s[2:3], v[2:3]
	s_cbranch_execz .LBB0_25
; %bb.23:
	s_load_b32 s5, s[0:1], 0xd3c
	s_add_nc_u64 s[0:1], s[6:7], s[8:9]
	v_mov_b32_e32 v1, v3
	v_add_co_u32 v2, s0, s0, v2
	s_wait_alu 0xf1ff
	v_add_co_ci_u32_e64 v3, null, s1, 0, s0
	s_lshr_b32 s6, s20, 16
	s_wait_kmcnt 0x0
	s_and_b32 s1, s5, 0xffff
	s_wait_alu 0xfffe
	s_lshl_b32 s5, s1, 2
.LBB0_24:                               ; =>This Inner Loop Header: Depth=1
	global_load_b32 v4, v[2:3], off
	v_add_co_u32 v0, vcc_lo, v0, s1
	s_wait_alu 0xfffd
	v_add_co_ci_u32_e64 v1, null, 0, v1, vcc_lo
	s_wait_loadcnt 0x0
	v_lshrrev_b32_e32 v5, 24, v4
	v_lshrrev_b32_e32 v6, 16, v4
	;; [unrolled: 1-line block ×3, first 2 shown]
	v_add_nc_u16 v4, s6, v4
	s_delay_alu instid0(VALU_DEP_4) | instskip(NEXT) | instid1(VALU_DEP_4)
	v_add_nc_u16 v5, s6, v5
	v_add_nc_u16 v6, s6, v6
	s_delay_alu instid0(VALU_DEP_4) | instskip(NEXT) | instid1(VALU_DEP_4)
	v_add_nc_u16 v7, s6, v7
	v_and_b32_e32 v4, 0xff, v4
	s_delay_alu instid0(VALU_DEP_4) | instskip(NEXT) | instid1(VALU_DEP_4)
	v_lshlrev_b16 v5, 8, v5
	v_and_b32_e32 v6, 0xff, v6
	s_delay_alu instid0(VALU_DEP_4) | instskip(NEXT) | instid1(VALU_DEP_2)
	v_lshlrev_b16 v7, 8, v7
	v_or_b32_e32 v5, v6, v5
	s_delay_alu instid0(VALU_DEP_2) | instskip(NEXT) | instid1(VALU_DEP_2)
	v_or_b32_e32 v4, v4, v7
	v_lshlrev_b32_e32 v6, 16, v5
	s_delay_alu instid0(VALU_DEP_2) | instskip(SKIP_1) | instid1(VALU_DEP_2)
	v_and_b32_e32 v7, 0xffff, v4
	v_lshlrev_b64_e32 v[4:5], 2, v[0:1]
	v_or_b32_e32 v6, v7, v6
	s_delay_alu instid0(VALU_DEP_2)
	v_cmp_le_i64_e32 vcc_lo, s[2:3], v[4:5]
	global_store_b32 v[2:3], v6, off
	s_wait_alu 0xfffe
	v_add_co_u32 v2, s0, v2, s5
	s_wait_alu 0xf1ff
	v_add_co_ci_u32_e64 v3, null, 0, v3, s0
	s_or_b32 s4, vcc_lo, s4
	s_wait_alu 0xfffe
	s_and_not1_b32 exec_lo, exec_lo, s4
	s_cbranch_execnz .LBB0_24
.LBB0_25:
	s_endpgm
	.section	.rodata,"a",@progbits
	.p2align	6, 0x0
	.amdhsa_kernel _ZN2at6native12_GLOBAL__N_125multi_tensor_apply_kernelINS1_18TensorListMetadataILi1EEENS1_21BinaryOpScalarFunctorIhLi1ELi1ELi0EEEJSt4plusIhEhEEEvT_T0_DpT1_
		.amdhsa_group_segment_fixed_size 0
		.amdhsa_private_segment_fixed_size 0
		.amdhsa_kernarg_size 3632
		.amdhsa_user_sgpr_count 2
		.amdhsa_user_sgpr_dispatch_ptr 0
		.amdhsa_user_sgpr_queue_ptr 0
		.amdhsa_user_sgpr_kernarg_segment_ptr 1
		.amdhsa_user_sgpr_dispatch_id 0
		.amdhsa_user_sgpr_private_segment_size 0
		.amdhsa_wavefront_size32 1
		.amdhsa_uses_dynamic_stack 0
		.amdhsa_enable_private_segment 0
		.amdhsa_system_sgpr_workgroup_id_x 1
		.amdhsa_system_sgpr_workgroup_id_y 0
		.amdhsa_system_sgpr_workgroup_id_z 0
		.amdhsa_system_sgpr_workgroup_info 0
		.amdhsa_system_vgpr_workitem_id 0
		.amdhsa_next_free_vgpr 21
		.amdhsa_next_free_sgpr 24
		.amdhsa_reserve_vcc 1
		.amdhsa_float_round_mode_32 0
		.amdhsa_float_round_mode_16_64 0
		.amdhsa_float_denorm_mode_32 3
		.amdhsa_float_denorm_mode_16_64 3
		.amdhsa_fp16_overflow 0
		.amdhsa_workgroup_processor_mode 1
		.amdhsa_memory_ordered 1
		.amdhsa_forward_progress 1
		.amdhsa_inst_pref_size 12
		.amdhsa_round_robin_scheduling 0
		.amdhsa_exception_fp_ieee_invalid_op 0
		.amdhsa_exception_fp_denorm_src 0
		.amdhsa_exception_fp_ieee_div_zero 0
		.amdhsa_exception_fp_ieee_overflow 0
		.amdhsa_exception_fp_ieee_underflow 0
		.amdhsa_exception_fp_ieee_inexact 0
		.amdhsa_exception_int_div_zero 0
	.end_amdhsa_kernel
	.section	.text._ZN2at6native12_GLOBAL__N_125multi_tensor_apply_kernelINS1_18TensorListMetadataILi1EEENS1_21BinaryOpScalarFunctorIhLi1ELi1ELi0EEEJSt4plusIhEhEEEvT_T0_DpT1_,"axG",@progbits,_ZN2at6native12_GLOBAL__N_125multi_tensor_apply_kernelINS1_18TensorListMetadataILi1EEENS1_21BinaryOpScalarFunctorIhLi1ELi1ELi0EEEJSt4plusIhEhEEEvT_T0_DpT1_,comdat
.Lfunc_end0:
	.size	_ZN2at6native12_GLOBAL__N_125multi_tensor_apply_kernelINS1_18TensorListMetadataILi1EEENS1_21BinaryOpScalarFunctorIhLi1ELi1ELi0EEEJSt4plusIhEhEEEvT_T0_DpT1_, .Lfunc_end0-_ZN2at6native12_GLOBAL__N_125multi_tensor_apply_kernelINS1_18TensorListMetadataILi1EEENS1_21BinaryOpScalarFunctorIhLi1ELi1ELi0EEEJSt4plusIhEhEEEvT_T0_DpT1_
                                        ; -- End function
	.set _ZN2at6native12_GLOBAL__N_125multi_tensor_apply_kernelINS1_18TensorListMetadataILi1EEENS1_21BinaryOpScalarFunctorIhLi1ELi1ELi0EEEJSt4plusIhEhEEEvT_T0_DpT1_.num_vgpr, 21
	.set _ZN2at6native12_GLOBAL__N_125multi_tensor_apply_kernelINS1_18TensorListMetadataILi1EEENS1_21BinaryOpScalarFunctorIhLi1ELi1ELi0EEEJSt4plusIhEhEEEvT_T0_DpT1_.num_agpr, 0
	.set _ZN2at6native12_GLOBAL__N_125multi_tensor_apply_kernelINS1_18TensorListMetadataILi1EEENS1_21BinaryOpScalarFunctorIhLi1ELi1ELi0EEEJSt4plusIhEhEEEvT_T0_DpT1_.numbered_sgpr, 24
	.set _ZN2at6native12_GLOBAL__N_125multi_tensor_apply_kernelINS1_18TensorListMetadataILi1EEENS1_21BinaryOpScalarFunctorIhLi1ELi1ELi0EEEJSt4plusIhEhEEEvT_T0_DpT1_.num_named_barrier, 0
	.set _ZN2at6native12_GLOBAL__N_125multi_tensor_apply_kernelINS1_18TensorListMetadataILi1EEENS1_21BinaryOpScalarFunctorIhLi1ELi1ELi0EEEJSt4plusIhEhEEEvT_T0_DpT1_.private_seg_size, 0
	.set _ZN2at6native12_GLOBAL__N_125multi_tensor_apply_kernelINS1_18TensorListMetadataILi1EEENS1_21BinaryOpScalarFunctorIhLi1ELi1ELi0EEEJSt4plusIhEhEEEvT_T0_DpT1_.uses_vcc, 1
	.set _ZN2at6native12_GLOBAL__N_125multi_tensor_apply_kernelINS1_18TensorListMetadataILi1EEENS1_21BinaryOpScalarFunctorIhLi1ELi1ELi0EEEJSt4plusIhEhEEEvT_T0_DpT1_.uses_flat_scratch, 0
	.set _ZN2at6native12_GLOBAL__N_125multi_tensor_apply_kernelINS1_18TensorListMetadataILi1EEENS1_21BinaryOpScalarFunctorIhLi1ELi1ELi0EEEJSt4plusIhEhEEEvT_T0_DpT1_.has_dyn_sized_stack, 0
	.set _ZN2at6native12_GLOBAL__N_125multi_tensor_apply_kernelINS1_18TensorListMetadataILi1EEENS1_21BinaryOpScalarFunctorIhLi1ELi1ELi0EEEJSt4plusIhEhEEEvT_T0_DpT1_.has_recursion, 0
	.set _ZN2at6native12_GLOBAL__N_125multi_tensor_apply_kernelINS1_18TensorListMetadataILi1EEENS1_21BinaryOpScalarFunctorIhLi1ELi1ELi0EEEJSt4plusIhEhEEEvT_T0_DpT1_.has_indirect_call, 0
	.section	.AMDGPU.csdata,"",@progbits
; Kernel info:
; codeLenInByte = 1464
; TotalNumSgprs: 26
; NumVgprs: 21
; ScratchSize: 0
; MemoryBound: 0
; FloatMode: 240
; IeeeMode: 1
; LDSByteSize: 0 bytes/workgroup (compile time only)
; SGPRBlocks: 0
; VGPRBlocks: 2
; NumSGPRsForWavesPerEU: 26
; NumVGPRsForWavesPerEU: 21
; Occupancy: 16
; WaveLimiterHint : 0
; COMPUTE_PGM_RSRC2:SCRATCH_EN: 0
; COMPUTE_PGM_RSRC2:USER_SGPR: 2
; COMPUTE_PGM_RSRC2:TRAP_HANDLER: 0
; COMPUTE_PGM_RSRC2:TGID_X_EN: 1
; COMPUTE_PGM_RSRC2:TGID_Y_EN: 0
; COMPUTE_PGM_RSRC2:TGID_Z_EN: 0
; COMPUTE_PGM_RSRC2:TIDIG_COMP_CNT: 0
	.section	.text._ZN2at6native12_GLOBAL__N_125multi_tensor_apply_kernelINS1_18TensorListMetadataILi1EEENS1_21BinaryOpScalarFunctorIaLi1ELi1ELi0EEEJSt4plusIaEaEEEvT_T0_DpT1_,"axG",@progbits,_ZN2at6native12_GLOBAL__N_125multi_tensor_apply_kernelINS1_18TensorListMetadataILi1EEENS1_21BinaryOpScalarFunctorIaLi1ELi1ELi0EEEJSt4plusIaEaEEEvT_T0_DpT1_,comdat
	.globl	_ZN2at6native12_GLOBAL__N_125multi_tensor_apply_kernelINS1_18TensorListMetadataILi1EEENS1_21BinaryOpScalarFunctorIaLi1ELi1ELi0EEEJSt4plusIaEaEEEvT_T0_DpT1_ ; -- Begin function _ZN2at6native12_GLOBAL__N_125multi_tensor_apply_kernelINS1_18TensorListMetadataILi1EEENS1_21BinaryOpScalarFunctorIaLi1ELi1ELi0EEEJSt4plusIaEaEEEvT_T0_DpT1_
	.p2align	8
	.type	_ZN2at6native12_GLOBAL__N_125multi_tensor_apply_kernelINS1_18TensorListMetadataILi1EEENS1_21BinaryOpScalarFunctorIaLi1ELi1ELi0EEEJSt4plusIaEaEEEvT_T0_DpT1_,@function
_ZN2at6native12_GLOBAL__N_125multi_tensor_apply_kernelINS1_18TensorListMetadataILi1EEENS1_21BinaryOpScalarFunctorIaLi1ELi1ELi0EEEJSt4plusIaEaEEEvT_T0_DpT1_: ; @_ZN2at6native12_GLOBAL__N_125multi_tensor_apply_kernelINS1_18TensorListMetadataILi1EEENS1_21BinaryOpScalarFunctorIaLi1ELi1ELi0EEEJSt4plusIaEaEEEvT_T0_DpT1_
; %bb.0:
	s_load_u8 s6, s[0:1], ttmp9 offset:0x6e0
	s_mov_b32 s2, ttmp9
	s_mov_b32 s3, 0
	s_delay_alu instid0(SALU_CYCLE_1) | instskip(SKIP_1) | instid1(SALU_CYCLE_1)
	s_mul_u64 s[4:5], s[2:3], 3
	s_add_nc_u64 s[2:3], s[0:1], s[2:3]
	s_add_nc_u64 s[2:3], s[2:3], s[4:5]
	s_load_b32 s2, s[2:3], 0x820
	s_wait_kmcnt 0x0
	s_lshl_b32 s3, s6, 3
	s_clause 0x2
	s_load_b64 s[4:5], s[0:1], s3 offset:0x370
	s_load_b64 s[6:7], s[0:1], s3 offset:0x0
	s_load_b32 s20, s[0:1], 0xd28
	s_ashr_i32 s3, s2, 31
	s_wait_kmcnt 0x0
	s_or_b32 s8, s4, s6
	s_delay_alu instid0(SALU_CYCLE_1)
	s_and_b32 s10, s8, 3
	s_lshl_b64 s[8:9], s[2:3], 16
	s_cmp_eq_u32 s10, 0
	s_sub_nc_u64 s[10:11], s[4:5], s[8:9]
	s_cbranch_scc1 .LBB1_21
; %bb.1:
	v_cmp_lt_i64_e64 s2, s[10:11], 1
	s_and_b32 vcc_lo, exec_lo, s2
	s_cbranch_vccnz .LBB1_20
; %bb.2:
	s_load_b32 s2, s[0:1], 0xd3c
	v_cmp_gt_i64_e64 s4, 0x10000, s[10:11]
	s_mov_b32 s3, 0
	v_cmp_gt_u64_e64 s14, 0x10000, s[10:11]
	s_mov_b32 s19, s3
	v_add_co_u32 v11, s5, s8, v0
	s_and_b32 s4, s4, exec_lo
	s_cselect_b32 s13, s11, 0
	s_cselect_b32 s12, s10, 0x10000
	v_add_co_ci_u32_e64 v12, null, s9, 0, s5
	s_mov_b32 s5, s3
	v_add_co_u32 v1, vcc_lo, s6, v11
	s_delay_alu instid0(VALU_DEP_1)
	v_add_co_ci_u32_e64 v2, null, s7, v12, vcc_lo
	s_wait_kmcnt 0x0
	s_and_b32 s2, s2, 0xffff
	s_and_b32 s4, s14, exec_lo
	s_mul_i32 s18, s2, 3
	s_cselect_b32 s15, s11, 0
	s_add_nc_u64 s[22:23], s[8:9], s[18:19]
	s_cselect_b32 s14, s10, 0x10000
	s_add_nc_u64 s[22:23], s[6:7], s[22:23]
	s_lshl_b32 s4, s2, 1
	v_add_co_u32 v3, s17, s22, v0
	s_delay_alu instid0(VALU_DEP_1)
	v_add_co_ci_u32_e64 v4, null, s23, 0, s17
	s_wait_alu 0xfffe
	s_add_nc_u64 s[22:23], s[8:9], s[4:5]
	v_add_co_u32 v5, s5, s18, v0
	s_wait_alu 0xfffe
	s_add_nc_u64 s[18:19], s[6:7], s[22:23]
	v_add_co_ci_u32_e64 v6, null, 0, 0, s5
	s_wait_alu 0xfffe
	v_add_co_u32 v7, s5, s18, v0
	v_add_co_u32 v9, s4, s4, v0
	s_wait_alu 0xf1ff
	v_add_co_ci_u32_e64 v8, null, s19, 0, s5
	v_add_co_ci_u32_e64 v10, null, 0, 0, s4
	s_add_nc_u64 s[4:5], s[6:7], s[2:3]
	s_lshl_b32 s16, s2, 2
	s_wait_alu 0xfffe
	v_add_co_u32 v11, vcc_lo, s4, v11
	v_add_co_u32 v13, s2, v0, s2
	s_wait_alu 0xfffd
	v_add_co_ci_u32_e64 v12, null, s5, v12, vcc_lo
	s_wait_alu 0xf1ff
	v_add_co_ci_u32_e64 v14, null, 0, 0, s2
	s_mov_b32 s17, s3
	s_mov_b64 s[18:19], 0
	s_lshr_b32 s21, s20, 16
	s_branch .LBB1_4
.LBB1_3:                                ;   in Loop: Header=BB1_4 Depth=1
	s_wait_alu 0xfffe
	s_or_b32 exec_lo, exec_lo, s2
	s_add_nc_u64 s[18:19], s[18:19], s[16:17]
	s_wait_alu 0xfffe
	v_cmp_lt_i64_e64 s2, s[18:19], s[12:13]
	s_and_b32 vcc_lo, exec_lo, s2
	s_wait_alu 0xfffe
	s_cbranch_vccz .LBB1_20
.LBB1_4:                                ; =>This Inner Loop Header: Depth=1
	s_wait_loadcnt 0x0
	s_wait_alu 0xfffe
	v_add_co_u32 v15, s2, v0, s18
	s_wait_alu 0xf1ff
	v_add_co_ci_u32_e64 v16, null, 0, s19, s2
	s_delay_alu instid0(VALU_DEP_1)
	v_cmp_gt_u64_e32 vcc_lo, s[14:15], v[15:16]
	v_mov_b32_e32 v16, 0
	s_and_saveexec_b32 s3, vcc_lo
	s_cbranch_execz .LBB1_6
; %bb.5:                                ;   in Loop: Header=BB1_4 Depth=1
	v_add_co_u32 v15, s2, v1, s18
	s_wait_alu 0xf1ff
	v_add_co_ci_u32_e64 v16, null, s19, v2, s2
	global_load_u8 v16, v[15:16], off
.LBB1_6:                                ;   in Loop: Header=BB1_4 Depth=1
	s_wait_alu 0xfffe
	s_or_b32 exec_lo, exec_lo, s3
	v_add_co_u32 v17, s2, v13, s18
	s_wait_alu 0xf1ff
	v_add_co_ci_u32_e64 v18, null, s19, v14, s2
	v_mov_b32_e32 v15, 0
	s_delay_alu instid0(VALU_DEP_2)
	v_cmp_gt_u64_e64 s2, s[14:15], v[17:18]
	v_mov_b32_e32 v17, 0
	s_and_saveexec_b32 s4, s2
	s_cbranch_execz .LBB1_8
; %bb.7:                                ;   in Loop: Header=BB1_4 Depth=1
	v_add_co_u32 v17, s3, v11, s18
	s_wait_alu 0xf1ff
	v_add_co_ci_u32_e64 v18, null, s19, v12, s3
	global_load_u8 v17, v[17:18], off
.LBB1_8:                                ;   in Loop: Header=BB1_4 Depth=1
	s_wait_alu 0xfffe
	s_or_b32 exec_lo, exec_lo, s4
	v_add_co_u32 v18, s3, v9, s18
	s_wait_alu 0xf1ff
	v_add_co_ci_u32_e64 v19, null, s19, v10, s3
	s_delay_alu instid0(VALU_DEP_1)
	v_cmp_gt_u64_e64 s3, s[14:15], v[18:19]
	s_and_saveexec_b32 s5, s3
	s_cbranch_execz .LBB1_10
; %bb.9:                                ;   in Loop: Header=BB1_4 Depth=1
	v_add_co_u32 v18, s4, v7, s18
	s_wait_alu 0xf1ff
	v_add_co_ci_u32_e64 v19, null, s19, v8, s4
	global_load_u8 v15, v[18:19], off
.LBB1_10:                               ;   in Loop: Header=BB1_4 Depth=1
	s_wait_alu 0xfffe
	s_or_b32 exec_lo, exec_lo, s5
	v_add_co_u32 v18, s4, v5, s18
	s_wait_alu 0xf1ff
	v_add_co_ci_u32_e64 v19, null, s19, v6, s4
	s_delay_alu instid0(VALU_DEP_1)
	v_cmp_gt_u64_e64 s4, s[14:15], v[18:19]
	v_mov_b32_e32 v18, 0
	s_and_saveexec_b32 s22, s4
	s_cbranch_execnz .LBB1_15
; %bb.11:                               ;   in Loop: Header=BB1_4 Depth=1
	s_wait_alu 0xfffe
	s_or_b32 exec_lo, exec_lo, s22
	s_and_saveexec_b32 s5, vcc_lo
	s_cbranch_execnz .LBB1_16
.LBB1_12:                               ;   in Loop: Header=BB1_4 Depth=1
	s_wait_alu 0xfffe
	s_or_b32 exec_lo, exec_lo, s5
	s_and_saveexec_b32 s5, s2
	s_cbranch_execnz .LBB1_17
.LBB1_13:                               ;   in Loop: Header=BB1_4 Depth=1
	s_wait_alu 0xfffe
	s_or_b32 exec_lo, exec_lo, s5
	s_and_saveexec_b32 s2, s3
	s_cbranch_execnz .LBB1_18
.LBB1_14:                               ;   in Loop: Header=BB1_4 Depth=1
	s_wait_alu 0xfffe
	s_or_b32 exec_lo, exec_lo, s2
	s_and_saveexec_b32 s2, s4
	s_cbranch_execz .LBB1_3
	s_branch .LBB1_19
.LBB1_15:                               ;   in Loop: Header=BB1_4 Depth=1
	v_add_co_u32 v18, s5, v3, s18
	s_wait_alu 0xf1ff
	v_add_co_ci_u32_e64 v19, null, s19, v4, s5
	global_load_u8 v18, v[18:19], off
	s_wait_alu 0xfffe
	s_or_b32 exec_lo, exec_lo, s22
	s_and_saveexec_b32 s5, vcc_lo
	s_cbranch_execz .LBB1_12
.LBB1_16:                               ;   in Loop: Header=BB1_4 Depth=1
	v_add_co_u32 v19, vcc_lo, v1, s18
	s_wait_loadcnt 0x0
	v_add_nc_u16 v16, v16, s21
	s_wait_alu 0xfffd
	v_add_co_ci_u32_e64 v20, null, s19, v2, vcc_lo
	global_store_b8 v[19:20], v16, off
	s_wait_alu 0xfffe
	s_or_b32 exec_lo, exec_lo, s5
	s_and_saveexec_b32 s5, s2
	s_cbranch_execz .LBB1_13
.LBB1_17:                               ;   in Loop: Header=BB1_4 Depth=1
	s_wait_loadcnt 0x0
	v_add_co_u32 v16, vcc_lo, v11, s18
	v_add_nc_u16 v19, v17, s21
	s_wait_alu 0xfffd
	v_add_co_ci_u32_e64 v17, null, s19, v12, vcc_lo
	global_store_b8 v[16:17], v19, off
	s_wait_alu 0xfffe
	s_or_b32 exec_lo, exec_lo, s5
	s_and_saveexec_b32 s2, s3
	s_cbranch_execz .LBB1_14
.LBB1_18:                               ;   in Loop: Header=BB1_4 Depth=1
	s_wait_loadcnt 0x0
	v_add_nc_u16 v17, v15, s21
	v_add_co_u32 v15, vcc_lo, v7, s18
	s_wait_alu 0xfffd
	v_add_co_ci_u32_e64 v16, null, s19, v8, vcc_lo
	global_store_b8 v[15:16], v17, off
	s_wait_alu 0xfffe
	s_or_b32 exec_lo, exec_lo, s2
	s_and_saveexec_b32 s2, s4
	s_cbranch_execz .LBB1_3
.LBB1_19:                               ;   in Loop: Header=BB1_4 Depth=1
	s_wait_loadcnt 0x0
	v_add_co_u32 v15, vcc_lo, v3, s18
	v_add_nc_u16 v17, v18, s21
	s_wait_alu 0xfffd
	v_add_co_ci_u32_e64 v16, null, s19, v4, vcc_lo
	global_store_b8 v[15:16], v17, off
	s_branch .LBB1_3
.LBB1_20:
	s_cbranch_execz .LBB1_22
	s_branch .LBB1_25
.LBB1_21:
.LBB1_22:
	v_cmp_gt_i64_e64 s2, 0x10000, s[10:11]
	v_dual_mov_b32 v3, 0 :: v_dual_lshlrev_b32 v2, 2, v0
	s_mov_b32 s4, 0
	s_mov_b32 s5, exec_lo
	s_and_b32 s2, s2, exec_lo
	s_cselect_b32 s3, s11, 0
	s_cselect_b32 s2, s10, 0x10000
	s_wait_alu 0xfffe
	v_cmpx_gt_i64_e64 s[2:3], v[2:3]
	s_cbranch_execz .LBB1_25
; %bb.23:
	s_load_b32 s5, s[0:1], 0xd3c
	s_add_nc_u64 s[0:1], s[6:7], s[8:9]
	v_mov_b32_e32 v1, v3
	v_add_co_u32 v2, s0, s0, v2
	s_wait_alu 0xf1ff
	v_add_co_ci_u32_e64 v3, null, s1, 0, s0
	s_lshr_b32 s6, s20, 16
	s_wait_kmcnt 0x0
	s_and_b32 s1, s5, 0xffff
	s_wait_alu 0xfffe
	s_lshl_b32 s5, s1, 2
.LBB1_24:                               ; =>This Inner Loop Header: Depth=1
	global_load_b32 v4, v[2:3], off
	v_add_co_u32 v0, vcc_lo, v0, s1
	s_wait_alu 0xfffd
	v_add_co_ci_u32_e64 v1, null, 0, v1, vcc_lo
	s_wait_loadcnt 0x0
	v_lshrrev_b32_e32 v5, 24, v4
	v_lshrrev_b32_e32 v6, 16, v4
	v_lshrrev_b32_e32 v7, 8, v4
	v_add_nc_u16 v4, s6, v4
	s_delay_alu instid0(VALU_DEP_4) | instskip(NEXT) | instid1(VALU_DEP_4)
	v_add_nc_u16 v5, s6, v5
	v_add_nc_u16 v6, s6, v6
	s_delay_alu instid0(VALU_DEP_4) | instskip(NEXT) | instid1(VALU_DEP_4)
	v_add_nc_u16 v7, s6, v7
	v_and_b32_e32 v4, 0xff, v4
	s_delay_alu instid0(VALU_DEP_4) | instskip(NEXT) | instid1(VALU_DEP_4)
	v_lshlrev_b16 v5, 8, v5
	v_and_b32_e32 v6, 0xff, v6
	s_delay_alu instid0(VALU_DEP_4) | instskip(NEXT) | instid1(VALU_DEP_2)
	v_lshlrev_b16 v7, 8, v7
	v_or_b32_e32 v5, v6, v5
	s_delay_alu instid0(VALU_DEP_2) | instskip(NEXT) | instid1(VALU_DEP_2)
	v_or_b32_e32 v4, v4, v7
	v_lshlrev_b32_e32 v6, 16, v5
	s_delay_alu instid0(VALU_DEP_2) | instskip(SKIP_1) | instid1(VALU_DEP_2)
	v_and_b32_e32 v7, 0xffff, v4
	v_lshlrev_b64_e32 v[4:5], 2, v[0:1]
	v_or_b32_e32 v6, v7, v6
	s_delay_alu instid0(VALU_DEP_2)
	v_cmp_le_i64_e32 vcc_lo, s[2:3], v[4:5]
	global_store_b32 v[2:3], v6, off
	s_wait_alu 0xfffe
	v_add_co_u32 v2, s0, v2, s5
	s_wait_alu 0xf1ff
	v_add_co_ci_u32_e64 v3, null, 0, v3, s0
	s_or_b32 s4, vcc_lo, s4
	s_wait_alu 0xfffe
	s_and_not1_b32 exec_lo, exec_lo, s4
	s_cbranch_execnz .LBB1_24
.LBB1_25:
	s_endpgm
	.section	.rodata,"a",@progbits
	.p2align	6, 0x0
	.amdhsa_kernel _ZN2at6native12_GLOBAL__N_125multi_tensor_apply_kernelINS1_18TensorListMetadataILi1EEENS1_21BinaryOpScalarFunctorIaLi1ELi1ELi0EEEJSt4plusIaEaEEEvT_T0_DpT1_
		.amdhsa_group_segment_fixed_size 0
		.amdhsa_private_segment_fixed_size 0
		.amdhsa_kernarg_size 3632
		.amdhsa_user_sgpr_count 2
		.amdhsa_user_sgpr_dispatch_ptr 0
		.amdhsa_user_sgpr_queue_ptr 0
		.amdhsa_user_sgpr_kernarg_segment_ptr 1
		.amdhsa_user_sgpr_dispatch_id 0
		.amdhsa_user_sgpr_private_segment_size 0
		.amdhsa_wavefront_size32 1
		.amdhsa_uses_dynamic_stack 0
		.amdhsa_enable_private_segment 0
		.amdhsa_system_sgpr_workgroup_id_x 1
		.amdhsa_system_sgpr_workgroup_id_y 0
		.amdhsa_system_sgpr_workgroup_id_z 0
		.amdhsa_system_sgpr_workgroup_info 0
		.amdhsa_system_vgpr_workitem_id 0
		.amdhsa_next_free_vgpr 21
		.amdhsa_next_free_sgpr 24
		.amdhsa_reserve_vcc 1
		.amdhsa_float_round_mode_32 0
		.amdhsa_float_round_mode_16_64 0
		.amdhsa_float_denorm_mode_32 3
		.amdhsa_float_denorm_mode_16_64 3
		.amdhsa_fp16_overflow 0
		.amdhsa_workgroup_processor_mode 1
		.amdhsa_memory_ordered 1
		.amdhsa_forward_progress 1
		.amdhsa_inst_pref_size 12
		.amdhsa_round_robin_scheduling 0
		.amdhsa_exception_fp_ieee_invalid_op 0
		.amdhsa_exception_fp_denorm_src 0
		.amdhsa_exception_fp_ieee_div_zero 0
		.amdhsa_exception_fp_ieee_overflow 0
		.amdhsa_exception_fp_ieee_underflow 0
		.amdhsa_exception_fp_ieee_inexact 0
		.amdhsa_exception_int_div_zero 0
	.end_amdhsa_kernel
	.section	.text._ZN2at6native12_GLOBAL__N_125multi_tensor_apply_kernelINS1_18TensorListMetadataILi1EEENS1_21BinaryOpScalarFunctorIaLi1ELi1ELi0EEEJSt4plusIaEaEEEvT_T0_DpT1_,"axG",@progbits,_ZN2at6native12_GLOBAL__N_125multi_tensor_apply_kernelINS1_18TensorListMetadataILi1EEENS1_21BinaryOpScalarFunctorIaLi1ELi1ELi0EEEJSt4plusIaEaEEEvT_T0_DpT1_,comdat
.Lfunc_end1:
	.size	_ZN2at6native12_GLOBAL__N_125multi_tensor_apply_kernelINS1_18TensorListMetadataILi1EEENS1_21BinaryOpScalarFunctorIaLi1ELi1ELi0EEEJSt4plusIaEaEEEvT_T0_DpT1_, .Lfunc_end1-_ZN2at6native12_GLOBAL__N_125multi_tensor_apply_kernelINS1_18TensorListMetadataILi1EEENS1_21BinaryOpScalarFunctorIaLi1ELi1ELi0EEEJSt4plusIaEaEEEvT_T0_DpT1_
                                        ; -- End function
	.set _ZN2at6native12_GLOBAL__N_125multi_tensor_apply_kernelINS1_18TensorListMetadataILi1EEENS1_21BinaryOpScalarFunctorIaLi1ELi1ELi0EEEJSt4plusIaEaEEEvT_T0_DpT1_.num_vgpr, 21
	.set _ZN2at6native12_GLOBAL__N_125multi_tensor_apply_kernelINS1_18TensorListMetadataILi1EEENS1_21BinaryOpScalarFunctorIaLi1ELi1ELi0EEEJSt4plusIaEaEEEvT_T0_DpT1_.num_agpr, 0
	.set _ZN2at6native12_GLOBAL__N_125multi_tensor_apply_kernelINS1_18TensorListMetadataILi1EEENS1_21BinaryOpScalarFunctorIaLi1ELi1ELi0EEEJSt4plusIaEaEEEvT_T0_DpT1_.numbered_sgpr, 24
	.set _ZN2at6native12_GLOBAL__N_125multi_tensor_apply_kernelINS1_18TensorListMetadataILi1EEENS1_21BinaryOpScalarFunctorIaLi1ELi1ELi0EEEJSt4plusIaEaEEEvT_T0_DpT1_.num_named_barrier, 0
	.set _ZN2at6native12_GLOBAL__N_125multi_tensor_apply_kernelINS1_18TensorListMetadataILi1EEENS1_21BinaryOpScalarFunctorIaLi1ELi1ELi0EEEJSt4plusIaEaEEEvT_T0_DpT1_.private_seg_size, 0
	.set _ZN2at6native12_GLOBAL__N_125multi_tensor_apply_kernelINS1_18TensorListMetadataILi1EEENS1_21BinaryOpScalarFunctorIaLi1ELi1ELi0EEEJSt4plusIaEaEEEvT_T0_DpT1_.uses_vcc, 1
	.set _ZN2at6native12_GLOBAL__N_125multi_tensor_apply_kernelINS1_18TensorListMetadataILi1EEENS1_21BinaryOpScalarFunctorIaLi1ELi1ELi0EEEJSt4plusIaEaEEEvT_T0_DpT1_.uses_flat_scratch, 0
	.set _ZN2at6native12_GLOBAL__N_125multi_tensor_apply_kernelINS1_18TensorListMetadataILi1EEENS1_21BinaryOpScalarFunctorIaLi1ELi1ELi0EEEJSt4plusIaEaEEEvT_T0_DpT1_.has_dyn_sized_stack, 0
	.set _ZN2at6native12_GLOBAL__N_125multi_tensor_apply_kernelINS1_18TensorListMetadataILi1EEENS1_21BinaryOpScalarFunctorIaLi1ELi1ELi0EEEJSt4plusIaEaEEEvT_T0_DpT1_.has_recursion, 0
	.set _ZN2at6native12_GLOBAL__N_125multi_tensor_apply_kernelINS1_18TensorListMetadataILi1EEENS1_21BinaryOpScalarFunctorIaLi1ELi1ELi0EEEJSt4plusIaEaEEEvT_T0_DpT1_.has_indirect_call, 0
	.section	.AMDGPU.csdata,"",@progbits
; Kernel info:
; codeLenInByte = 1464
; TotalNumSgprs: 26
; NumVgprs: 21
; ScratchSize: 0
; MemoryBound: 0
; FloatMode: 240
; IeeeMode: 1
; LDSByteSize: 0 bytes/workgroup (compile time only)
; SGPRBlocks: 0
; VGPRBlocks: 2
; NumSGPRsForWavesPerEU: 26
; NumVGPRsForWavesPerEU: 21
; Occupancy: 16
; WaveLimiterHint : 0
; COMPUTE_PGM_RSRC2:SCRATCH_EN: 0
; COMPUTE_PGM_RSRC2:USER_SGPR: 2
; COMPUTE_PGM_RSRC2:TRAP_HANDLER: 0
; COMPUTE_PGM_RSRC2:TGID_X_EN: 1
; COMPUTE_PGM_RSRC2:TGID_Y_EN: 0
; COMPUTE_PGM_RSRC2:TGID_Z_EN: 0
; COMPUTE_PGM_RSRC2:TIDIG_COMP_CNT: 0
	.section	.text._ZN2at6native12_GLOBAL__N_125multi_tensor_apply_kernelINS1_18TensorListMetadataILi1EEENS1_21BinaryOpScalarFunctorIiLi1ELi1ELi0EEEJSt4plusIiEiEEEvT_T0_DpT1_,"axG",@progbits,_ZN2at6native12_GLOBAL__N_125multi_tensor_apply_kernelINS1_18TensorListMetadataILi1EEENS1_21BinaryOpScalarFunctorIiLi1ELi1ELi0EEEJSt4plusIiEiEEEvT_T0_DpT1_,comdat
	.globl	_ZN2at6native12_GLOBAL__N_125multi_tensor_apply_kernelINS1_18TensorListMetadataILi1EEENS1_21BinaryOpScalarFunctorIiLi1ELi1ELi0EEEJSt4plusIiEiEEEvT_T0_DpT1_ ; -- Begin function _ZN2at6native12_GLOBAL__N_125multi_tensor_apply_kernelINS1_18TensorListMetadataILi1EEENS1_21BinaryOpScalarFunctorIiLi1ELi1ELi0EEEJSt4plusIiEiEEEvT_T0_DpT1_
	.p2align	8
	.type	_ZN2at6native12_GLOBAL__N_125multi_tensor_apply_kernelINS1_18TensorListMetadataILi1EEENS1_21BinaryOpScalarFunctorIiLi1ELi1ELi0EEEJSt4plusIiEiEEEvT_T0_DpT1_,@function
_ZN2at6native12_GLOBAL__N_125multi_tensor_apply_kernelINS1_18TensorListMetadataILi1EEENS1_21BinaryOpScalarFunctorIiLi1ELi1ELi0EEEJSt4plusIiEiEEEvT_T0_DpT1_: ; @_ZN2at6native12_GLOBAL__N_125multi_tensor_apply_kernelINS1_18TensorListMetadataILi1EEENS1_21BinaryOpScalarFunctorIiLi1ELi1ELi0EEEJSt4plusIiEiEEEvT_T0_DpT1_
; %bb.0:
	s_load_u8 s8, s[0:1], ttmp9 offset:0x6e0
	s_mov_b32 s2, ttmp9
	s_mov_b32 s3, 0
	s_delay_alu instid0(SALU_CYCLE_1)
	s_mul_u64 s[4:5], s[2:3], 3
	s_add_nc_u64 s[6:7], s[0:1], s[2:3]
	s_mov_b32 s13, s3
	s_add_nc_u64 s[4:5], s[6:7], s[4:5]
	s_load_b32 s4, s[4:5], 0x820
	s_wait_kmcnt 0x0
	s_lshl_b32 s2, s8, 3
	s_clause 0x2
	s_load_b64 s[6:7], s[0:1], s2 offset:0x0
	s_load_b64 s[10:11], s[0:1], s2 offset:0x370
	s_load_b32 s22, s[0:1], 0xd2c
	s_ashr_i32 s5, s4, 31
	s_delay_alu instid0(SALU_CYCLE_1)
	s_lshl_b64 s[8:9], s[4:5], 18
	s_lshl_b64 s[4:5], s[4:5], 16
	s_wait_kmcnt 0x0
	s_and_b32 s2, s6, 15
	s_and_b32 s12, s10, 3
	s_sub_nc_u64 s[10:11], s[10:11], s[4:5]
	s_or_b64 s[2:3], s[2:3], s[12:13]
	s_delay_alu instid0(SALU_CYCLE_1)
	s_cmp_eq_u64 s[2:3], 0
	s_cbranch_scc1 .LBB2_21
; %bb.1:
	v_cmp_lt_i64_e64 s2, s[10:11], 1
	s_and_b32 vcc_lo, exec_lo, s2
	s_cbranch_vccnz .LBB2_20
; %bb.2:
	s_load_b32 s2, s[0:1], 0xd3c
	v_cmp_gt_i64_e64 s12, 0x10000, s[10:11]
	v_lshlrev_b32_e32 v1, 2, v0
	s_add_nc_u64 s[4:5], s[6:7], s[8:9]
	s_mov_b32 s3, 0
	v_cmp_gt_u64_e64 s16, 0x10000, s[10:11]
	s_mov_b32 s13, s3
	v_add_co_u32 v1, s14, s4, v1
	s_and_b32 s12, s12, exec_lo
	v_add_co_ci_u32_e64 v2, null, s5, 0, s14
	s_cselect_b32 s15, s11, 0
	s_cselect_b32 s14, s10, 0x10000
	s_wait_kmcnt 0x0
	s_and_b32 s2, s2, 0xffff
	s_and_b32 s12, s16, exec_lo
	s_mul_u64 s[18:19], s[2:3], 12
	v_add_co_u32 v5, s3, v0, s2
	s_cselect_b32 s17, s11, 0
	s_cselect_b32 s16, s10, 0x10000
	s_lshl_b32 s20, s2, 1
	v_lshlrev_b32_e32 v3, 2, v5
	s_mul_i32 s21, s2, 3
	v_add_co_ci_u32_e64 v8, null, 0, 0, s3
	v_add_co_u32 v9, s3, s20, v0
	v_add_co_u32 v6, s21, s21, v0
	s_wait_alu 0xf1ff
	v_add_co_ci_u32_e64 v10, null, 0, 0, s3
	v_add_co_u32 v3, s3, s4, v3
	v_add_co_ci_u32_e64 v7, null, 0, 0, s21
	s_wait_alu 0xf1ff
	v_add_co_ci_u32_e64 v4, null, s5, 0, s3
	s_lshl_b32 s12, s2, 2
	s_lshl_b32 s23, s2, 4
	;; [unrolled: 1-line block ×3, first 2 shown]
	s_mov_b64 s[20:21], 0
	s_branch .LBB2_4
.LBB2_3:                                ;   in Loop: Header=BB2_4 Depth=1
	s_wait_alu 0xfffe
	s_or_b32 exec_lo, exec_lo, s2
	s_add_nc_u64 s[20:21], s[20:21], s[12:13]
	v_add_co_u32 v1, vcc_lo, v1, s23
	s_wait_alu 0xfffe
	v_cmp_lt_i64_e64 s2, s[20:21], s[14:15]
	s_wait_alu 0xfffd
	v_add_co_ci_u32_e64 v2, null, 0, v2, vcc_lo
	v_add_co_u32 v3, vcc_lo, v3, s23
	s_wait_alu 0xfffd
	v_add_co_ci_u32_e64 v4, null, 0, v4, vcc_lo
	s_and_b32 vcc_lo, exec_lo, s2
	s_wait_alu 0xfffe
	s_cbranch_vccz .LBB2_20
.LBB2_4:                                ; =>This Inner Loop Header: Depth=1
	s_wait_loadcnt 0x0
	s_wait_alu 0xfffe
	v_add_co_u32 v11, s2, v0, s20
	s_wait_alu 0xf1ff
	v_add_co_ci_u32_e64 v12, null, 0, s21, s2
	s_delay_alu instid0(VALU_DEP_1)
	v_cmp_gt_u64_e32 vcc_lo, s[16:17], v[11:12]
	v_mov_b32_e32 v11, 0
	s_and_saveexec_b32 s2, vcc_lo
	s_cbranch_execz .LBB2_6
; %bb.5:                                ;   in Loop: Header=BB2_4 Depth=1
	global_load_b32 v11, v[1:2], off
.LBB2_6:                                ;   in Loop: Header=BB2_4 Depth=1
	s_wait_alu 0xfffe
	s_or_b32 exec_lo, exec_lo, s2
	v_add_co_u32 v12, s2, v5, s20
	s_wait_alu 0xf1ff
	v_add_co_ci_u32_e64 v13, null, s21, v8, s2
	s_delay_alu instid0(VALU_DEP_1)
	v_cmp_gt_u64_e64 s2, s[16:17], v[12:13]
	v_dual_mov_b32 v12, 0 :: v_dual_mov_b32 v13, 0
	s_and_saveexec_b32 s3, s2
	s_cbranch_execz .LBB2_8
; %bb.7:                                ;   in Loop: Header=BB2_4 Depth=1
	global_load_b32 v13, v[3:4], off
.LBB2_8:                                ;   in Loop: Header=BB2_4 Depth=1
	s_wait_alu 0xfffe
	s_or_b32 exec_lo, exec_lo, s3
	v_add_co_u32 v14, s3, v9, s20
	s_wait_alu 0xf1ff
	v_add_co_ci_u32_e64 v15, null, s21, v10, s3
	s_delay_alu instid0(VALU_DEP_1)
	v_cmp_gt_u64_e64 s3, s[16:17], v[14:15]
	s_and_saveexec_b32 s5, s3
	s_cbranch_execz .LBB2_10
; %bb.9:                                ;   in Loop: Header=BB2_4 Depth=1
	v_add_co_u32 v14, s4, v1, s24
	s_wait_alu 0xf1ff
	v_add_co_ci_u32_e64 v15, null, 0, v2, s4
	global_load_b32 v12, v[14:15], off
.LBB2_10:                               ;   in Loop: Header=BB2_4 Depth=1
	s_wait_alu 0xfffe
	s_or_b32 exec_lo, exec_lo, s5
	v_add_co_u32 v14, s4, v6, s20
	s_wait_alu 0xf1ff
	v_add_co_ci_u32_e64 v15, null, s21, v7, s4
	s_delay_alu instid0(VALU_DEP_1)
	v_cmp_gt_u64_e64 s4, s[16:17], v[14:15]
	v_mov_b32_e32 v14, 0
	s_and_saveexec_b32 s25, s4
	s_cbranch_execnz .LBB2_15
; %bb.11:                               ;   in Loop: Header=BB2_4 Depth=1
	s_wait_alu 0xfffe
	s_or_b32 exec_lo, exec_lo, s25
	s_and_saveexec_b32 s5, vcc_lo
	s_cbranch_execnz .LBB2_16
.LBB2_12:                               ;   in Loop: Header=BB2_4 Depth=1
	s_wait_alu 0xfffe
	s_or_b32 exec_lo, exec_lo, s5
	s_and_saveexec_b32 s5, s2
	s_cbranch_execnz .LBB2_17
.LBB2_13:                               ;   in Loop: Header=BB2_4 Depth=1
	s_wait_alu 0xfffe
	s_or_b32 exec_lo, exec_lo, s5
	s_and_saveexec_b32 s2, s3
	s_cbranch_execnz .LBB2_18
.LBB2_14:                               ;   in Loop: Header=BB2_4 Depth=1
	s_wait_alu 0xfffe
	s_or_b32 exec_lo, exec_lo, s2
	s_and_saveexec_b32 s2, s4
	s_cbranch_execz .LBB2_3
	s_branch .LBB2_19
.LBB2_15:                               ;   in Loop: Header=BB2_4 Depth=1
	v_add_co_u32 v14, s5, v1, s18
	s_wait_alu 0xf1ff
	v_add_co_ci_u32_e64 v15, null, s19, v2, s5
	global_load_b32 v14, v[14:15], off
	s_wait_alu 0xfffe
	s_or_b32 exec_lo, exec_lo, s25
	s_and_saveexec_b32 s5, vcc_lo
	s_cbranch_execz .LBB2_12
.LBB2_16:                               ;   in Loop: Header=BB2_4 Depth=1
	s_wait_loadcnt 0x0
	v_add_nc_u32_e32 v11, s22, v11
	global_store_b32 v[1:2], v11, off
	s_wait_alu 0xfffe
	s_or_b32 exec_lo, exec_lo, s5
	s_and_saveexec_b32 s5, s2
	s_cbranch_execz .LBB2_13
.LBB2_17:                               ;   in Loop: Header=BB2_4 Depth=1
	s_wait_loadcnt 0x0
	v_add_nc_u32_e32 v11, s22, v13
	global_store_b32 v[3:4], v11, off
	s_wait_alu 0xfffe
	s_or_b32 exec_lo, exec_lo, s5
	s_and_saveexec_b32 s2, s3
	s_cbranch_execz .LBB2_14
.LBB2_18:                               ;   in Loop: Header=BB2_4 Depth=1
	s_wait_loadcnt 0x0
	v_add_co_u32 v11, vcc_lo, v1, s24
	v_add_nc_u32_e32 v13, s22, v12
	s_wait_alu 0xfffd
	v_add_co_ci_u32_e64 v12, null, 0, v2, vcc_lo
	global_store_b32 v[11:12], v13, off
	s_wait_alu 0xfffe
	s_or_b32 exec_lo, exec_lo, s2
	s_and_saveexec_b32 s2, s4
	s_cbranch_execz .LBB2_3
.LBB2_19:                               ;   in Loop: Header=BB2_4 Depth=1
	s_wait_loadcnt 0x0
	v_add_co_u32 v11, vcc_lo, v1, s18
	v_add_nc_u32_e32 v13, s22, v14
	s_wait_alu 0xfffd
	v_add_co_ci_u32_e64 v12, null, s19, v2, vcc_lo
	global_store_b32 v[11:12], v13, off
	s_branch .LBB2_3
.LBB2_20:
	s_cbranch_execz .LBB2_22
	s_branch .LBB2_25
.LBB2_21:
.LBB2_22:
	v_cmp_gt_i64_e64 s2, 0x10000, s[10:11]
	v_dual_mov_b32 v2, 0 :: v_dual_lshlrev_b32 v1, 2, v0
	s_mov_b32 s4, 0
	s_mov_b32 s5, exec_lo
	s_and_b32 s2, s2, exec_lo
	s_cselect_b32 s3, s11, 0
	s_cselect_b32 s2, s10, 0x10000
	s_wait_alu 0xfffe
	v_cmpx_gt_i64_e64 s[2:3], v[1:2]
	s_cbranch_execz .LBB2_25
; %bb.23:
	s_load_b32 s5, s[0:1], 0xd3c
	v_lshlrev_b32_e32 v1, 4, v0
	s_add_nc_u64 s[0:1], s[6:7], s[8:9]
	s_delay_alu instid0(VALU_DEP_1) | instid1(SALU_CYCLE_1)
	v_add_co_u32 v3, s0, s0, v1
	s_wait_alu 0xf1ff
	v_add_co_ci_u32_e64 v4, null, s1, 0, s0
	v_mov_b32_e32 v1, v2
	s_delay_alu instid0(VALU_DEP_3) | instskip(SKIP_1) | instid1(VALU_DEP_3)
	v_add_co_u32 v2, vcc_lo, v3, 8
	s_wait_alu 0xfffd
	v_add_co_ci_u32_e64 v3, null, 0, v4, vcc_lo
	s_wait_kmcnt 0x0
	s_and_b32 s1, s5, 0xffff
	s_wait_alu 0xfffe
	s_lshl_b32 s5, s1, 4
.LBB2_24:                               ; =>This Inner Loop Header: Depth=1
	global_load_b128 v[4:7], v[2:3], off offset:-8
	v_add_co_u32 v0, vcc_lo, v0, s1
	s_wait_alu 0xfffd
	v_add_co_ci_u32_e64 v1, null, 0, v1, vcc_lo
	s_delay_alu instid0(VALU_DEP_1) | instskip(NEXT) | instid1(VALU_DEP_1)
	v_lshlrev_b64_e32 v[8:9], 2, v[0:1]
	v_cmp_le_i64_e32 vcc_lo, s[2:3], v[8:9]
	s_or_b32 s4, vcc_lo, s4
	s_wait_loadcnt 0x0
	v_add_nc_u32_e32 v4, s22, v4
	v_add_nc_u32_e32 v5, s22, v5
	;; [unrolled: 1-line block ×4, first 2 shown]
	global_store_b128 v[2:3], v[4:7], off offset:-8
	s_wait_alu 0xfffe
	v_add_co_u32 v2, s0, v2, s5
	s_wait_alu 0xf1ff
	v_add_co_ci_u32_e64 v3, null, 0, v3, s0
	s_and_not1_b32 exec_lo, exec_lo, s4
	s_cbranch_execnz .LBB2_24
.LBB2_25:
	s_endpgm
	.section	.rodata,"a",@progbits
	.p2align	6, 0x0
	.amdhsa_kernel _ZN2at6native12_GLOBAL__N_125multi_tensor_apply_kernelINS1_18TensorListMetadataILi1EEENS1_21BinaryOpScalarFunctorIiLi1ELi1ELi0EEEJSt4plusIiEiEEEvT_T0_DpT1_
		.amdhsa_group_segment_fixed_size 0
		.amdhsa_private_segment_fixed_size 0
		.amdhsa_kernarg_size 3632
		.amdhsa_user_sgpr_count 2
		.amdhsa_user_sgpr_dispatch_ptr 0
		.amdhsa_user_sgpr_queue_ptr 0
		.amdhsa_user_sgpr_kernarg_segment_ptr 1
		.amdhsa_user_sgpr_dispatch_id 0
		.amdhsa_user_sgpr_private_segment_size 0
		.amdhsa_wavefront_size32 1
		.amdhsa_uses_dynamic_stack 0
		.amdhsa_enable_private_segment 0
		.amdhsa_system_sgpr_workgroup_id_x 1
		.amdhsa_system_sgpr_workgroup_id_y 0
		.amdhsa_system_sgpr_workgroup_id_z 0
		.amdhsa_system_sgpr_workgroup_info 0
		.amdhsa_system_vgpr_workitem_id 0
		.amdhsa_next_free_vgpr 16
		.amdhsa_next_free_sgpr 26
		.amdhsa_reserve_vcc 1
		.amdhsa_float_round_mode_32 0
		.amdhsa_float_round_mode_16_64 0
		.amdhsa_float_denorm_mode_32 3
		.amdhsa_float_denorm_mode_16_64 3
		.amdhsa_fp16_overflow 0
		.amdhsa_workgroup_processor_mode 1
		.amdhsa_memory_ordered 1
		.amdhsa_forward_progress 1
		.amdhsa_inst_pref_size 10
		.amdhsa_round_robin_scheduling 0
		.amdhsa_exception_fp_ieee_invalid_op 0
		.amdhsa_exception_fp_denorm_src 0
		.amdhsa_exception_fp_ieee_div_zero 0
		.amdhsa_exception_fp_ieee_overflow 0
		.amdhsa_exception_fp_ieee_underflow 0
		.amdhsa_exception_fp_ieee_inexact 0
		.amdhsa_exception_int_div_zero 0
	.end_amdhsa_kernel
	.section	.text._ZN2at6native12_GLOBAL__N_125multi_tensor_apply_kernelINS1_18TensorListMetadataILi1EEENS1_21BinaryOpScalarFunctorIiLi1ELi1ELi0EEEJSt4plusIiEiEEEvT_T0_DpT1_,"axG",@progbits,_ZN2at6native12_GLOBAL__N_125multi_tensor_apply_kernelINS1_18TensorListMetadataILi1EEENS1_21BinaryOpScalarFunctorIiLi1ELi1ELi0EEEJSt4plusIiEiEEEvT_T0_DpT1_,comdat
.Lfunc_end2:
	.size	_ZN2at6native12_GLOBAL__N_125multi_tensor_apply_kernelINS1_18TensorListMetadataILi1EEENS1_21BinaryOpScalarFunctorIiLi1ELi1ELi0EEEJSt4plusIiEiEEEvT_T0_DpT1_, .Lfunc_end2-_ZN2at6native12_GLOBAL__N_125multi_tensor_apply_kernelINS1_18TensorListMetadataILi1EEENS1_21BinaryOpScalarFunctorIiLi1ELi1ELi0EEEJSt4plusIiEiEEEvT_T0_DpT1_
                                        ; -- End function
	.set _ZN2at6native12_GLOBAL__N_125multi_tensor_apply_kernelINS1_18TensorListMetadataILi1EEENS1_21BinaryOpScalarFunctorIiLi1ELi1ELi0EEEJSt4plusIiEiEEEvT_T0_DpT1_.num_vgpr, 16
	.set _ZN2at6native12_GLOBAL__N_125multi_tensor_apply_kernelINS1_18TensorListMetadataILi1EEENS1_21BinaryOpScalarFunctorIiLi1ELi1ELi0EEEJSt4plusIiEiEEEvT_T0_DpT1_.num_agpr, 0
	.set _ZN2at6native12_GLOBAL__N_125multi_tensor_apply_kernelINS1_18TensorListMetadataILi1EEENS1_21BinaryOpScalarFunctorIiLi1ELi1ELi0EEEJSt4plusIiEiEEEvT_T0_DpT1_.numbered_sgpr, 26
	.set _ZN2at6native12_GLOBAL__N_125multi_tensor_apply_kernelINS1_18TensorListMetadataILi1EEENS1_21BinaryOpScalarFunctorIiLi1ELi1ELi0EEEJSt4plusIiEiEEEvT_T0_DpT1_.num_named_barrier, 0
	.set _ZN2at6native12_GLOBAL__N_125multi_tensor_apply_kernelINS1_18TensorListMetadataILi1EEENS1_21BinaryOpScalarFunctorIiLi1ELi1ELi0EEEJSt4plusIiEiEEEvT_T0_DpT1_.private_seg_size, 0
	.set _ZN2at6native12_GLOBAL__N_125multi_tensor_apply_kernelINS1_18TensorListMetadataILi1EEENS1_21BinaryOpScalarFunctorIiLi1ELi1ELi0EEEJSt4plusIiEiEEEvT_T0_DpT1_.uses_vcc, 1
	.set _ZN2at6native12_GLOBAL__N_125multi_tensor_apply_kernelINS1_18TensorListMetadataILi1EEENS1_21BinaryOpScalarFunctorIiLi1ELi1ELi0EEEJSt4plusIiEiEEEvT_T0_DpT1_.uses_flat_scratch, 0
	.set _ZN2at6native12_GLOBAL__N_125multi_tensor_apply_kernelINS1_18TensorListMetadataILi1EEENS1_21BinaryOpScalarFunctorIiLi1ELi1ELi0EEEJSt4plusIiEiEEEvT_T0_DpT1_.has_dyn_sized_stack, 0
	.set _ZN2at6native12_GLOBAL__N_125multi_tensor_apply_kernelINS1_18TensorListMetadataILi1EEENS1_21BinaryOpScalarFunctorIiLi1ELi1ELi0EEEJSt4plusIiEiEEEvT_T0_DpT1_.has_recursion, 0
	.set _ZN2at6native12_GLOBAL__N_125multi_tensor_apply_kernelINS1_18TensorListMetadataILi1EEENS1_21BinaryOpScalarFunctorIiLi1ELi1ELi0EEEJSt4plusIiEiEEEvT_T0_DpT1_.has_indirect_call, 0
	.section	.AMDGPU.csdata,"",@progbits
; Kernel info:
; codeLenInByte = 1256
; TotalNumSgprs: 28
; NumVgprs: 16
; ScratchSize: 0
; MemoryBound: 0
; FloatMode: 240
; IeeeMode: 1
; LDSByteSize: 0 bytes/workgroup (compile time only)
; SGPRBlocks: 0
; VGPRBlocks: 1
; NumSGPRsForWavesPerEU: 28
; NumVGPRsForWavesPerEU: 16
; Occupancy: 16
; WaveLimiterHint : 0
; COMPUTE_PGM_RSRC2:SCRATCH_EN: 0
; COMPUTE_PGM_RSRC2:USER_SGPR: 2
; COMPUTE_PGM_RSRC2:TRAP_HANDLER: 0
; COMPUTE_PGM_RSRC2:TGID_X_EN: 1
; COMPUTE_PGM_RSRC2:TGID_Y_EN: 0
; COMPUTE_PGM_RSRC2:TGID_Z_EN: 0
; COMPUTE_PGM_RSRC2:TIDIG_COMP_CNT: 0
	.section	.text._ZN2at6native12_GLOBAL__N_125multi_tensor_apply_kernelINS1_18TensorListMetadataILi1EEENS1_21BinaryOpScalarFunctorIlLi1ELi1ELi0EEEJSt4plusIlElEEEvT_T0_DpT1_,"axG",@progbits,_ZN2at6native12_GLOBAL__N_125multi_tensor_apply_kernelINS1_18TensorListMetadataILi1EEENS1_21BinaryOpScalarFunctorIlLi1ELi1ELi0EEEJSt4plusIlElEEEvT_T0_DpT1_,comdat
	.globl	_ZN2at6native12_GLOBAL__N_125multi_tensor_apply_kernelINS1_18TensorListMetadataILi1EEENS1_21BinaryOpScalarFunctorIlLi1ELi1ELi0EEEJSt4plusIlElEEEvT_T0_DpT1_ ; -- Begin function _ZN2at6native12_GLOBAL__N_125multi_tensor_apply_kernelINS1_18TensorListMetadataILi1EEENS1_21BinaryOpScalarFunctorIlLi1ELi1ELi0EEEJSt4plusIlElEEEvT_T0_DpT1_
	.p2align	8
	.type	_ZN2at6native12_GLOBAL__N_125multi_tensor_apply_kernelINS1_18TensorListMetadataILi1EEENS1_21BinaryOpScalarFunctorIlLi1ELi1ELi0EEEJSt4plusIlElEEEvT_T0_DpT1_,@function
_ZN2at6native12_GLOBAL__N_125multi_tensor_apply_kernelINS1_18TensorListMetadataILi1EEENS1_21BinaryOpScalarFunctorIlLi1ELi1ELi0EEEJSt4plusIlElEEEvT_T0_DpT1_: ; @_ZN2at6native12_GLOBAL__N_125multi_tensor_apply_kernelINS1_18TensorListMetadataILi1EEENS1_21BinaryOpScalarFunctorIlLi1ELi1ELi0EEEJSt4plusIlElEEEvT_T0_DpT1_
; %bb.0:
	s_load_u8 s8, s[0:1], ttmp9 offset:0x6e0
	s_mov_b32 s2, ttmp9
	s_mov_b32 s3, 0
	s_delay_alu instid0(SALU_CYCLE_1)
	s_mul_u64 s[4:5], s[2:3], 3
	s_add_nc_u64 s[6:7], s[0:1], s[2:3]
	s_mov_b32 s15, s3
	s_add_nc_u64 s[4:5], s[6:7], s[4:5]
	s_load_b32 s4, s[4:5], 0x820
	s_wait_kmcnt 0x0
	s_lshl_b32 s2, s8, 3
	s_clause 0x2
	s_load_b64 s[8:9], s[0:1], s2 offset:0x0
	s_load_b64 s[12:13], s[0:1], s2 offset:0x370
	s_load_b64 s[6:7], s[0:1], 0xd30
	s_ashr_i32 s5, s4, 31
	s_delay_alu instid0(SALU_CYCLE_1)
	s_lshl_b64 s[10:11], s[4:5], 19
	s_lshl_b64 s[4:5], s[4:5], 16
	s_wait_kmcnt 0x0
	s_and_b32 s2, s8, 31
	s_and_b32 s14, s12, 3
	s_sub_nc_u64 s[12:13], s[12:13], s[4:5]
	s_or_b64 s[2:3], s[2:3], s[14:15]
	s_delay_alu instid0(SALU_CYCLE_1)
	s_cmp_eq_u64 s[2:3], 0
	s_cbranch_scc1 .LBB3_21
; %bb.1:
	v_cmp_lt_i64_e64 s2, s[12:13], 1
	s_and_b32 vcc_lo, exec_lo, s2
	s_cbranch_vccnz .LBB3_20
; %bb.2:
	s_load_b32 s2, s[0:1], 0xd44
	v_cmp_gt_i64_e64 s14, 0x10000, s[12:13]
	v_lshlrev_b32_e32 v1, 3, v0
	s_add_nc_u64 s[4:5], s[8:9], s[10:11]
	s_mov_b32 s3, 0
	v_cmp_gt_u64_e64 s18, 0x10000, s[12:13]
	s_mov_b32 s15, s3
	v_add_co_u32 v1, s16, s4, v1
	s_and_b32 s14, s14, exec_lo
	v_add_co_ci_u32_e64 v2, null, s5, 0, s16
	s_cselect_b32 s17, s13, 0
	s_cselect_b32 s16, s12, 0x10000
	s_wait_kmcnt 0x0
	s_and_b32 s2, s2, 0xffff
	s_and_b32 s14, s18, exec_lo
	s_mul_u64 s[20:21], s[2:3], 24
	v_add_co_u32 v13, s3, v0, s2
	s_cselect_b32 s19, s13, 0
	s_cselect_b32 s18, s12, 0x10000
	s_lshl_b32 s22, s2, 1
	v_lshlrev_b32_e32 v3, 3, v13
	s_mul_i32 s23, s2, 3
	v_add_co_ci_u32_e64 v16, null, 0, 0, s3
	v_add_co_u32 v17, s3, s22, v0
	v_add_co_u32 v14, s23, s23, v0
	s_wait_alu 0xf1ff
	v_add_co_ci_u32_e64 v18, null, 0, 0, s3
	v_add_co_u32 v3, s3, s4, v3
	v_add_co_ci_u32_e64 v15, null, 0, 0, s23
	s_wait_alu 0xf1ff
	v_add_co_ci_u32_e64 v4, null, s5, 0, s3
	s_lshl_b32 s14, s2, 2
	s_lshl_b32 s24, s2, 5
	s_lshl_b32 s25, s2, 4
	s_mov_b64 s[22:23], 0
	s_branch .LBB3_4
.LBB3_3:                                ;   in Loop: Header=BB3_4 Depth=1
	s_wait_alu 0xfffe
	s_or_b32 exec_lo, exec_lo, s2
	s_add_nc_u64 s[22:23], s[22:23], s[14:15]
	v_add_co_u32 v1, vcc_lo, v1, s24
	s_wait_alu 0xfffe
	v_cmp_lt_i64_e64 s2, s[22:23], s[16:17]
	s_wait_alu 0xfffd
	v_add_co_ci_u32_e64 v2, null, 0, v2, vcc_lo
	v_add_co_u32 v3, vcc_lo, v3, s24
	s_wait_alu 0xfffd
	v_add_co_ci_u32_e64 v4, null, 0, v4, vcc_lo
	s_and_b32 vcc_lo, exec_lo, s2
	s_wait_alu 0xfffe
	s_cbranch_vccz .LBB3_20
.LBB3_4:                                ; =>This Inner Loop Header: Depth=1
	s_wait_loadcnt 0x0
	s_wait_alu 0xfffe
	v_add_co_u32 v7, s2, v0, s22
	s_wait_alu 0xf1ff
	v_add_co_ci_u32_e64 v8, null, 0, s23, s2
	v_mov_b32_e32 v5, 0
	v_dual_mov_b32 v6, 0 :: v_dual_mov_b32 v9, 0
	s_delay_alu instid0(VALU_DEP_3)
	v_cmp_gt_u64_e32 vcc_lo, s[18:19], v[7:8]
	v_mov_b32_e32 v10, 0
	s_and_saveexec_b32 s2, vcc_lo
	s_cbranch_execz .LBB3_6
; %bb.5:                                ;   in Loop: Header=BB3_4 Depth=1
	global_load_b64 v[9:10], v[1:2], off
.LBB3_6:                                ;   in Loop: Header=BB3_4 Depth=1
	s_wait_alu 0xfffe
	s_or_b32 exec_lo, exec_lo, s2
	v_add_co_u32 v7, s2, v13, s22
	s_wait_alu 0xf1ff
	v_add_co_ci_u32_e64 v8, null, s23, v16, s2
	s_delay_alu instid0(VALU_DEP_1)
	v_cmp_gt_u64_e64 s2, s[18:19], v[7:8]
	s_and_saveexec_b32 s3, s2
	s_cbranch_execz .LBB3_8
; %bb.7:                                ;   in Loop: Header=BB3_4 Depth=1
	global_load_b64 v[5:6], v[3:4], off
.LBB3_8:                                ;   in Loop: Header=BB3_4 Depth=1
	s_wait_alu 0xfffe
	s_or_b32 exec_lo, exec_lo, s3
	v_add_co_u32 v11, s3, v17, s22
	s_wait_alu 0xf1ff
	v_add_co_ci_u32_e64 v12, null, s23, v18, s3
	v_mov_b32_e32 v7, 0
	v_mov_b32_e32 v8, 0
	s_delay_alu instid0(VALU_DEP_3)
	v_cmp_gt_u64_e64 s3, s[18:19], v[11:12]
	v_mov_b32_e32 v11, 0
	v_mov_b32_e32 v12, 0
	s_and_saveexec_b32 s5, s3
	s_cbranch_execz .LBB3_10
; %bb.9:                                ;   in Loop: Header=BB3_4 Depth=1
	v_add_co_u32 v11, s4, v1, s25
	s_wait_alu 0xf1ff
	v_add_co_ci_u32_e64 v12, null, 0, v2, s4
	global_load_b64 v[11:12], v[11:12], off
.LBB3_10:                               ;   in Loop: Header=BB3_4 Depth=1
	s_wait_alu 0xfffe
	s_or_b32 exec_lo, exec_lo, s5
	v_add_co_u32 v19, s4, v14, s22
	s_wait_alu 0xf1ff
	v_add_co_ci_u32_e64 v20, null, s23, v15, s4
	s_delay_alu instid0(VALU_DEP_1)
	v_cmp_gt_u64_e64 s4, s[18:19], v[19:20]
	s_and_saveexec_b32 s26, s4
	s_cbranch_execnz .LBB3_15
; %bb.11:                               ;   in Loop: Header=BB3_4 Depth=1
	s_or_b32 exec_lo, exec_lo, s26
	s_and_saveexec_b32 s5, vcc_lo
	s_cbranch_execnz .LBB3_16
.LBB3_12:                               ;   in Loop: Header=BB3_4 Depth=1
	s_wait_alu 0xfffe
	s_or_b32 exec_lo, exec_lo, s5
	s_and_saveexec_b32 s5, s2
	s_cbranch_execnz .LBB3_17
.LBB3_13:                               ;   in Loop: Header=BB3_4 Depth=1
	s_wait_alu 0xfffe
	s_or_b32 exec_lo, exec_lo, s5
	s_and_saveexec_b32 s2, s3
	s_cbranch_execnz .LBB3_18
.LBB3_14:                               ;   in Loop: Header=BB3_4 Depth=1
	s_wait_alu 0xfffe
	s_or_b32 exec_lo, exec_lo, s2
	s_and_saveexec_b32 s2, s4
	s_cbranch_execz .LBB3_3
	s_branch .LBB3_19
.LBB3_15:                               ;   in Loop: Header=BB3_4 Depth=1
	v_add_co_u32 v7, s5, v1, s20
	s_wait_alu 0xf1ff
	v_add_co_ci_u32_e64 v8, null, s21, v2, s5
	global_load_b64 v[7:8], v[7:8], off
	s_or_b32 exec_lo, exec_lo, s26
	s_and_saveexec_b32 s5, vcc_lo
	s_cbranch_execz .LBB3_12
.LBB3_16:                               ;   in Loop: Header=BB3_4 Depth=1
	s_wait_loadcnt 0x0
	v_add_co_u32 v9, vcc_lo, v9, s6
	s_wait_alu 0xfffd
	v_add_co_ci_u32_e64 v10, null, s7, v10, vcc_lo
	global_store_b64 v[1:2], v[9:10], off
	s_wait_alu 0xfffe
	s_or_b32 exec_lo, exec_lo, s5
	s_and_saveexec_b32 s5, s2
	s_cbranch_execz .LBB3_13
.LBB3_17:                               ;   in Loop: Header=BB3_4 Depth=1
	s_wait_loadcnt 0x0
	v_add_co_u32 v5, vcc_lo, v5, s6
	s_wait_alu 0xfffd
	v_add_co_ci_u32_e64 v6, null, s7, v6, vcc_lo
	global_store_b64 v[3:4], v[5:6], off
	s_wait_alu 0xfffe
	s_or_b32 exec_lo, exec_lo, s5
	s_and_saveexec_b32 s2, s3
	s_cbranch_execz .LBB3_14
.LBB3_18:                               ;   in Loop: Header=BB3_4 Depth=1
	s_wait_loadcnt 0x0
	v_add_co_u32 v5, vcc_lo, v11, s6
	s_wait_alu 0xfffd
	v_add_co_ci_u32_e64 v6, null, s7, v12, vcc_lo
	v_add_co_u32 v9, vcc_lo, v1, s25
	s_wait_alu 0xfffd
	v_add_co_ci_u32_e64 v10, null, 0, v2, vcc_lo
	global_store_b64 v[9:10], v[5:6], off
	s_wait_alu 0xfffe
	s_or_b32 exec_lo, exec_lo, s2
	s_and_saveexec_b32 s2, s4
	s_cbranch_execz .LBB3_3
.LBB3_19:                               ;   in Loop: Header=BB3_4 Depth=1
	s_wait_loadcnt 0x0
	v_add_co_u32 v5, vcc_lo, v7, s6
	s_wait_alu 0xfffd
	v_add_co_ci_u32_e64 v6, null, s7, v8, vcc_lo
	v_add_co_u32 v7, vcc_lo, v1, s20
	s_wait_alu 0xfffd
	v_add_co_ci_u32_e64 v8, null, s21, v2, vcc_lo
	global_store_b64 v[7:8], v[5:6], off
	s_branch .LBB3_3
.LBB3_20:
	s_cbranch_execz .LBB3_22
	s_branch .LBB3_25
.LBB3_21:
.LBB3_22:
	v_cmp_gt_i64_e64 s2, 0x10000, s[12:13]
	v_dual_mov_b32 v2, 0 :: v_dual_lshlrev_b32 v1, 2, v0
	s_mov_b32 s4, 0
	s_mov_b32 s5, exec_lo
	s_and_b32 s2, s2, exec_lo
	s_cselect_b32 s3, s13, 0
	s_cselect_b32 s2, s12, 0x10000
	s_wait_alu 0xfffe
	v_cmpx_gt_i64_e64 s[2:3], v[1:2]
	s_cbranch_execz .LBB3_25
; %bb.23:
	s_load_b32 s5, s[0:1], 0xd44
	v_lshlrev_b32_e32 v1, 5, v0
	s_add_nc_u64 s[0:1], s[8:9], s[10:11]
	s_delay_alu instid0(VALU_DEP_1) | instid1(SALU_CYCLE_1)
	v_add_co_u32 v3, s0, s0, v1
	s_wait_alu 0xf1ff
	v_add_co_ci_u32_e64 v4, null, s1, 0, s0
	v_mov_b32_e32 v1, v2
	s_delay_alu instid0(VALU_DEP_3) | instskip(SKIP_1) | instid1(VALU_DEP_3)
	v_add_co_u32 v2, vcc_lo, v3, 16
	s_wait_alu 0xfffd
	v_add_co_ci_u32_e64 v3, null, 0, v4, vcc_lo
	s_wait_kmcnt 0x0
	s_and_b32 s1, s5, 0xffff
	s_wait_alu 0xfffe
	s_lshl_b32 s5, s1, 5
.LBB3_24:                               ; =>This Inner Loop Header: Depth=1
	s_wait_loadcnt 0x0
	s_clause 0x1
	global_load_b128 v[4:7], v[2:3], off offset:-16
	global_load_b128 v[8:11], v[2:3], off
	v_add_co_u32 v0, vcc_lo, v0, s1
	s_wait_alu 0xfffd
	v_add_co_ci_u32_e64 v1, null, 0, v1, vcc_lo
	s_delay_alu instid0(VALU_DEP_1)
	v_lshlrev_b64_e32 v[12:13], 2, v[0:1]
	s_wait_loadcnt 0x1
	v_add_co_u32 v4, vcc_lo, v4, s6
	s_wait_alu 0xfffd
	v_add_co_ci_u32_e64 v5, null, s7, v5, vcc_lo
	v_add_co_u32 v6, vcc_lo, v6, s6
	s_wait_alu 0xfffd
	v_add_co_ci_u32_e64 v7, null, s7, v7, vcc_lo
	s_wait_loadcnt 0x0
	v_add_co_u32 v8, vcc_lo, v8, s6
	s_wait_alu 0xfffd
	v_add_co_ci_u32_e64 v9, null, s7, v9, vcc_lo
	v_add_co_u32 v10, vcc_lo, v10, s6
	s_wait_alu 0xfffd
	v_add_co_ci_u32_e64 v11, null, s7, v11, vcc_lo
	v_cmp_le_i64_e32 vcc_lo, s[2:3], v[12:13]
	s_clause 0x1
	global_store_b128 v[2:3], v[4:7], off offset:-16
	global_store_b128 v[2:3], v[8:11], off
	s_wait_alu 0xfffe
	v_add_co_u32 v2, s0, v2, s5
	s_wait_alu 0xf1ff
	v_add_co_ci_u32_e64 v3, null, 0, v3, s0
	s_or_b32 s4, vcc_lo, s4
	s_wait_alu 0xfffe
	s_and_not1_b32 exec_lo, exec_lo, s4
	s_cbranch_execnz .LBB3_24
.LBB3_25:
	s_endpgm
	.section	.rodata,"a",@progbits
	.p2align	6, 0x0
	.amdhsa_kernel _ZN2at6native12_GLOBAL__N_125multi_tensor_apply_kernelINS1_18TensorListMetadataILi1EEENS1_21BinaryOpScalarFunctorIlLi1ELi1ELi0EEEJSt4plusIlElEEEvT_T0_DpT1_
		.amdhsa_group_segment_fixed_size 0
		.amdhsa_private_segment_fixed_size 0
		.amdhsa_kernarg_size 3640
		.amdhsa_user_sgpr_count 2
		.amdhsa_user_sgpr_dispatch_ptr 0
		.amdhsa_user_sgpr_queue_ptr 0
		.amdhsa_user_sgpr_kernarg_segment_ptr 1
		.amdhsa_user_sgpr_dispatch_id 0
		.amdhsa_user_sgpr_private_segment_size 0
		.amdhsa_wavefront_size32 1
		.amdhsa_uses_dynamic_stack 0
		.amdhsa_enable_private_segment 0
		.amdhsa_system_sgpr_workgroup_id_x 1
		.amdhsa_system_sgpr_workgroup_id_y 0
		.amdhsa_system_sgpr_workgroup_id_z 0
		.amdhsa_system_sgpr_workgroup_info 0
		.amdhsa_system_vgpr_workitem_id 0
		.amdhsa_next_free_vgpr 21
		.amdhsa_next_free_sgpr 27
		.amdhsa_reserve_vcc 1
		.amdhsa_float_round_mode_32 0
		.amdhsa_float_round_mode_16_64 0
		.amdhsa_float_denorm_mode_32 3
		.amdhsa_float_denorm_mode_16_64 3
		.amdhsa_fp16_overflow 0
		.amdhsa_workgroup_processor_mode 1
		.amdhsa_memory_ordered 1
		.amdhsa_forward_progress 1
		.amdhsa_inst_pref_size 12
		.amdhsa_round_robin_scheduling 0
		.amdhsa_exception_fp_ieee_invalid_op 0
		.amdhsa_exception_fp_denorm_src 0
		.amdhsa_exception_fp_ieee_div_zero 0
		.amdhsa_exception_fp_ieee_overflow 0
		.amdhsa_exception_fp_ieee_underflow 0
		.amdhsa_exception_fp_ieee_inexact 0
		.amdhsa_exception_int_div_zero 0
	.end_amdhsa_kernel
	.section	.text._ZN2at6native12_GLOBAL__N_125multi_tensor_apply_kernelINS1_18TensorListMetadataILi1EEENS1_21BinaryOpScalarFunctorIlLi1ELi1ELi0EEEJSt4plusIlElEEEvT_T0_DpT1_,"axG",@progbits,_ZN2at6native12_GLOBAL__N_125multi_tensor_apply_kernelINS1_18TensorListMetadataILi1EEENS1_21BinaryOpScalarFunctorIlLi1ELi1ELi0EEEJSt4plusIlElEEEvT_T0_DpT1_,comdat
.Lfunc_end3:
	.size	_ZN2at6native12_GLOBAL__N_125multi_tensor_apply_kernelINS1_18TensorListMetadataILi1EEENS1_21BinaryOpScalarFunctorIlLi1ELi1ELi0EEEJSt4plusIlElEEEvT_T0_DpT1_, .Lfunc_end3-_ZN2at6native12_GLOBAL__N_125multi_tensor_apply_kernelINS1_18TensorListMetadataILi1EEENS1_21BinaryOpScalarFunctorIlLi1ELi1ELi0EEEJSt4plusIlElEEEvT_T0_DpT1_
                                        ; -- End function
	.set _ZN2at6native12_GLOBAL__N_125multi_tensor_apply_kernelINS1_18TensorListMetadataILi1EEENS1_21BinaryOpScalarFunctorIlLi1ELi1ELi0EEEJSt4plusIlElEEEvT_T0_DpT1_.num_vgpr, 21
	.set _ZN2at6native12_GLOBAL__N_125multi_tensor_apply_kernelINS1_18TensorListMetadataILi1EEENS1_21BinaryOpScalarFunctorIlLi1ELi1ELi0EEEJSt4plusIlElEEEvT_T0_DpT1_.num_agpr, 0
	.set _ZN2at6native12_GLOBAL__N_125multi_tensor_apply_kernelINS1_18TensorListMetadataILi1EEENS1_21BinaryOpScalarFunctorIlLi1ELi1ELi0EEEJSt4plusIlElEEEvT_T0_DpT1_.numbered_sgpr, 27
	.set _ZN2at6native12_GLOBAL__N_125multi_tensor_apply_kernelINS1_18TensorListMetadataILi1EEENS1_21BinaryOpScalarFunctorIlLi1ELi1ELi0EEEJSt4plusIlElEEEvT_T0_DpT1_.num_named_barrier, 0
	.set _ZN2at6native12_GLOBAL__N_125multi_tensor_apply_kernelINS1_18TensorListMetadataILi1EEENS1_21BinaryOpScalarFunctorIlLi1ELi1ELi0EEEJSt4plusIlElEEEvT_T0_DpT1_.private_seg_size, 0
	.set _ZN2at6native12_GLOBAL__N_125multi_tensor_apply_kernelINS1_18TensorListMetadataILi1EEENS1_21BinaryOpScalarFunctorIlLi1ELi1ELi0EEEJSt4plusIlElEEEvT_T0_DpT1_.uses_vcc, 1
	.set _ZN2at6native12_GLOBAL__N_125multi_tensor_apply_kernelINS1_18TensorListMetadataILi1EEENS1_21BinaryOpScalarFunctorIlLi1ELi1ELi0EEEJSt4plusIlElEEEvT_T0_DpT1_.uses_flat_scratch, 0
	.set _ZN2at6native12_GLOBAL__N_125multi_tensor_apply_kernelINS1_18TensorListMetadataILi1EEENS1_21BinaryOpScalarFunctorIlLi1ELi1ELi0EEEJSt4plusIlElEEEvT_T0_DpT1_.has_dyn_sized_stack, 0
	.set _ZN2at6native12_GLOBAL__N_125multi_tensor_apply_kernelINS1_18TensorListMetadataILi1EEENS1_21BinaryOpScalarFunctorIlLi1ELi1ELi0EEEJSt4plusIlElEEEvT_T0_DpT1_.has_recursion, 0
	.set _ZN2at6native12_GLOBAL__N_125multi_tensor_apply_kernelINS1_18TensorListMetadataILi1EEENS1_21BinaryOpScalarFunctorIlLi1ELi1ELi0EEEJSt4plusIlElEEEvT_T0_DpT1_.has_indirect_call, 0
	.section	.AMDGPU.csdata,"",@progbits
; Kernel info:
; codeLenInByte = 1436
; TotalNumSgprs: 29
; NumVgprs: 21
; ScratchSize: 0
; MemoryBound: 0
; FloatMode: 240
; IeeeMode: 1
; LDSByteSize: 0 bytes/workgroup (compile time only)
; SGPRBlocks: 0
; VGPRBlocks: 2
; NumSGPRsForWavesPerEU: 29
; NumVGPRsForWavesPerEU: 21
; Occupancy: 16
; WaveLimiterHint : 0
; COMPUTE_PGM_RSRC2:SCRATCH_EN: 0
; COMPUTE_PGM_RSRC2:USER_SGPR: 2
; COMPUTE_PGM_RSRC2:TRAP_HANDLER: 0
; COMPUTE_PGM_RSRC2:TGID_X_EN: 1
; COMPUTE_PGM_RSRC2:TGID_Y_EN: 0
; COMPUTE_PGM_RSRC2:TGID_Z_EN: 0
; COMPUTE_PGM_RSRC2:TIDIG_COMP_CNT: 0
	.section	.text._ZN2at6native12_GLOBAL__N_125multi_tensor_apply_kernelINS1_18TensorListMetadataILi1EEENS1_21BinaryOpScalarFunctorIsLi1ELi1ELi0EEEJSt4plusIsEsEEEvT_T0_DpT1_,"axG",@progbits,_ZN2at6native12_GLOBAL__N_125multi_tensor_apply_kernelINS1_18TensorListMetadataILi1EEENS1_21BinaryOpScalarFunctorIsLi1ELi1ELi0EEEJSt4plusIsEsEEEvT_T0_DpT1_,comdat
	.globl	_ZN2at6native12_GLOBAL__N_125multi_tensor_apply_kernelINS1_18TensorListMetadataILi1EEENS1_21BinaryOpScalarFunctorIsLi1ELi1ELi0EEEJSt4plusIsEsEEEvT_T0_DpT1_ ; -- Begin function _ZN2at6native12_GLOBAL__N_125multi_tensor_apply_kernelINS1_18TensorListMetadataILi1EEENS1_21BinaryOpScalarFunctorIsLi1ELi1ELi0EEEJSt4plusIsEsEEEvT_T0_DpT1_
	.p2align	8
	.type	_ZN2at6native12_GLOBAL__N_125multi_tensor_apply_kernelINS1_18TensorListMetadataILi1EEENS1_21BinaryOpScalarFunctorIsLi1ELi1ELi0EEEJSt4plusIsEsEEEvT_T0_DpT1_,@function
_ZN2at6native12_GLOBAL__N_125multi_tensor_apply_kernelINS1_18TensorListMetadataILi1EEENS1_21BinaryOpScalarFunctorIsLi1ELi1ELi0EEEJSt4plusIsEsEEEvT_T0_DpT1_: ; @_ZN2at6native12_GLOBAL__N_125multi_tensor_apply_kernelINS1_18TensorListMetadataILi1EEENS1_21BinaryOpScalarFunctorIsLi1ELi1ELi0EEEJSt4plusIsEsEEEvT_T0_DpT1_
; %bb.0:
	s_load_u8 s8, s[0:1], ttmp9 offset:0x6e0
	s_mov_b32 s2, ttmp9
	s_mov_b32 s3, 0
	s_delay_alu instid0(SALU_CYCLE_1)
	s_mul_u64 s[4:5], s[2:3], 3
	s_add_nc_u64 s[6:7], s[0:1], s[2:3]
	s_mov_b32 s13, s3
	s_add_nc_u64 s[4:5], s[6:7], s[4:5]
	s_load_b32 s4, s[4:5], 0x820
	s_wait_kmcnt 0x0
	s_lshl_b32 s2, s8, 3
	s_clause 0x2
	s_load_b32 s5, s[0:1], 0xd28
	s_load_b64 s[6:7], s[0:1], s2 offset:0x0
	s_load_b64 s[10:11], s[0:1], s2 offset:0x370
	s_wait_kmcnt 0x0
	s_lshr_b32 s22, s5, 16
	s_ashr_i32 s5, s4, 31
	s_and_b32 s2, s6, 7
	s_and_b32 s12, s10, 3
	s_lshl_b64 s[8:9], s[4:5], 17
	s_or_b64 s[2:3], s[2:3], s[12:13]
	s_lshl_b64 s[4:5], s[4:5], 16
	s_cmp_eq_u64 s[2:3], 0
	s_sub_nc_u64 s[10:11], s[10:11], s[4:5]
	s_cbranch_scc1 .LBB4_21
; %bb.1:
	v_cmp_lt_i64_e64 s2, s[10:11], 1
	s_and_b32 vcc_lo, exec_lo, s2
	s_cbranch_vccnz .LBB4_20
; %bb.2:
	s_load_b32 s2, s[0:1], 0xd3c
	v_cmp_gt_i64_e64 s12, 0x10000, s[10:11]
	v_lshlrev_b32_e32 v1, 1, v0
	s_add_nc_u64 s[4:5], s[6:7], s[8:9]
	v_cmp_gt_u64_e64 s14, 0x10000, s[10:11]
	s_mov_b32 s3, 0
	v_add_co_u32 v1, s13, s4, v1
	s_and_b32 s12, s12, exec_lo
	v_add_co_ci_u32_e64 v2, null, s5, 0, s13
	s_cselect_b32 s13, s11, 0
	s_cselect_b32 s12, s10, 0x10000
	s_wait_kmcnt 0x0
	s_and_b32 s2, s2, 0xffff
	s_and_b32 s14, s14, exec_lo
	v_add_co_u32 v5, s21, v0, s2
	s_cselect_b32 s15, s11, 0
	s_cselect_b32 s14, s10, 0x10000
	s_lshl_b32 s17, s2, 1
	v_lshlrev_b32_e32 v3, 1, v5
	s_mul_i32 s20, s2, 3
	v_add_co_u32 v9, s17, s17, v0
	v_add_co_u32 v6, s20, s20, v0
	s_delay_alu instid0(VALU_DEP_3)
	v_add_co_u32 v3, s4, s4, v3
	s_wait_alu 0xf1ff
	v_add_co_ci_u32_e64 v7, null, 0, 0, s20
	v_add_co_ci_u32_e64 v8, null, 0, 0, s21
	;; [unrolled: 1-line block ×4, first 2 shown]
	s_lshl_b32 s16, s2, 2
	s_mul_u64 s[18:19], s[2:3], 6
	s_mov_b32 s17, s3
	s_lshl_b32 s23, s2, 3
	s_mov_b64 s[20:21], 0
	s_branch .LBB4_4
.LBB4_3:                                ;   in Loop: Header=BB4_4 Depth=1
	s_wait_alu 0xfffe
	s_or_b32 exec_lo, exec_lo, s2
	s_add_nc_u64 s[20:21], s[20:21], s[16:17]
	v_add_co_u32 v1, vcc_lo, v1, s23
	s_wait_alu 0xfffe
	v_cmp_lt_i64_e64 s2, s[20:21], s[12:13]
	s_wait_alu 0xfffd
	v_add_co_ci_u32_e64 v2, null, 0, v2, vcc_lo
	v_add_co_u32 v3, vcc_lo, v3, s23
	s_wait_alu 0xfffd
	v_add_co_ci_u32_e64 v4, null, 0, v4, vcc_lo
	s_and_b32 vcc_lo, exec_lo, s2
	s_wait_alu 0xfffe
	s_cbranch_vccz .LBB4_20
.LBB4_4:                                ; =>This Inner Loop Header: Depth=1
	s_wait_loadcnt 0x0
	s_wait_alu 0xfffe
	v_add_co_u32 v11, s2, v0, s20
	s_wait_alu 0xf1ff
	v_add_co_ci_u32_e64 v12, null, 0, s21, s2
	s_delay_alu instid0(VALU_DEP_1)
	v_cmp_gt_u64_e32 vcc_lo, s[14:15], v[11:12]
	v_mov_b32_e32 v11, 0
	s_and_saveexec_b32 s2, vcc_lo
	s_cbranch_execz .LBB4_6
; %bb.5:                                ;   in Loop: Header=BB4_4 Depth=1
	global_load_u16 v11, v[1:2], off
.LBB4_6:                                ;   in Loop: Header=BB4_4 Depth=1
	s_wait_alu 0xfffe
	s_or_b32 exec_lo, exec_lo, s2
	v_add_co_u32 v12, s2, v5, s20
	s_wait_alu 0xf1ff
	v_add_co_ci_u32_e64 v13, null, s21, v8, s2
	s_delay_alu instid0(VALU_DEP_1)
	v_cmp_gt_u64_e64 s2, s[14:15], v[12:13]
	v_dual_mov_b32 v12, 0 :: v_dual_mov_b32 v13, 0
	s_and_saveexec_b32 s3, s2
	s_cbranch_execz .LBB4_8
; %bb.7:                                ;   in Loop: Header=BB4_4 Depth=1
	global_load_u16 v13, v[3:4], off
.LBB4_8:                                ;   in Loop: Header=BB4_4 Depth=1
	s_wait_alu 0xfffe
	s_or_b32 exec_lo, exec_lo, s3
	v_add_co_u32 v14, s3, v9, s20
	s_wait_alu 0xf1ff
	v_add_co_ci_u32_e64 v15, null, s21, v10, s3
	s_delay_alu instid0(VALU_DEP_1)
	v_cmp_gt_u64_e64 s3, s[14:15], v[14:15]
	s_and_saveexec_b32 s5, s3
	s_cbranch_execz .LBB4_10
; %bb.9:                                ;   in Loop: Header=BB4_4 Depth=1
	v_add_co_u32 v14, s4, v1, s16
	s_wait_alu 0xf1ff
	v_add_co_ci_u32_e64 v15, null, 0, v2, s4
	global_load_u16 v12, v[14:15], off
.LBB4_10:                               ;   in Loop: Header=BB4_4 Depth=1
	s_wait_alu 0xfffe
	s_or_b32 exec_lo, exec_lo, s5
	v_add_co_u32 v14, s4, v6, s20
	s_wait_alu 0xf1ff
	v_add_co_ci_u32_e64 v15, null, s21, v7, s4
	s_delay_alu instid0(VALU_DEP_1)
	v_cmp_gt_u64_e64 s4, s[14:15], v[14:15]
	v_mov_b32_e32 v14, 0
	s_and_saveexec_b32 s24, s4
	s_cbranch_execnz .LBB4_15
; %bb.11:                               ;   in Loop: Header=BB4_4 Depth=1
	s_or_b32 exec_lo, exec_lo, s24
	s_and_saveexec_b32 s5, vcc_lo
	s_cbranch_execnz .LBB4_16
.LBB4_12:                               ;   in Loop: Header=BB4_4 Depth=1
	s_wait_alu 0xfffe
	s_or_b32 exec_lo, exec_lo, s5
	s_and_saveexec_b32 s5, s2
	s_cbranch_execnz .LBB4_17
.LBB4_13:                               ;   in Loop: Header=BB4_4 Depth=1
	s_wait_alu 0xfffe
	s_or_b32 exec_lo, exec_lo, s5
	s_and_saveexec_b32 s2, s3
	s_cbranch_execnz .LBB4_18
.LBB4_14:                               ;   in Loop: Header=BB4_4 Depth=1
	s_wait_alu 0xfffe
	s_or_b32 exec_lo, exec_lo, s2
	s_and_saveexec_b32 s2, s4
	s_cbranch_execz .LBB4_3
	s_branch .LBB4_19
.LBB4_15:                               ;   in Loop: Header=BB4_4 Depth=1
	v_add_co_u32 v14, s5, v1, s18
	s_wait_alu 0xf1ff
	v_add_co_ci_u32_e64 v15, null, s19, v2, s5
	global_load_u16 v14, v[14:15], off
	s_or_b32 exec_lo, exec_lo, s24
	s_and_saveexec_b32 s5, vcc_lo
	s_cbranch_execz .LBB4_12
.LBB4_16:                               ;   in Loop: Header=BB4_4 Depth=1
	s_wait_loadcnt 0x0
	v_add_nc_u16 v11, v11, s22
	global_store_b16 v[1:2], v11, off
	s_wait_alu 0xfffe
	s_or_b32 exec_lo, exec_lo, s5
	s_and_saveexec_b32 s5, s2
	s_cbranch_execz .LBB4_13
.LBB4_17:                               ;   in Loop: Header=BB4_4 Depth=1
	s_wait_loadcnt 0x0
	v_add_nc_u16 v11, v13, s22
	global_store_b16 v[3:4], v11, off
	s_wait_alu 0xfffe
	s_or_b32 exec_lo, exec_lo, s5
	s_and_saveexec_b32 s2, s3
	s_cbranch_execz .LBB4_14
.LBB4_18:                               ;   in Loop: Header=BB4_4 Depth=1
	s_wait_loadcnt 0x0
	v_add_co_u32 v11, vcc_lo, v1, s16
	v_add_nc_u16 v13, v12, s22
	s_wait_alu 0xfffd
	v_add_co_ci_u32_e64 v12, null, 0, v2, vcc_lo
	global_store_b16 v[11:12], v13, off
	s_wait_alu 0xfffe
	s_or_b32 exec_lo, exec_lo, s2
	s_and_saveexec_b32 s2, s4
	s_cbranch_execz .LBB4_3
.LBB4_19:                               ;   in Loop: Header=BB4_4 Depth=1
	s_wait_loadcnt 0x0
	v_add_co_u32 v11, vcc_lo, v1, s18
	v_add_nc_u16 v13, v14, s22
	s_wait_alu 0xfffd
	v_add_co_ci_u32_e64 v12, null, s19, v2, vcc_lo
	global_store_b16 v[11:12], v13, off
	s_branch .LBB4_3
.LBB4_20:
	s_cbranch_execz .LBB4_22
	s_branch .LBB4_25
.LBB4_21:
.LBB4_22:
	v_cmp_gt_i64_e64 s2, 0x10000, s[10:11]
	v_dual_mov_b32 v2, 0 :: v_dual_lshlrev_b32 v1, 2, v0
	s_mov_b32 s4, 0
	s_mov_b32 s5, exec_lo
	s_and_b32 s2, s2, exec_lo
	s_cselect_b32 s3, s11, 0
	s_cselect_b32 s2, s10, 0x10000
	s_wait_alu 0xfffe
	v_cmpx_gt_i64_e64 s[2:3], v[1:2]
	s_cbranch_execz .LBB4_25
; %bb.23:
	s_load_b32 s5, s[0:1], 0xd3c
	v_lshlrev_b32_e32 v3, 3, v0
	s_add_nc_u64 s[0:1], s[6:7], s[8:9]
	v_mov_b32_e32 v1, v2
	s_delay_alu instid0(VALU_DEP_2)
	v_add_co_u32 v2, s0, s0, v3
	s_wait_alu 0xf1ff
	v_add_co_ci_u32_e64 v3, null, s1, 0, s0
	s_wait_kmcnt 0x0
	s_and_b32 s1, s5, 0xffff
	s_wait_alu 0xfffe
	s_lshl_b32 s5, s1, 3
.LBB4_24:                               ; =>This Inner Loop Header: Depth=1
	global_load_b64 v[4:5], v[2:3], off
	v_add_co_u32 v0, vcc_lo, v0, s1
	s_wait_alu 0xfffd
	v_add_co_ci_u32_e64 v1, null, 0, v1, vcc_lo
	s_wait_loadcnt 0x0
	v_lshrrev_b32_e32 v6, 16, v4
	v_lshrrev_b32_e32 v7, 16, v5
	v_add_nc_u16 v8, s22, v4
	v_add_nc_u16 v9, s22, v5
	v_lshlrev_b64_e32 v[4:5], 2, v[0:1]
	v_add_nc_u16 v6, s22, v6
	v_add_nc_u16 v7, s22, v7
	s_delay_alu instid0(VALU_DEP_3) | instskip(NEXT) | instid1(VALU_DEP_2)
	v_cmp_le_i64_e32 vcc_lo, s[2:3], v[4:5]
	v_perm_b32 v7, v7, v9, 0x5040100
	s_delay_alu instid0(VALU_DEP_4)
	v_perm_b32 v6, v6, v8, 0x5040100
	s_or_b32 s4, vcc_lo, s4
	global_store_b64 v[2:3], v[6:7], off
	s_wait_alu 0xfffe
	v_add_co_u32 v2, s0, v2, s5
	s_wait_alu 0xf1ff
	v_add_co_ci_u32_e64 v3, null, 0, v3, s0
	s_and_not1_b32 exec_lo, exec_lo, s4
	s_cbranch_execnz .LBB4_24
.LBB4_25:
	s_endpgm
	.section	.rodata,"a",@progbits
	.p2align	6, 0x0
	.amdhsa_kernel _ZN2at6native12_GLOBAL__N_125multi_tensor_apply_kernelINS1_18TensorListMetadataILi1EEENS1_21BinaryOpScalarFunctorIsLi1ELi1ELi0EEEJSt4plusIsEsEEEvT_T0_DpT1_
		.amdhsa_group_segment_fixed_size 0
		.amdhsa_private_segment_fixed_size 0
		.amdhsa_kernarg_size 3632
		.amdhsa_user_sgpr_count 2
		.amdhsa_user_sgpr_dispatch_ptr 0
		.amdhsa_user_sgpr_queue_ptr 0
		.amdhsa_user_sgpr_kernarg_segment_ptr 1
		.amdhsa_user_sgpr_dispatch_id 0
		.amdhsa_user_sgpr_private_segment_size 0
		.amdhsa_wavefront_size32 1
		.amdhsa_uses_dynamic_stack 0
		.amdhsa_enable_private_segment 0
		.amdhsa_system_sgpr_workgroup_id_x 1
		.amdhsa_system_sgpr_workgroup_id_y 0
		.amdhsa_system_sgpr_workgroup_id_z 0
		.amdhsa_system_sgpr_workgroup_info 0
		.amdhsa_system_vgpr_workitem_id 0
		.amdhsa_next_free_vgpr 16
		.amdhsa_next_free_sgpr 25
		.amdhsa_reserve_vcc 1
		.amdhsa_float_round_mode_32 0
		.amdhsa_float_round_mode_16_64 0
		.amdhsa_float_denorm_mode_32 3
		.amdhsa_float_denorm_mode_16_64 3
		.amdhsa_fp16_overflow 0
		.amdhsa_workgroup_processor_mode 1
		.amdhsa_memory_ordered 1
		.amdhsa_forward_progress 1
		.amdhsa_inst_pref_size 11
		.amdhsa_round_robin_scheduling 0
		.amdhsa_exception_fp_ieee_invalid_op 0
		.amdhsa_exception_fp_denorm_src 0
		.amdhsa_exception_fp_ieee_div_zero 0
		.amdhsa_exception_fp_ieee_overflow 0
		.amdhsa_exception_fp_ieee_underflow 0
		.amdhsa_exception_fp_ieee_inexact 0
		.amdhsa_exception_int_div_zero 0
	.end_amdhsa_kernel
	.section	.text._ZN2at6native12_GLOBAL__N_125multi_tensor_apply_kernelINS1_18TensorListMetadataILi1EEENS1_21BinaryOpScalarFunctorIsLi1ELi1ELi0EEEJSt4plusIsEsEEEvT_T0_DpT1_,"axG",@progbits,_ZN2at6native12_GLOBAL__N_125multi_tensor_apply_kernelINS1_18TensorListMetadataILi1EEENS1_21BinaryOpScalarFunctorIsLi1ELi1ELi0EEEJSt4plusIsEsEEEvT_T0_DpT1_,comdat
.Lfunc_end4:
	.size	_ZN2at6native12_GLOBAL__N_125multi_tensor_apply_kernelINS1_18TensorListMetadataILi1EEENS1_21BinaryOpScalarFunctorIsLi1ELi1ELi0EEEJSt4plusIsEsEEEvT_T0_DpT1_, .Lfunc_end4-_ZN2at6native12_GLOBAL__N_125multi_tensor_apply_kernelINS1_18TensorListMetadataILi1EEENS1_21BinaryOpScalarFunctorIsLi1ELi1ELi0EEEJSt4plusIsEsEEEvT_T0_DpT1_
                                        ; -- End function
	.set _ZN2at6native12_GLOBAL__N_125multi_tensor_apply_kernelINS1_18TensorListMetadataILi1EEENS1_21BinaryOpScalarFunctorIsLi1ELi1ELi0EEEJSt4plusIsEsEEEvT_T0_DpT1_.num_vgpr, 16
	.set _ZN2at6native12_GLOBAL__N_125multi_tensor_apply_kernelINS1_18TensorListMetadataILi1EEENS1_21BinaryOpScalarFunctorIsLi1ELi1ELi0EEEJSt4plusIsEsEEEvT_T0_DpT1_.num_agpr, 0
	.set _ZN2at6native12_GLOBAL__N_125multi_tensor_apply_kernelINS1_18TensorListMetadataILi1EEENS1_21BinaryOpScalarFunctorIsLi1ELi1ELi0EEEJSt4plusIsEsEEEvT_T0_DpT1_.numbered_sgpr, 25
	.set _ZN2at6native12_GLOBAL__N_125multi_tensor_apply_kernelINS1_18TensorListMetadataILi1EEENS1_21BinaryOpScalarFunctorIsLi1ELi1ELi0EEEJSt4plusIsEsEEEvT_T0_DpT1_.num_named_barrier, 0
	.set _ZN2at6native12_GLOBAL__N_125multi_tensor_apply_kernelINS1_18TensorListMetadataILi1EEENS1_21BinaryOpScalarFunctorIsLi1ELi1ELi0EEEJSt4plusIsEsEEEvT_T0_DpT1_.private_seg_size, 0
	.set _ZN2at6native12_GLOBAL__N_125multi_tensor_apply_kernelINS1_18TensorListMetadataILi1EEENS1_21BinaryOpScalarFunctorIsLi1ELi1ELi0EEEJSt4plusIsEsEEEvT_T0_DpT1_.uses_vcc, 1
	.set _ZN2at6native12_GLOBAL__N_125multi_tensor_apply_kernelINS1_18TensorListMetadataILi1EEENS1_21BinaryOpScalarFunctorIsLi1ELi1ELi0EEEJSt4plusIsEsEEEvT_T0_DpT1_.uses_flat_scratch, 0
	.set _ZN2at6native12_GLOBAL__N_125multi_tensor_apply_kernelINS1_18TensorListMetadataILi1EEENS1_21BinaryOpScalarFunctorIsLi1ELi1ELi0EEEJSt4plusIsEsEEEvT_T0_DpT1_.has_dyn_sized_stack, 0
	.set _ZN2at6native12_GLOBAL__N_125multi_tensor_apply_kernelINS1_18TensorListMetadataILi1EEENS1_21BinaryOpScalarFunctorIsLi1ELi1ELi0EEEJSt4plusIsEsEEEvT_T0_DpT1_.has_recursion, 0
	.set _ZN2at6native12_GLOBAL__N_125multi_tensor_apply_kernelINS1_18TensorListMetadataILi1EEENS1_21BinaryOpScalarFunctorIsLi1ELi1ELi0EEEJSt4plusIsEsEEEvT_T0_DpT1_.has_indirect_call, 0
	.section	.AMDGPU.csdata,"",@progbits
; Kernel info:
; codeLenInByte = 1284
; TotalNumSgprs: 27
; NumVgprs: 16
; ScratchSize: 0
; MemoryBound: 0
; FloatMode: 240
; IeeeMode: 1
; LDSByteSize: 0 bytes/workgroup (compile time only)
; SGPRBlocks: 0
; VGPRBlocks: 1
; NumSGPRsForWavesPerEU: 27
; NumVGPRsForWavesPerEU: 16
; Occupancy: 16
; WaveLimiterHint : 0
; COMPUTE_PGM_RSRC2:SCRATCH_EN: 0
; COMPUTE_PGM_RSRC2:USER_SGPR: 2
; COMPUTE_PGM_RSRC2:TRAP_HANDLER: 0
; COMPUTE_PGM_RSRC2:TGID_X_EN: 1
; COMPUTE_PGM_RSRC2:TGID_Y_EN: 0
; COMPUTE_PGM_RSRC2:TGID_Z_EN: 0
; COMPUTE_PGM_RSRC2:TIDIG_COMP_CNT: 0
	.section	.text._ZN2at6native12_GLOBAL__N_125multi_tensor_apply_kernelINS1_18TensorListMetadataILi1EEENS1_21BinaryOpScalarFunctorIdLi1ELi1ELi0EEEJSt4plusIdEdEEEvT_T0_DpT1_,"axG",@progbits,_ZN2at6native12_GLOBAL__N_125multi_tensor_apply_kernelINS1_18TensorListMetadataILi1EEENS1_21BinaryOpScalarFunctorIdLi1ELi1ELi0EEEJSt4plusIdEdEEEvT_T0_DpT1_,comdat
	.globl	_ZN2at6native12_GLOBAL__N_125multi_tensor_apply_kernelINS1_18TensorListMetadataILi1EEENS1_21BinaryOpScalarFunctorIdLi1ELi1ELi0EEEJSt4plusIdEdEEEvT_T0_DpT1_ ; -- Begin function _ZN2at6native12_GLOBAL__N_125multi_tensor_apply_kernelINS1_18TensorListMetadataILi1EEENS1_21BinaryOpScalarFunctorIdLi1ELi1ELi0EEEJSt4plusIdEdEEEvT_T0_DpT1_
	.p2align	8
	.type	_ZN2at6native12_GLOBAL__N_125multi_tensor_apply_kernelINS1_18TensorListMetadataILi1EEENS1_21BinaryOpScalarFunctorIdLi1ELi1ELi0EEEJSt4plusIdEdEEEvT_T0_DpT1_,@function
_ZN2at6native12_GLOBAL__N_125multi_tensor_apply_kernelINS1_18TensorListMetadataILi1EEENS1_21BinaryOpScalarFunctorIdLi1ELi1ELi0EEEJSt4plusIdEdEEEvT_T0_DpT1_: ; @_ZN2at6native12_GLOBAL__N_125multi_tensor_apply_kernelINS1_18TensorListMetadataILi1EEENS1_21BinaryOpScalarFunctorIdLi1ELi1ELi0EEEJSt4plusIdEdEEEvT_T0_DpT1_
; %bb.0:
	s_load_u8 s8, s[0:1], ttmp9 offset:0x6e0
	s_mov_b32 s2, ttmp9
	s_mov_b32 s3, 0
	s_delay_alu instid0(SALU_CYCLE_1)
	s_mul_u64 s[4:5], s[2:3], 3
	s_add_nc_u64 s[6:7], s[0:1], s[2:3]
	s_mov_b32 s15, s3
	s_add_nc_u64 s[4:5], s[6:7], s[4:5]
	s_load_b32 s4, s[4:5], 0x820
	s_wait_kmcnt 0x0
	s_lshl_b32 s2, s8, 3
	s_clause 0x2
	s_load_b64 s[8:9], s[0:1], s2 offset:0x0
	s_load_b64 s[12:13], s[0:1], s2 offset:0x370
	s_load_b64 s[6:7], s[0:1], 0xd30
	s_ashr_i32 s5, s4, 31
	s_delay_alu instid0(SALU_CYCLE_1)
	s_lshl_b64 s[10:11], s[4:5], 19
	s_lshl_b64 s[4:5], s[4:5], 16
	s_wait_kmcnt 0x0
	s_and_b32 s2, s8, 31
	s_and_b32 s14, s12, 3
	s_sub_nc_u64 s[12:13], s[12:13], s[4:5]
	s_or_b64 s[2:3], s[2:3], s[14:15]
	s_delay_alu instid0(SALU_CYCLE_1)
	s_cmp_eq_u64 s[2:3], 0
	s_cbranch_scc1 .LBB5_21
; %bb.1:
	v_cmp_lt_i64_e64 s2, s[12:13], 1
	s_and_b32 vcc_lo, exec_lo, s2
	s_cbranch_vccnz .LBB5_20
; %bb.2:
	s_load_b32 s2, s[0:1], 0xd44
	v_cmp_gt_i64_e64 s14, 0x10000, s[12:13]
	v_lshlrev_b32_e32 v1, 3, v0
	s_add_nc_u64 s[4:5], s[8:9], s[10:11]
	s_mov_b32 s3, 0
	v_cmp_gt_u64_e64 s18, 0x10000, s[12:13]
	s_mov_b32 s15, s3
	v_add_co_u32 v1, s16, s4, v1
	s_and_b32 s14, s14, exec_lo
	v_add_co_ci_u32_e64 v2, null, s5, 0, s16
	s_cselect_b32 s17, s13, 0
	s_cselect_b32 s16, s12, 0x10000
	s_wait_kmcnt 0x0
	s_and_b32 s2, s2, 0xffff
	s_and_b32 s14, s18, exec_lo
	s_mul_u64 s[20:21], s[2:3], 24
	v_add_co_u32 v13, s3, v0, s2
	s_cselect_b32 s19, s13, 0
	s_cselect_b32 s18, s12, 0x10000
	s_lshl_b32 s22, s2, 1
	v_lshlrev_b32_e32 v3, 3, v13
	s_mul_i32 s23, s2, 3
	v_add_co_ci_u32_e64 v16, null, 0, 0, s3
	v_add_co_u32 v17, s3, s22, v0
	v_add_co_u32 v14, s23, s23, v0
	s_wait_alu 0xf1ff
	v_add_co_ci_u32_e64 v18, null, 0, 0, s3
	v_add_co_u32 v3, s3, s4, v3
	v_add_co_ci_u32_e64 v15, null, 0, 0, s23
	s_wait_alu 0xf1ff
	v_add_co_ci_u32_e64 v4, null, s5, 0, s3
	s_lshl_b32 s14, s2, 2
	s_lshl_b32 s24, s2, 5
	s_lshl_b32 s25, s2, 4
	s_mov_b64 s[22:23], 0
	s_branch .LBB5_4
.LBB5_3:                                ;   in Loop: Header=BB5_4 Depth=1
	s_wait_alu 0xfffe
	s_or_b32 exec_lo, exec_lo, s2
	s_add_nc_u64 s[22:23], s[22:23], s[14:15]
	v_add_co_u32 v1, vcc_lo, v1, s24
	s_wait_alu 0xfffe
	v_cmp_lt_i64_e64 s2, s[22:23], s[16:17]
	s_wait_alu 0xfffd
	v_add_co_ci_u32_e64 v2, null, 0, v2, vcc_lo
	v_add_co_u32 v3, vcc_lo, v3, s24
	s_wait_alu 0xfffd
	v_add_co_ci_u32_e64 v4, null, 0, v4, vcc_lo
	s_and_b32 vcc_lo, exec_lo, s2
	s_wait_alu 0xfffe
	s_cbranch_vccz .LBB5_20
.LBB5_4:                                ; =>This Inner Loop Header: Depth=1
	s_wait_loadcnt 0x0
	s_wait_alu 0xfffe
	v_add_co_u32 v7, s2, v0, s22
	s_wait_alu 0xf1ff
	v_add_co_ci_u32_e64 v8, null, 0, s23, s2
	v_mov_b32_e32 v5, 0
	v_mov_b32_e32 v6, 0
	s_delay_alu instid0(VALU_DEP_3)
	v_cmp_gt_u64_e32 vcc_lo, s[18:19], v[7:8]
	v_mov_b32_e32 v7, 0
	v_mov_b32_e32 v8, 0
	s_and_saveexec_b32 s2, vcc_lo
	s_cbranch_execz .LBB5_6
; %bb.5:                                ;   in Loop: Header=BB5_4 Depth=1
	global_load_b64 v[7:8], v[1:2], off
.LBB5_6:                                ;   in Loop: Header=BB5_4 Depth=1
	s_wait_alu 0xfffe
	s_or_b32 exec_lo, exec_lo, s2
	v_add_co_u32 v9, s2, v13, s22
	s_wait_alu 0xf1ff
	v_add_co_ci_u32_e64 v10, null, s23, v16, s2
	s_delay_alu instid0(VALU_DEP_1)
	v_cmp_gt_u64_e64 s2, s[18:19], v[9:10]
	s_and_saveexec_b32 s3, s2
	s_cbranch_execz .LBB5_8
; %bb.7:                                ;   in Loop: Header=BB5_4 Depth=1
	global_load_b64 v[5:6], v[3:4], off
.LBB5_8:                                ;   in Loop: Header=BB5_4 Depth=1
	s_wait_alu 0xfffe
	s_or_b32 exec_lo, exec_lo, s3
	v_add_co_u32 v11, s3, v17, s22
	s_wait_alu 0xf1ff
	v_add_co_ci_u32_e64 v12, null, s23, v18, s3
	v_mov_b32_e32 v9, 0
	v_mov_b32_e32 v10, 0
	s_delay_alu instid0(VALU_DEP_3)
	v_cmp_gt_u64_e64 s3, s[18:19], v[11:12]
	v_mov_b32_e32 v11, 0
	v_mov_b32_e32 v12, 0
	s_and_saveexec_b32 s5, s3
	s_cbranch_execz .LBB5_10
; %bb.9:                                ;   in Loop: Header=BB5_4 Depth=1
	v_add_co_u32 v11, s4, v1, s25
	s_wait_alu 0xf1ff
	v_add_co_ci_u32_e64 v12, null, 0, v2, s4
	global_load_b64 v[11:12], v[11:12], off
.LBB5_10:                               ;   in Loop: Header=BB5_4 Depth=1
	s_wait_alu 0xfffe
	s_or_b32 exec_lo, exec_lo, s5
	v_add_co_u32 v19, s4, v14, s22
	s_wait_alu 0xf1ff
	v_add_co_ci_u32_e64 v20, null, s23, v15, s4
	s_delay_alu instid0(VALU_DEP_1)
	v_cmp_gt_u64_e64 s4, s[18:19], v[19:20]
	s_and_saveexec_b32 s26, s4
	s_cbranch_execnz .LBB5_15
; %bb.11:                               ;   in Loop: Header=BB5_4 Depth=1
	s_or_b32 exec_lo, exec_lo, s26
	s_and_saveexec_b32 s5, vcc_lo
	s_cbranch_execnz .LBB5_16
.LBB5_12:                               ;   in Loop: Header=BB5_4 Depth=1
	s_wait_alu 0xfffe
	s_or_b32 exec_lo, exec_lo, s5
	s_and_saveexec_b32 s5, s2
	s_cbranch_execnz .LBB5_17
.LBB5_13:                               ;   in Loop: Header=BB5_4 Depth=1
	s_wait_alu 0xfffe
	s_or_b32 exec_lo, exec_lo, s5
	s_and_saveexec_b32 s2, s3
	s_cbranch_execnz .LBB5_18
.LBB5_14:                               ;   in Loop: Header=BB5_4 Depth=1
	s_wait_alu 0xfffe
	s_or_b32 exec_lo, exec_lo, s2
	s_and_saveexec_b32 s2, s4
	s_cbranch_execz .LBB5_3
	s_branch .LBB5_19
.LBB5_15:                               ;   in Loop: Header=BB5_4 Depth=1
	v_add_co_u32 v9, s5, v1, s20
	s_wait_alu 0xf1ff
	v_add_co_ci_u32_e64 v10, null, s21, v2, s5
	global_load_b64 v[9:10], v[9:10], off
	s_or_b32 exec_lo, exec_lo, s26
	s_and_saveexec_b32 s5, vcc_lo
	s_cbranch_execz .LBB5_12
.LBB5_16:                               ;   in Loop: Header=BB5_4 Depth=1
	s_wait_loadcnt 0x0
	v_add_f64_e32 v[7:8], s[6:7], v[7:8]
	global_store_b64 v[1:2], v[7:8], off
	s_wait_alu 0xfffe
	s_or_b32 exec_lo, exec_lo, s5
	s_and_saveexec_b32 s5, s2
	s_cbranch_execz .LBB5_13
.LBB5_17:                               ;   in Loop: Header=BB5_4 Depth=1
	s_wait_loadcnt 0x0
	v_add_f64_e32 v[5:6], s[6:7], v[5:6]
	global_store_b64 v[3:4], v[5:6], off
	s_wait_alu 0xfffe
	s_or_b32 exec_lo, exec_lo, s5
	s_and_saveexec_b32 s2, s3
	s_cbranch_execz .LBB5_14
.LBB5_18:                               ;   in Loop: Header=BB5_4 Depth=1
	s_wait_loadcnt 0x0
	v_add_f64_e32 v[5:6], s[6:7], v[11:12]
	v_add_co_u32 v7, vcc_lo, v1, s25
	s_wait_alu 0xfffd
	v_add_co_ci_u32_e64 v8, null, 0, v2, vcc_lo
	global_store_b64 v[7:8], v[5:6], off
	s_wait_alu 0xfffe
	s_or_b32 exec_lo, exec_lo, s2
	s_and_saveexec_b32 s2, s4
	s_cbranch_execz .LBB5_3
.LBB5_19:                               ;   in Loop: Header=BB5_4 Depth=1
	s_wait_loadcnt 0x0
	v_add_f64_e32 v[5:6], s[6:7], v[9:10]
	v_add_co_u32 v7, vcc_lo, v1, s20
	s_wait_alu 0xfffd
	v_add_co_ci_u32_e64 v8, null, s21, v2, vcc_lo
	global_store_b64 v[7:8], v[5:6], off
	s_branch .LBB5_3
.LBB5_20:
	s_cbranch_execz .LBB5_22
	s_branch .LBB5_25
.LBB5_21:
.LBB5_22:
	v_cmp_gt_i64_e64 s2, 0x10000, s[12:13]
	v_dual_mov_b32 v2, 0 :: v_dual_lshlrev_b32 v1, 2, v0
	s_mov_b32 s4, 0
	s_mov_b32 s5, exec_lo
	s_and_b32 s2, s2, exec_lo
	s_cselect_b32 s3, s13, 0
	s_cselect_b32 s2, s12, 0x10000
	s_wait_alu 0xfffe
	v_cmpx_gt_i64_e64 s[2:3], v[1:2]
	s_cbranch_execz .LBB5_25
; %bb.23:
	s_load_b32 s5, s[0:1], 0xd44
	v_lshlrev_b32_e32 v1, 5, v0
	s_add_nc_u64 s[0:1], s[8:9], s[10:11]
	s_delay_alu instid0(VALU_DEP_1) | instid1(SALU_CYCLE_1)
	v_add_co_u32 v3, s0, s0, v1
	s_wait_alu 0xf1ff
	v_add_co_ci_u32_e64 v4, null, s1, 0, s0
	v_mov_b32_e32 v1, v2
	s_delay_alu instid0(VALU_DEP_3) | instskip(SKIP_1) | instid1(VALU_DEP_3)
	v_add_co_u32 v2, vcc_lo, v3, 16
	s_wait_alu 0xfffd
	v_add_co_ci_u32_e64 v3, null, 0, v4, vcc_lo
	s_wait_kmcnt 0x0
	s_and_b32 s1, s5, 0xffff
	s_wait_alu 0xfffe
	s_lshl_b32 s5, s1, 5
.LBB5_24:                               ; =>This Inner Loop Header: Depth=1
	s_wait_loadcnt 0x0
	s_clause 0x1
	global_load_b128 v[4:7], v[2:3], off offset:-16
	global_load_b128 v[8:11], v[2:3], off
	v_add_co_u32 v0, vcc_lo, v0, s1
	s_wait_alu 0xfffd
	v_add_co_ci_u32_e64 v1, null, 0, v1, vcc_lo
	s_delay_alu instid0(VALU_DEP_1) | instskip(NEXT) | instid1(VALU_DEP_1)
	v_lshlrev_b64_e32 v[12:13], 2, v[0:1]
	v_cmp_le_i64_e32 vcc_lo, s[2:3], v[12:13]
	s_or_b32 s4, vcc_lo, s4
	s_wait_loadcnt 0x1
	v_add_f64_e32 v[4:5], s[6:7], v[4:5]
	v_add_f64_e32 v[6:7], s[6:7], v[6:7]
	s_wait_loadcnt 0x0
	v_add_f64_e32 v[8:9], s[6:7], v[8:9]
	v_add_f64_e32 v[10:11], s[6:7], v[10:11]
	s_clause 0x1
	global_store_b128 v[2:3], v[4:7], off offset:-16
	global_store_b128 v[2:3], v[8:11], off
	s_wait_alu 0xfffe
	v_add_co_u32 v2, s0, v2, s5
	s_wait_alu 0xf1ff
	v_add_co_ci_u32_e64 v3, null, 0, v3, s0
	s_and_not1_b32 exec_lo, exec_lo, s4
	s_cbranch_execnz .LBB5_24
.LBB5_25:
	s_endpgm
	.section	.rodata,"a",@progbits
	.p2align	6, 0x0
	.amdhsa_kernel _ZN2at6native12_GLOBAL__N_125multi_tensor_apply_kernelINS1_18TensorListMetadataILi1EEENS1_21BinaryOpScalarFunctorIdLi1ELi1ELi0EEEJSt4plusIdEdEEEvT_T0_DpT1_
		.amdhsa_group_segment_fixed_size 0
		.amdhsa_private_segment_fixed_size 0
		.amdhsa_kernarg_size 3640
		.amdhsa_user_sgpr_count 2
		.amdhsa_user_sgpr_dispatch_ptr 0
		.amdhsa_user_sgpr_queue_ptr 0
		.amdhsa_user_sgpr_kernarg_segment_ptr 1
		.amdhsa_user_sgpr_dispatch_id 0
		.amdhsa_user_sgpr_private_segment_size 0
		.amdhsa_wavefront_size32 1
		.amdhsa_uses_dynamic_stack 0
		.amdhsa_enable_private_segment 0
		.amdhsa_system_sgpr_workgroup_id_x 1
		.amdhsa_system_sgpr_workgroup_id_y 0
		.amdhsa_system_sgpr_workgroup_id_z 0
		.amdhsa_system_sgpr_workgroup_info 0
		.amdhsa_system_vgpr_workitem_id 0
		.amdhsa_next_free_vgpr 21
		.amdhsa_next_free_sgpr 27
		.amdhsa_reserve_vcc 1
		.amdhsa_float_round_mode_32 0
		.amdhsa_float_round_mode_16_64 0
		.amdhsa_float_denorm_mode_32 3
		.amdhsa_float_denorm_mode_16_64 3
		.amdhsa_fp16_overflow 0
		.amdhsa_workgroup_processor_mode 1
		.amdhsa_memory_ordered 1
		.amdhsa_forward_progress 1
		.amdhsa_inst_pref_size 11
		.amdhsa_round_robin_scheduling 0
		.amdhsa_exception_fp_ieee_invalid_op 0
		.amdhsa_exception_fp_denorm_src 0
		.amdhsa_exception_fp_ieee_div_zero 0
		.amdhsa_exception_fp_ieee_overflow 0
		.amdhsa_exception_fp_ieee_underflow 0
		.amdhsa_exception_fp_ieee_inexact 0
		.amdhsa_exception_int_div_zero 0
	.end_amdhsa_kernel
	.section	.text._ZN2at6native12_GLOBAL__N_125multi_tensor_apply_kernelINS1_18TensorListMetadataILi1EEENS1_21BinaryOpScalarFunctorIdLi1ELi1ELi0EEEJSt4plusIdEdEEEvT_T0_DpT1_,"axG",@progbits,_ZN2at6native12_GLOBAL__N_125multi_tensor_apply_kernelINS1_18TensorListMetadataILi1EEENS1_21BinaryOpScalarFunctorIdLi1ELi1ELi0EEEJSt4plusIdEdEEEvT_T0_DpT1_,comdat
.Lfunc_end5:
	.size	_ZN2at6native12_GLOBAL__N_125multi_tensor_apply_kernelINS1_18TensorListMetadataILi1EEENS1_21BinaryOpScalarFunctorIdLi1ELi1ELi0EEEJSt4plusIdEdEEEvT_T0_DpT1_, .Lfunc_end5-_ZN2at6native12_GLOBAL__N_125multi_tensor_apply_kernelINS1_18TensorListMetadataILi1EEENS1_21BinaryOpScalarFunctorIdLi1ELi1ELi0EEEJSt4plusIdEdEEEvT_T0_DpT1_
                                        ; -- End function
	.set _ZN2at6native12_GLOBAL__N_125multi_tensor_apply_kernelINS1_18TensorListMetadataILi1EEENS1_21BinaryOpScalarFunctorIdLi1ELi1ELi0EEEJSt4plusIdEdEEEvT_T0_DpT1_.num_vgpr, 21
	.set _ZN2at6native12_GLOBAL__N_125multi_tensor_apply_kernelINS1_18TensorListMetadataILi1EEENS1_21BinaryOpScalarFunctorIdLi1ELi1ELi0EEEJSt4plusIdEdEEEvT_T0_DpT1_.num_agpr, 0
	.set _ZN2at6native12_GLOBAL__N_125multi_tensor_apply_kernelINS1_18TensorListMetadataILi1EEENS1_21BinaryOpScalarFunctorIdLi1ELi1ELi0EEEJSt4plusIdEdEEEvT_T0_DpT1_.numbered_sgpr, 27
	.set _ZN2at6native12_GLOBAL__N_125multi_tensor_apply_kernelINS1_18TensorListMetadataILi1EEENS1_21BinaryOpScalarFunctorIdLi1ELi1ELi0EEEJSt4plusIdEdEEEvT_T0_DpT1_.num_named_barrier, 0
	.set _ZN2at6native12_GLOBAL__N_125multi_tensor_apply_kernelINS1_18TensorListMetadataILi1EEENS1_21BinaryOpScalarFunctorIdLi1ELi1ELi0EEEJSt4plusIdEdEEEvT_T0_DpT1_.private_seg_size, 0
	.set _ZN2at6native12_GLOBAL__N_125multi_tensor_apply_kernelINS1_18TensorListMetadataILi1EEENS1_21BinaryOpScalarFunctorIdLi1ELi1ELi0EEEJSt4plusIdEdEEEvT_T0_DpT1_.uses_vcc, 1
	.set _ZN2at6native12_GLOBAL__N_125multi_tensor_apply_kernelINS1_18TensorListMetadataILi1EEENS1_21BinaryOpScalarFunctorIdLi1ELi1ELi0EEEJSt4plusIdEdEEEvT_T0_DpT1_.uses_flat_scratch, 0
	.set _ZN2at6native12_GLOBAL__N_125multi_tensor_apply_kernelINS1_18TensorListMetadataILi1EEENS1_21BinaryOpScalarFunctorIdLi1ELi1ELi0EEEJSt4plusIdEdEEEvT_T0_DpT1_.has_dyn_sized_stack, 0
	.set _ZN2at6native12_GLOBAL__N_125multi_tensor_apply_kernelINS1_18TensorListMetadataILi1EEENS1_21BinaryOpScalarFunctorIdLi1ELi1ELi0EEEJSt4plusIdEdEEEvT_T0_DpT1_.has_recursion, 0
	.set _ZN2at6native12_GLOBAL__N_125multi_tensor_apply_kernelINS1_18TensorListMetadataILi1EEENS1_21BinaryOpScalarFunctorIdLi1ELi1ELi0EEEJSt4plusIdEdEEEvT_T0_DpT1_.has_indirect_call, 0
	.section	.AMDGPU.csdata,"",@progbits
; Kernel info:
; codeLenInByte = 1304
; TotalNumSgprs: 29
; NumVgprs: 21
; ScratchSize: 0
; MemoryBound: 0
; FloatMode: 240
; IeeeMode: 1
; LDSByteSize: 0 bytes/workgroup (compile time only)
; SGPRBlocks: 0
; VGPRBlocks: 2
; NumSGPRsForWavesPerEU: 29
; NumVGPRsForWavesPerEU: 21
; Occupancy: 16
; WaveLimiterHint : 0
; COMPUTE_PGM_RSRC2:SCRATCH_EN: 0
; COMPUTE_PGM_RSRC2:USER_SGPR: 2
; COMPUTE_PGM_RSRC2:TRAP_HANDLER: 0
; COMPUTE_PGM_RSRC2:TGID_X_EN: 1
; COMPUTE_PGM_RSRC2:TGID_Y_EN: 0
; COMPUTE_PGM_RSRC2:TGID_Z_EN: 0
; COMPUTE_PGM_RSRC2:TIDIG_COMP_CNT: 0
	.section	.text._ZN2at6native12_GLOBAL__N_125multi_tensor_apply_kernelINS1_18TensorListMetadataILi1EEENS1_21BinaryOpScalarFunctorIfLi1ELi1ELi0EEEJSt4plusIfEfEEEvT_T0_DpT1_,"axG",@progbits,_ZN2at6native12_GLOBAL__N_125multi_tensor_apply_kernelINS1_18TensorListMetadataILi1EEENS1_21BinaryOpScalarFunctorIfLi1ELi1ELi0EEEJSt4plusIfEfEEEvT_T0_DpT1_,comdat
	.globl	_ZN2at6native12_GLOBAL__N_125multi_tensor_apply_kernelINS1_18TensorListMetadataILi1EEENS1_21BinaryOpScalarFunctorIfLi1ELi1ELi0EEEJSt4plusIfEfEEEvT_T0_DpT1_ ; -- Begin function _ZN2at6native12_GLOBAL__N_125multi_tensor_apply_kernelINS1_18TensorListMetadataILi1EEENS1_21BinaryOpScalarFunctorIfLi1ELi1ELi0EEEJSt4plusIfEfEEEvT_T0_DpT1_
	.p2align	8
	.type	_ZN2at6native12_GLOBAL__N_125multi_tensor_apply_kernelINS1_18TensorListMetadataILi1EEENS1_21BinaryOpScalarFunctorIfLi1ELi1ELi0EEEJSt4plusIfEfEEEvT_T0_DpT1_,@function
_ZN2at6native12_GLOBAL__N_125multi_tensor_apply_kernelINS1_18TensorListMetadataILi1EEENS1_21BinaryOpScalarFunctorIfLi1ELi1ELi0EEEJSt4plusIfEfEEEvT_T0_DpT1_: ; @_ZN2at6native12_GLOBAL__N_125multi_tensor_apply_kernelINS1_18TensorListMetadataILi1EEENS1_21BinaryOpScalarFunctorIfLi1ELi1ELi0EEEJSt4plusIfEfEEEvT_T0_DpT1_
; %bb.0:
	s_load_u8 s8, s[0:1], ttmp9 offset:0x6e0
	s_mov_b32 s2, ttmp9
	s_mov_b32 s3, 0
	s_delay_alu instid0(SALU_CYCLE_1)
	s_mul_u64 s[4:5], s[2:3], 3
	s_add_nc_u64 s[6:7], s[0:1], s[2:3]
	s_mov_b32 s13, s3
	s_add_nc_u64 s[4:5], s[6:7], s[4:5]
	s_load_b32 s4, s[4:5], 0x820
	s_wait_kmcnt 0x0
	s_lshl_b32 s2, s8, 3
	s_clause 0x2
	s_load_b64 s[6:7], s[0:1], s2 offset:0x0
	s_load_b64 s[10:11], s[0:1], s2 offset:0x370
	s_load_b32 s22, s[0:1], 0xd2c
	s_ashr_i32 s5, s4, 31
	s_delay_alu instid0(SALU_CYCLE_1)
	s_lshl_b64 s[8:9], s[4:5], 18
	s_lshl_b64 s[4:5], s[4:5], 16
	s_wait_kmcnt 0x0
	s_and_b32 s2, s6, 15
	s_and_b32 s12, s10, 3
	s_sub_nc_u64 s[10:11], s[10:11], s[4:5]
	s_or_b64 s[2:3], s[2:3], s[12:13]
	s_delay_alu instid0(SALU_CYCLE_1)
	s_cmp_eq_u64 s[2:3], 0
	s_cbranch_scc1 .LBB6_21
; %bb.1:
	v_cmp_lt_i64_e64 s2, s[10:11], 1
	s_and_b32 vcc_lo, exec_lo, s2
	s_cbranch_vccnz .LBB6_20
; %bb.2:
	s_load_b32 s2, s[0:1], 0xd3c
	v_cmp_gt_i64_e64 s12, 0x10000, s[10:11]
	v_lshlrev_b32_e32 v1, 2, v0
	s_add_nc_u64 s[4:5], s[6:7], s[8:9]
	s_mov_b32 s3, 0
	v_cmp_gt_u64_e64 s16, 0x10000, s[10:11]
	s_mov_b32 s13, s3
	v_add_co_u32 v1, s14, s4, v1
	s_and_b32 s12, s12, exec_lo
	v_add_co_ci_u32_e64 v2, null, s5, 0, s14
	s_cselect_b32 s15, s11, 0
	s_cselect_b32 s14, s10, 0x10000
	s_wait_kmcnt 0x0
	s_and_b32 s2, s2, 0xffff
	s_and_b32 s12, s16, exec_lo
	s_mul_u64 s[18:19], s[2:3], 12
	v_add_co_u32 v5, s3, v0, s2
	s_cselect_b32 s17, s11, 0
	s_cselect_b32 s16, s10, 0x10000
	s_lshl_b32 s20, s2, 1
	v_lshlrev_b32_e32 v3, 2, v5
	s_mul_i32 s21, s2, 3
	v_add_co_ci_u32_e64 v8, null, 0, 0, s3
	v_add_co_u32 v9, s3, s20, v0
	v_add_co_u32 v6, s21, s21, v0
	s_wait_alu 0xf1ff
	v_add_co_ci_u32_e64 v10, null, 0, 0, s3
	v_add_co_u32 v3, s3, s4, v3
	v_add_co_ci_u32_e64 v7, null, 0, 0, s21
	s_wait_alu 0xf1ff
	v_add_co_ci_u32_e64 v4, null, s5, 0, s3
	s_lshl_b32 s12, s2, 2
	s_lshl_b32 s23, s2, 4
	s_lshl_b32 s24, s2, 3
	s_mov_b64 s[20:21], 0
	s_branch .LBB6_4
.LBB6_3:                                ;   in Loop: Header=BB6_4 Depth=1
	s_wait_alu 0xfffe
	s_or_b32 exec_lo, exec_lo, s2
	s_add_nc_u64 s[20:21], s[20:21], s[12:13]
	v_add_co_u32 v1, vcc_lo, v1, s23
	s_wait_alu 0xfffe
	v_cmp_lt_i64_e64 s2, s[20:21], s[14:15]
	s_wait_alu 0xfffd
	v_add_co_ci_u32_e64 v2, null, 0, v2, vcc_lo
	v_add_co_u32 v3, vcc_lo, v3, s23
	s_wait_alu 0xfffd
	v_add_co_ci_u32_e64 v4, null, 0, v4, vcc_lo
	s_and_b32 vcc_lo, exec_lo, s2
	s_wait_alu 0xfffe
	s_cbranch_vccz .LBB6_20
.LBB6_4:                                ; =>This Inner Loop Header: Depth=1
	s_wait_loadcnt 0x0
	s_wait_alu 0xfffe
	v_add_co_u32 v11, s2, v0, s20
	s_wait_alu 0xf1ff
	v_add_co_ci_u32_e64 v12, null, 0, s21, s2
	s_delay_alu instid0(VALU_DEP_1)
	v_cmp_gt_u64_e32 vcc_lo, s[16:17], v[11:12]
	v_mov_b32_e32 v11, 0
	s_and_saveexec_b32 s2, vcc_lo
	s_cbranch_execz .LBB6_6
; %bb.5:                                ;   in Loop: Header=BB6_4 Depth=1
	global_load_b32 v11, v[1:2], off
.LBB6_6:                                ;   in Loop: Header=BB6_4 Depth=1
	s_wait_alu 0xfffe
	s_or_b32 exec_lo, exec_lo, s2
	v_add_co_u32 v12, s2, v5, s20
	s_wait_alu 0xf1ff
	v_add_co_ci_u32_e64 v13, null, s21, v8, s2
	s_delay_alu instid0(VALU_DEP_1)
	v_cmp_gt_u64_e64 s2, s[16:17], v[12:13]
	v_dual_mov_b32 v12, 0 :: v_dual_mov_b32 v13, 0
	s_and_saveexec_b32 s3, s2
	s_cbranch_execz .LBB6_8
; %bb.7:                                ;   in Loop: Header=BB6_4 Depth=1
	global_load_b32 v13, v[3:4], off
.LBB6_8:                                ;   in Loop: Header=BB6_4 Depth=1
	s_wait_alu 0xfffe
	s_or_b32 exec_lo, exec_lo, s3
	v_add_co_u32 v14, s3, v9, s20
	s_wait_alu 0xf1ff
	v_add_co_ci_u32_e64 v15, null, s21, v10, s3
	s_delay_alu instid0(VALU_DEP_1)
	v_cmp_gt_u64_e64 s3, s[16:17], v[14:15]
	s_and_saveexec_b32 s5, s3
	s_cbranch_execz .LBB6_10
; %bb.9:                                ;   in Loop: Header=BB6_4 Depth=1
	v_add_co_u32 v14, s4, v1, s24
	s_wait_alu 0xf1ff
	v_add_co_ci_u32_e64 v15, null, 0, v2, s4
	global_load_b32 v12, v[14:15], off
.LBB6_10:                               ;   in Loop: Header=BB6_4 Depth=1
	s_wait_alu 0xfffe
	s_or_b32 exec_lo, exec_lo, s5
	v_add_co_u32 v14, s4, v6, s20
	s_wait_alu 0xf1ff
	v_add_co_ci_u32_e64 v15, null, s21, v7, s4
	s_delay_alu instid0(VALU_DEP_1)
	v_cmp_gt_u64_e64 s4, s[16:17], v[14:15]
	v_mov_b32_e32 v14, 0
	s_and_saveexec_b32 s25, s4
	s_cbranch_execnz .LBB6_15
; %bb.11:                               ;   in Loop: Header=BB6_4 Depth=1
	s_wait_alu 0xfffe
	s_or_b32 exec_lo, exec_lo, s25
	s_and_saveexec_b32 s5, vcc_lo
	s_cbranch_execnz .LBB6_16
.LBB6_12:                               ;   in Loop: Header=BB6_4 Depth=1
	s_wait_alu 0xfffe
	s_or_b32 exec_lo, exec_lo, s5
	s_and_saveexec_b32 s5, s2
	s_cbranch_execnz .LBB6_17
.LBB6_13:                               ;   in Loop: Header=BB6_4 Depth=1
	s_wait_alu 0xfffe
	s_or_b32 exec_lo, exec_lo, s5
	s_and_saveexec_b32 s2, s3
	s_cbranch_execnz .LBB6_18
.LBB6_14:                               ;   in Loop: Header=BB6_4 Depth=1
	s_wait_alu 0xfffe
	s_or_b32 exec_lo, exec_lo, s2
	s_and_saveexec_b32 s2, s4
	s_cbranch_execz .LBB6_3
	s_branch .LBB6_19
.LBB6_15:                               ;   in Loop: Header=BB6_4 Depth=1
	v_add_co_u32 v14, s5, v1, s18
	s_wait_alu 0xf1ff
	v_add_co_ci_u32_e64 v15, null, s19, v2, s5
	global_load_b32 v14, v[14:15], off
	s_wait_alu 0xfffe
	s_or_b32 exec_lo, exec_lo, s25
	s_and_saveexec_b32 s5, vcc_lo
	s_cbranch_execz .LBB6_12
.LBB6_16:                               ;   in Loop: Header=BB6_4 Depth=1
	s_wait_loadcnt 0x0
	v_add_f32_e32 v11, s22, v11
	global_store_b32 v[1:2], v11, off
	s_wait_alu 0xfffe
	s_or_b32 exec_lo, exec_lo, s5
	s_and_saveexec_b32 s5, s2
	s_cbranch_execz .LBB6_13
.LBB6_17:                               ;   in Loop: Header=BB6_4 Depth=1
	s_wait_loadcnt 0x0
	v_add_f32_e32 v11, s22, v13
	global_store_b32 v[3:4], v11, off
	s_wait_alu 0xfffe
	s_or_b32 exec_lo, exec_lo, s5
	s_and_saveexec_b32 s2, s3
	s_cbranch_execz .LBB6_14
.LBB6_18:                               ;   in Loop: Header=BB6_4 Depth=1
	s_wait_loadcnt 0x0
	v_add_co_u32 v11, vcc_lo, v1, s24
	v_add_f32_e32 v13, s22, v12
	s_wait_alu 0xfffd
	v_add_co_ci_u32_e64 v12, null, 0, v2, vcc_lo
	global_store_b32 v[11:12], v13, off
	s_wait_alu 0xfffe
	s_or_b32 exec_lo, exec_lo, s2
	s_and_saveexec_b32 s2, s4
	s_cbranch_execz .LBB6_3
.LBB6_19:                               ;   in Loop: Header=BB6_4 Depth=1
	s_wait_loadcnt 0x0
	v_add_co_u32 v11, vcc_lo, v1, s18
	v_add_f32_e32 v13, s22, v14
	s_wait_alu 0xfffd
	v_add_co_ci_u32_e64 v12, null, s19, v2, vcc_lo
	global_store_b32 v[11:12], v13, off
	s_branch .LBB6_3
.LBB6_20:
	s_cbranch_execz .LBB6_22
	s_branch .LBB6_25
.LBB6_21:
.LBB6_22:
	v_cmp_gt_i64_e64 s2, 0x10000, s[10:11]
	v_dual_mov_b32 v2, 0 :: v_dual_lshlrev_b32 v1, 2, v0
	s_mov_b32 s4, 0
	s_mov_b32 s5, exec_lo
	s_and_b32 s2, s2, exec_lo
	s_cselect_b32 s3, s11, 0
	s_cselect_b32 s2, s10, 0x10000
	s_wait_alu 0xfffe
	v_cmpx_gt_i64_e64 s[2:3], v[1:2]
	s_cbranch_execz .LBB6_25
; %bb.23:
	s_load_b32 s5, s[0:1], 0xd3c
	v_lshlrev_b32_e32 v1, 4, v0
	s_add_nc_u64 s[0:1], s[6:7], s[8:9]
	s_delay_alu instid0(VALU_DEP_1) | instid1(SALU_CYCLE_1)
	v_add_co_u32 v3, s0, s0, v1
	s_wait_alu 0xf1ff
	v_add_co_ci_u32_e64 v4, null, s1, 0, s0
	v_mov_b32_e32 v1, v2
	s_delay_alu instid0(VALU_DEP_3) | instskip(SKIP_1) | instid1(VALU_DEP_3)
	v_add_co_u32 v2, vcc_lo, v3, 8
	s_wait_alu 0xfffd
	v_add_co_ci_u32_e64 v3, null, 0, v4, vcc_lo
	s_wait_kmcnt 0x0
	s_and_b32 s1, s5, 0xffff
	s_wait_alu 0xfffe
	s_lshl_b32 s5, s1, 4
.LBB6_24:                               ; =>This Inner Loop Header: Depth=1
	global_load_b128 v[4:7], v[2:3], off offset:-8
	v_add_co_u32 v0, vcc_lo, v0, s1
	s_wait_alu 0xfffd
	v_add_co_ci_u32_e64 v1, null, 0, v1, vcc_lo
	s_delay_alu instid0(VALU_DEP_1) | instskip(NEXT) | instid1(VALU_DEP_1)
	v_lshlrev_b64_e32 v[8:9], 2, v[0:1]
	v_cmp_le_i64_e32 vcc_lo, s[2:3], v[8:9]
	s_or_b32 s4, vcc_lo, s4
	s_wait_loadcnt 0x0
	v_dual_add_f32 v4, s22, v4 :: v_dual_add_f32 v5, s22, v5
	v_dual_add_f32 v6, s22, v6 :: v_dual_add_f32 v7, s22, v7
	global_store_b128 v[2:3], v[4:7], off offset:-8
	s_wait_alu 0xfffe
	v_add_co_u32 v2, s0, v2, s5
	s_wait_alu 0xf1ff
	v_add_co_ci_u32_e64 v3, null, 0, v3, s0
	s_and_not1_b32 exec_lo, exec_lo, s4
	s_cbranch_execnz .LBB6_24
.LBB6_25:
	s_endpgm
	.section	.rodata,"a",@progbits
	.p2align	6, 0x0
	.amdhsa_kernel _ZN2at6native12_GLOBAL__N_125multi_tensor_apply_kernelINS1_18TensorListMetadataILi1EEENS1_21BinaryOpScalarFunctorIfLi1ELi1ELi0EEEJSt4plusIfEfEEEvT_T0_DpT1_
		.amdhsa_group_segment_fixed_size 0
		.amdhsa_private_segment_fixed_size 0
		.amdhsa_kernarg_size 3632
		.amdhsa_user_sgpr_count 2
		.amdhsa_user_sgpr_dispatch_ptr 0
		.amdhsa_user_sgpr_queue_ptr 0
		.amdhsa_user_sgpr_kernarg_segment_ptr 1
		.amdhsa_user_sgpr_dispatch_id 0
		.amdhsa_user_sgpr_private_segment_size 0
		.amdhsa_wavefront_size32 1
		.amdhsa_uses_dynamic_stack 0
		.amdhsa_enable_private_segment 0
		.amdhsa_system_sgpr_workgroup_id_x 1
		.amdhsa_system_sgpr_workgroup_id_y 0
		.amdhsa_system_sgpr_workgroup_id_z 0
		.amdhsa_system_sgpr_workgroup_info 0
		.amdhsa_system_vgpr_workitem_id 0
		.amdhsa_next_free_vgpr 16
		.amdhsa_next_free_sgpr 26
		.amdhsa_reserve_vcc 1
		.amdhsa_float_round_mode_32 0
		.amdhsa_float_round_mode_16_64 0
		.amdhsa_float_denorm_mode_32 3
		.amdhsa_float_denorm_mode_16_64 3
		.amdhsa_fp16_overflow 0
		.amdhsa_workgroup_processor_mode 1
		.amdhsa_memory_ordered 1
		.amdhsa_forward_progress 1
		.amdhsa_inst_pref_size 10
		.amdhsa_round_robin_scheduling 0
		.amdhsa_exception_fp_ieee_invalid_op 0
		.amdhsa_exception_fp_denorm_src 0
		.amdhsa_exception_fp_ieee_div_zero 0
		.amdhsa_exception_fp_ieee_overflow 0
		.amdhsa_exception_fp_ieee_underflow 0
		.amdhsa_exception_fp_ieee_inexact 0
		.amdhsa_exception_int_div_zero 0
	.end_amdhsa_kernel
	.section	.text._ZN2at6native12_GLOBAL__N_125multi_tensor_apply_kernelINS1_18TensorListMetadataILi1EEENS1_21BinaryOpScalarFunctorIfLi1ELi1ELi0EEEJSt4plusIfEfEEEvT_T0_DpT1_,"axG",@progbits,_ZN2at6native12_GLOBAL__N_125multi_tensor_apply_kernelINS1_18TensorListMetadataILi1EEENS1_21BinaryOpScalarFunctorIfLi1ELi1ELi0EEEJSt4plusIfEfEEEvT_T0_DpT1_,comdat
.Lfunc_end6:
	.size	_ZN2at6native12_GLOBAL__N_125multi_tensor_apply_kernelINS1_18TensorListMetadataILi1EEENS1_21BinaryOpScalarFunctorIfLi1ELi1ELi0EEEJSt4plusIfEfEEEvT_T0_DpT1_, .Lfunc_end6-_ZN2at6native12_GLOBAL__N_125multi_tensor_apply_kernelINS1_18TensorListMetadataILi1EEENS1_21BinaryOpScalarFunctorIfLi1ELi1ELi0EEEJSt4plusIfEfEEEvT_T0_DpT1_
                                        ; -- End function
	.set _ZN2at6native12_GLOBAL__N_125multi_tensor_apply_kernelINS1_18TensorListMetadataILi1EEENS1_21BinaryOpScalarFunctorIfLi1ELi1ELi0EEEJSt4plusIfEfEEEvT_T0_DpT1_.num_vgpr, 16
	.set _ZN2at6native12_GLOBAL__N_125multi_tensor_apply_kernelINS1_18TensorListMetadataILi1EEENS1_21BinaryOpScalarFunctorIfLi1ELi1ELi0EEEJSt4plusIfEfEEEvT_T0_DpT1_.num_agpr, 0
	.set _ZN2at6native12_GLOBAL__N_125multi_tensor_apply_kernelINS1_18TensorListMetadataILi1EEENS1_21BinaryOpScalarFunctorIfLi1ELi1ELi0EEEJSt4plusIfEfEEEvT_T0_DpT1_.numbered_sgpr, 26
	.set _ZN2at6native12_GLOBAL__N_125multi_tensor_apply_kernelINS1_18TensorListMetadataILi1EEENS1_21BinaryOpScalarFunctorIfLi1ELi1ELi0EEEJSt4plusIfEfEEEvT_T0_DpT1_.num_named_barrier, 0
	.set _ZN2at6native12_GLOBAL__N_125multi_tensor_apply_kernelINS1_18TensorListMetadataILi1EEENS1_21BinaryOpScalarFunctorIfLi1ELi1ELi0EEEJSt4plusIfEfEEEvT_T0_DpT1_.private_seg_size, 0
	.set _ZN2at6native12_GLOBAL__N_125multi_tensor_apply_kernelINS1_18TensorListMetadataILi1EEENS1_21BinaryOpScalarFunctorIfLi1ELi1ELi0EEEJSt4plusIfEfEEEvT_T0_DpT1_.uses_vcc, 1
	.set _ZN2at6native12_GLOBAL__N_125multi_tensor_apply_kernelINS1_18TensorListMetadataILi1EEENS1_21BinaryOpScalarFunctorIfLi1ELi1ELi0EEEJSt4plusIfEfEEEvT_T0_DpT1_.uses_flat_scratch, 0
	.set _ZN2at6native12_GLOBAL__N_125multi_tensor_apply_kernelINS1_18TensorListMetadataILi1EEENS1_21BinaryOpScalarFunctorIfLi1ELi1ELi0EEEJSt4plusIfEfEEEvT_T0_DpT1_.has_dyn_sized_stack, 0
	.set _ZN2at6native12_GLOBAL__N_125multi_tensor_apply_kernelINS1_18TensorListMetadataILi1EEENS1_21BinaryOpScalarFunctorIfLi1ELi1ELi0EEEJSt4plusIfEfEEEvT_T0_DpT1_.has_recursion, 0
	.set _ZN2at6native12_GLOBAL__N_125multi_tensor_apply_kernelINS1_18TensorListMetadataILi1EEENS1_21BinaryOpScalarFunctorIfLi1ELi1ELi0EEEJSt4plusIfEfEEEvT_T0_DpT1_.has_indirect_call, 0
	.section	.AMDGPU.csdata,"",@progbits
; Kernel info:
; codeLenInByte = 1256
; TotalNumSgprs: 28
; NumVgprs: 16
; ScratchSize: 0
; MemoryBound: 0
; FloatMode: 240
; IeeeMode: 1
; LDSByteSize: 0 bytes/workgroup (compile time only)
; SGPRBlocks: 0
; VGPRBlocks: 1
; NumSGPRsForWavesPerEU: 28
; NumVGPRsForWavesPerEU: 16
; Occupancy: 16
; WaveLimiterHint : 0
; COMPUTE_PGM_RSRC2:SCRATCH_EN: 0
; COMPUTE_PGM_RSRC2:USER_SGPR: 2
; COMPUTE_PGM_RSRC2:TRAP_HANDLER: 0
; COMPUTE_PGM_RSRC2:TGID_X_EN: 1
; COMPUTE_PGM_RSRC2:TGID_Y_EN: 0
; COMPUTE_PGM_RSRC2:TGID_Z_EN: 0
; COMPUTE_PGM_RSRC2:TIDIG_COMP_CNT: 0
	.section	.text._ZN2at6native12_GLOBAL__N_125multi_tensor_apply_kernelINS1_18TensorListMetadataILi1EEENS1_21BinaryOpScalarFunctorIN3c107complexIdEELi1ELi1ELi0EEEJSt4plusIS8_ES8_EEEvT_T0_DpT1_,"axG",@progbits,_ZN2at6native12_GLOBAL__N_125multi_tensor_apply_kernelINS1_18TensorListMetadataILi1EEENS1_21BinaryOpScalarFunctorIN3c107complexIdEELi1ELi1ELi0EEEJSt4plusIS8_ES8_EEEvT_T0_DpT1_,comdat
	.globl	_ZN2at6native12_GLOBAL__N_125multi_tensor_apply_kernelINS1_18TensorListMetadataILi1EEENS1_21BinaryOpScalarFunctorIN3c107complexIdEELi1ELi1ELi0EEEJSt4plusIS8_ES8_EEEvT_T0_DpT1_ ; -- Begin function _ZN2at6native12_GLOBAL__N_125multi_tensor_apply_kernelINS1_18TensorListMetadataILi1EEENS1_21BinaryOpScalarFunctorIN3c107complexIdEELi1ELi1ELi0EEEJSt4plusIS8_ES8_EEEvT_T0_DpT1_
	.p2align	8
	.type	_ZN2at6native12_GLOBAL__N_125multi_tensor_apply_kernelINS1_18TensorListMetadataILi1EEENS1_21BinaryOpScalarFunctorIN3c107complexIdEELi1ELi1ELi0EEEJSt4plusIS8_ES8_EEEvT_T0_DpT1_,@function
_ZN2at6native12_GLOBAL__N_125multi_tensor_apply_kernelINS1_18TensorListMetadataILi1EEENS1_21BinaryOpScalarFunctorIN3c107complexIdEELi1ELi1ELi0EEEJSt4plusIS8_ES8_EEEvT_T0_DpT1_: ; @_ZN2at6native12_GLOBAL__N_125multi_tensor_apply_kernelINS1_18TensorListMetadataILi1EEENS1_21BinaryOpScalarFunctorIN3c107complexIdEELi1ELi1ELi0EEEJSt4plusIS8_ES8_EEEvT_T0_DpT1_
; %bb.0:
	s_mov_b32 s2, ttmp9
	s_mov_b32 s3, 0
	s_delay_alu instid0(SALU_CYCLE_1)
	s_mul_u64 s[4:5], s[2:3], 3
	s_add_nc_u64 s[6:7], s[0:1], s[2:3]
	s_mov_b32 s19, s3
	s_add_nc_u64 s[4:5], s[6:7], s[4:5]
	s_clause 0x1
	s_load_b32 s4, s[4:5], 0x820
	s_load_u8 s2, s[0:1], ttmp9 offset:0x6e0
	s_wait_kmcnt 0x0
	s_ashr_i32 s5, s4, 31
	s_lshl_b32 s2, s2, 3
	s_clause 0x2
	s_load_b64 s[6:7], s[0:1], s2 offset:0x0
	s_load_b64 s[14:15], s[0:1], s2 offset:0x370
	s_load_b128 s[8:11], s[0:1], 0xd30
	s_lshl_b64 s[12:13], s[4:5], 20
	s_lshl_b64 s[4:5], s[4:5], 16
	s_wait_kmcnt 0x0
	s_add_nc_u64 s[16:17], s[6:7], s[12:13]
	s_and_b32 s18, s14, 3
	s_and_b32 s2, s16, 63
	s_sub_nc_u64 s[14:15], s[14:15], s[4:5]
	s_or_b64 s[2:3], s[2:3], s[18:19]
	s_delay_alu instid0(SALU_CYCLE_1)
	s_cmp_eq_u64 s[2:3], 0
	s_cbranch_scc1 .LBB7_21
; %bb.1:
	v_cmp_lt_i64_e64 s2, s[14:15], 1
	s_and_b32 vcc_lo, exec_lo, s2
	s_cbranch_vccnz .LBB7_20
; %bb.2:
	s_load_b32 s2, s[0:1], 0xd4c
	v_cmp_gt_i64_e64 s3, 0x10000, s[14:15]
	v_cmp_gt_u64_e64 s4, 0x10000, s[14:15]
	v_dual_mov_b32 v18, 0 :: v_dual_lshlrev_b32 v17, 4, v0
	s_mov_b32 s19, 0
	s_mov_b64 s[26:27], 0
	s_and_b32 s3, s3, exec_lo
	s_cselect_b32 s21, s15, 0
	s_cselect_b32 s20, s14, 0x10000
	s_mov_b32 s25, s19
	s_wait_kmcnt 0x0
	s_and_b32 s2, s2, 0xffff
	s_and_b32 s3, s4, exec_lo
	s_mul_i32 s4, s2, 3
	v_add_co_u32 v20, s5, v0, s2
	v_mad_co_u64_u32 v[18:19], null, s2, 48, v[17:18]
	s_cselect_b32 s23, s15, 0
	s_cselect_b32 s22, s14, 0x10000
	v_add_co_ci_u32_e64 v21, null, 0, 0, s5
	s_lshl_b32 s5, s2, 5
	v_add_co_u32 v22, s4, s4, v0
	s_wait_alu 0xf1ff
	v_add_co_ci_u32_e64 v23, null, 0, 0, s4
	s_wait_alu 0xfffe
	v_add_co_u32 v1, s4, s5, v17
	s_lshl_b32 s3, s2, 1
	v_lshlrev_b32_e32 v24, 4, v20
	s_wait_alu 0xfffe
	v_add_co_u32 v27, s3, s3, v0
	v_or_b32_e32 v18, 8, v18
	v_add_co_ci_u32_e64 v25, null, 0, 0, s4
	v_or_b32_e32 v26, 8, v1
	s_wait_alu 0xf1ff
	v_add_co_ci_u32_e64 v28, null, 0, 0, s3
	s_lshl_b32 s18, s2, 2
	s_lshl_b32 s24, s2, 6
	s_branch .LBB7_4
.LBB7_3:                                ;   in Loop: Header=BB7_4 Depth=1
	s_wait_alu 0xfffe
	s_or_b32 exec_lo, exec_lo, s2
	s_add_nc_u64 s[26:27], s[26:27], s[18:19]
	s_add_nc_u64 s[16:17], s[16:17], s[24:25]
	s_wait_alu 0xfffe
	v_cmp_lt_i64_e64 s2, s[26:27], s[20:21]
	s_and_b32 vcc_lo, exec_lo, s2
	s_wait_alu 0xfffe
	s_cbranch_vccz .LBB7_20
.LBB7_4:                                ; =>This Inner Loop Header: Depth=1
	s_wait_loadcnt 0x0
	v_add_co_u32 v1, s2, v0, s26
	s_wait_alu 0xf1ff
	v_add_co_ci_u32_e64 v2, null, 0, s27, s2
	v_mov_b32_e32 v3, 0
	v_dual_mov_b32 v4, 0 :: v_dual_mov_b32 v7, 0
	s_delay_alu instid0(VALU_DEP_3)
	v_cmp_gt_u64_e32 vcc_lo, s[22:23], v[1:2]
	v_dual_mov_b32 v5, 0 :: v_dual_mov_b32 v8, 0
	v_mov_b32_e32 v6, 0
	s_and_saveexec_b32 s2, vcc_lo
	s_cbranch_execz .LBB7_6
; %bb.5:                                ;   in Loop: Header=BB7_4 Depth=1
	v_add_co_u32 v1, s3, s16, v17
	s_wait_alu 0xf1ff
	v_add_co_ci_u32_e64 v2, null, s17, 0, s3
	global_load_b128 v[5:8], v[1:2], off
.LBB7_6:                                ;   in Loop: Header=BB7_4 Depth=1
	s_wait_alu 0xfffe
	s_or_b32 exec_lo, exec_lo, s2
	v_add_co_u32 v1, s2, v20, s26
	s_wait_alu 0xf1ff
	v_add_co_ci_u32_e64 v2, null, s27, v21, s2
	s_delay_alu instid0(VALU_DEP_1)
	v_cmp_gt_u64_e64 s2, s[22:23], v[1:2]
	v_mov_b32_e32 v1, 0
	v_mov_b32_e32 v2, 0
	s_and_saveexec_b32 s3, s2
	s_cbranch_execz .LBB7_8
; %bb.7:                                ;   in Loop: Header=BB7_4 Depth=1
	v_add_co_u32 v1, s4, s16, v24
	s_wait_alu 0xf1ff
	v_add_co_ci_u32_e64 v2, null, s17, 0, s4
	global_load_b128 v[1:4], v[1:2], off
.LBB7_8:                                ;   in Loop: Header=BB7_4 Depth=1
	s_wait_alu 0xfffe
	s_or_b32 exec_lo, exec_lo, s3
	v_add_co_u32 v9, s3, v27, s26
	s_wait_alu 0xf1ff
	v_add_co_ci_u32_e64 v10, null, s27, v28, s3
	v_mov_b32_e32 v11, 0
	v_dual_mov_b32 v12, 0 :: v_dual_mov_b32 v15, 0
	s_delay_alu instid0(VALU_DEP_3)
	v_cmp_gt_u64_e64 s3, s[22:23], v[9:10]
	v_dual_mov_b32 v13, 0 :: v_dual_mov_b32 v16, 0
	v_mov_b32_e32 v14, 0
	s_and_saveexec_b32 s5, s3
	s_cbranch_execz .LBB7_10
; %bb.9:                                ;   in Loop: Header=BB7_4 Depth=1
	v_add_co_u32 v9, s4, s16, v26
	s_wait_alu 0xf1ff
	v_add_co_ci_u32_e64 v10, null, s17, v25, s4
	global_load_b128 v[13:16], v[9:10], off offset:-8
.LBB7_10:                               ;   in Loop: Header=BB7_4 Depth=1
	s_wait_alu 0xfffe
	s_or_b32 exec_lo, exec_lo, s5
	v_add_co_u32 v9, s4, v22, s26
	s_wait_alu 0xf1ff
	v_add_co_ci_u32_e64 v10, null, s27, v23, s4
	s_delay_alu instid0(VALU_DEP_1)
	v_cmp_gt_u64_e64 s4, s[22:23], v[9:10]
	v_mov_b32_e32 v9, 0
	v_mov_b32_e32 v10, 0
	s_and_saveexec_b32 s28, s4
	s_cbranch_execnz .LBB7_15
; %bb.11:                               ;   in Loop: Header=BB7_4 Depth=1
	s_wait_alu 0xfffe
	s_or_b32 exec_lo, exec_lo, s28
	s_and_saveexec_b32 s5, vcc_lo
	s_cbranch_execnz .LBB7_16
.LBB7_12:                               ;   in Loop: Header=BB7_4 Depth=1
	s_wait_alu 0xfffe
	s_or_b32 exec_lo, exec_lo, s5
	s_and_saveexec_b32 s5, s2
	s_cbranch_execnz .LBB7_17
.LBB7_13:                               ;   in Loop: Header=BB7_4 Depth=1
	s_wait_alu 0xfffe
	s_or_b32 exec_lo, exec_lo, s5
	s_and_saveexec_b32 s2, s3
	s_cbranch_execnz .LBB7_18
.LBB7_14:                               ;   in Loop: Header=BB7_4 Depth=1
	s_wait_alu 0xfffe
	s_or_b32 exec_lo, exec_lo, s2
	s_and_saveexec_b32 s2, s4
	s_cbranch_execz .LBB7_3
	s_branch .LBB7_19
.LBB7_15:                               ;   in Loop: Header=BB7_4 Depth=1
	v_add_co_u32 v9, s5, s16, v18
	s_wait_alu 0xf1ff
	v_add_co_ci_u32_e64 v10, null, s17, v19, s5
	global_load_b128 v[9:12], v[9:10], off offset:-8
	s_wait_alu 0xfffe
	s_or_b32 exec_lo, exec_lo, s28
	s_and_saveexec_b32 s5, vcc_lo
	s_cbranch_execz .LBB7_12
.LBB7_16:                               ;   in Loop: Header=BB7_4 Depth=1
	s_wait_loadcnt 0x0
	v_add_f64_e32 v[7:8], s[10:11], v[7:8]
	v_add_f64_e32 v[5:6], s[8:9], v[5:6]
	v_add_co_u32 v29, s28, s16, v17
	s_wait_alu 0xf1ff
	v_add_co_ci_u32_e64 v30, null, s17, 0, s28
	global_store_b128 v[29:30], v[5:8], off
	s_wait_alu 0xfffe
	s_or_b32 exec_lo, exec_lo, s5
	s_and_saveexec_b32 s5, s2
	s_cbranch_execz .LBB7_13
.LBB7_17:                               ;   in Loop: Header=BB7_4 Depth=1
	s_wait_loadcnt 0x0
	v_add_f64_e32 v[1:2], s[8:9], v[1:2]
	v_add_f64_e32 v[3:4], s[10:11], v[3:4]
	v_add_co_u32 v5, s2, s16, v24
	s_wait_alu 0xf1ff
	v_add_co_ci_u32_e64 v6, null, s17, 0, s2
	global_store_b128 v[5:6], v[1:4], off
	s_wait_alu 0xfffe
	s_or_b32 exec_lo, exec_lo, s5
	s_and_saveexec_b32 s2, s3
	s_cbranch_execz .LBB7_14
.LBB7_18:                               ;   in Loop: Header=BB7_4 Depth=1
	s_wait_loadcnt 0x0
	v_add_f64_e32 v[1:2], s[8:9], v[13:14]
	v_add_f64_e32 v[3:4], s[10:11], v[15:16]
	v_add_co_u32 v5, vcc_lo, s16, v26
	s_wait_alu 0xfffd
	v_add_co_ci_u32_e64 v6, null, s17, v25, vcc_lo
	global_store_b128 v[5:6], v[1:4], off offset:-8
	s_wait_alu 0xfffe
	s_or_b32 exec_lo, exec_lo, s2
	s_and_saveexec_b32 s2, s4
	s_cbranch_execz .LBB7_3
.LBB7_19:                               ;   in Loop: Header=BB7_4 Depth=1
	s_wait_loadcnt 0x0
	v_add_f64_e32 v[1:2], s[8:9], v[9:10]
	v_add_f64_e32 v[3:4], s[10:11], v[11:12]
	v_add_co_u32 v5, vcc_lo, s16, v18
	s_wait_alu 0xfffd
	v_add_co_ci_u32_e64 v6, null, s17, v19, vcc_lo
	global_store_b128 v[5:6], v[1:4], off offset:-8
	s_branch .LBB7_3
.LBB7_20:
	s_cbranch_execz .LBB7_22
	s_branch .LBB7_25
.LBB7_21:
.LBB7_22:
	v_cmp_gt_i64_e64 s2, 0x10000, s[14:15]
	s_wait_loadcnt 0x0
	v_dual_mov_b32 v2, 0 :: v_dual_lshlrev_b32 v1, 2, v0
	s_mov_b32 s4, 0
	s_mov_b32 s5, exec_lo
	s_and_b32 s2, s2, exec_lo
	s_cselect_b32 s3, s15, 0
	s_cselect_b32 s2, s14, 0x10000
	s_wait_alu 0xfffe
	v_cmpx_gt_i64_e64 s[2:3], v[1:2]
	s_cbranch_execz .LBB7_25
; %bb.23:
	s_load_b32 s5, s[0:1], 0xd4c
	v_lshlrev_b32_e32 v3, 6, v0
	s_add_nc_u64 s[0:1], s[6:7], s[12:13]
	v_mov_b32_e32 v1, v2
	s_delay_alu instid0(VALU_DEP_2)
	v_add_co_u32 v2, s0, s0, v3
	s_wait_alu 0xf1ff
	v_add_co_ci_u32_e64 v3, null, s1, 0, s0
	s_wait_kmcnt 0x0
	s_and_b32 s1, s5, 0xffff
	s_wait_alu 0xfffe
	s_lshl_b32 s5, s1, 6
.LBB7_24:                               ; =>This Inner Loop Header: Depth=1
	s_clause 0x3
	global_load_b128 v[4:7], v[2:3], off
	global_load_b128 v[8:11], v[2:3], off offset:16
	global_load_b128 v[12:15], v[2:3], off offset:32
	;; [unrolled: 1-line block ×3, first 2 shown]
	v_add_co_u32 v0, vcc_lo, v0, s1
	s_wait_alu 0xfffd
	v_add_co_ci_u32_e64 v1, null, 0, v1, vcc_lo
	s_delay_alu instid0(VALU_DEP_1) | instskip(NEXT) | instid1(VALU_DEP_1)
	v_lshlrev_b64_e32 v[20:21], 2, v[0:1]
	v_cmp_le_i64_e32 vcc_lo, s[2:3], v[20:21]
	s_or_b32 s4, vcc_lo, s4
	s_wait_loadcnt 0x3
	v_add_f64_e32 v[4:5], s[8:9], v[4:5]
	v_add_f64_e32 v[6:7], s[10:11], v[6:7]
	s_wait_loadcnt 0x2
	v_add_f64_e32 v[8:9], s[8:9], v[8:9]
	v_add_f64_e32 v[10:11], s[10:11], v[10:11]
	;; [unrolled: 3-line block ×4, first 2 shown]
	s_clause 0x3
	global_store_b128 v[2:3], v[4:7], off
	global_store_b128 v[2:3], v[8:11], off offset:16
	global_store_b128 v[2:3], v[12:15], off offset:32
	;; [unrolled: 1-line block ×3, first 2 shown]
	s_wait_alu 0xfffe
	v_add_co_u32 v2, s0, v2, s5
	s_wait_alu 0xf1ff
	v_add_co_ci_u32_e64 v3, null, 0, v3, s0
	s_and_not1_b32 exec_lo, exec_lo, s4
	s_cbranch_execnz .LBB7_24
.LBB7_25:
	s_endpgm
	.section	.rodata,"a",@progbits
	.p2align	6, 0x0
	.amdhsa_kernel _ZN2at6native12_GLOBAL__N_125multi_tensor_apply_kernelINS1_18TensorListMetadataILi1EEENS1_21BinaryOpScalarFunctorIN3c107complexIdEELi1ELi1ELi0EEEJSt4plusIS8_ES8_EEEvT_T0_DpT1_
		.amdhsa_group_segment_fixed_size 0
		.amdhsa_private_segment_fixed_size 0
		.amdhsa_kernarg_size 3648
		.amdhsa_user_sgpr_count 2
		.amdhsa_user_sgpr_dispatch_ptr 0
		.amdhsa_user_sgpr_queue_ptr 0
		.amdhsa_user_sgpr_kernarg_segment_ptr 1
		.amdhsa_user_sgpr_dispatch_id 0
		.amdhsa_user_sgpr_private_segment_size 0
		.amdhsa_wavefront_size32 1
		.amdhsa_uses_dynamic_stack 0
		.amdhsa_enable_private_segment 0
		.amdhsa_system_sgpr_workgroup_id_x 1
		.amdhsa_system_sgpr_workgroup_id_y 0
		.amdhsa_system_sgpr_workgroup_id_z 0
		.amdhsa_system_sgpr_workgroup_info 0
		.amdhsa_system_vgpr_workitem_id 0
		.amdhsa_next_free_vgpr 31
		.amdhsa_next_free_sgpr 29
		.amdhsa_reserve_vcc 1
		.amdhsa_float_round_mode_32 0
		.amdhsa_float_round_mode_16_64 0
		.amdhsa_float_denorm_mode_32 3
		.amdhsa_float_denorm_mode_16_64 3
		.amdhsa_fp16_overflow 0
		.amdhsa_workgroup_processor_mode 1
		.amdhsa_memory_ordered 1
		.amdhsa_forward_progress 1
		.amdhsa_inst_pref_size 12
		.amdhsa_round_robin_scheduling 0
		.amdhsa_exception_fp_ieee_invalid_op 0
		.amdhsa_exception_fp_denorm_src 0
		.amdhsa_exception_fp_ieee_div_zero 0
		.amdhsa_exception_fp_ieee_overflow 0
		.amdhsa_exception_fp_ieee_underflow 0
		.amdhsa_exception_fp_ieee_inexact 0
		.amdhsa_exception_int_div_zero 0
	.end_amdhsa_kernel
	.section	.text._ZN2at6native12_GLOBAL__N_125multi_tensor_apply_kernelINS1_18TensorListMetadataILi1EEENS1_21BinaryOpScalarFunctorIN3c107complexIdEELi1ELi1ELi0EEEJSt4plusIS8_ES8_EEEvT_T0_DpT1_,"axG",@progbits,_ZN2at6native12_GLOBAL__N_125multi_tensor_apply_kernelINS1_18TensorListMetadataILi1EEENS1_21BinaryOpScalarFunctorIN3c107complexIdEELi1ELi1ELi0EEEJSt4plusIS8_ES8_EEEvT_T0_DpT1_,comdat
.Lfunc_end7:
	.size	_ZN2at6native12_GLOBAL__N_125multi_tensor_apply_kernelINS1_18TensorListMetadataILi1EEENS1_21BinaryOpScalarFunctorIN3c107complexIdEELi1ELi1ELi0EEEJSt4plusIS8_ES8_EEEvT_T0_DpT1_, .Lfunc_end7-_ZN2at6native12_GLOBAL__N_125multi_tensor_apply_kernelINS1_18TensorListMetadataILi1EEENS1_21BinaryOpScalarFunctorIN3c107complexIdEELi1ELi1ELi0EEEJSt4plusIS8_ES8_EEEvT_T0_DpT1_
                                        ; -- End function
	.set _ZN2at6native12_GLOBAL__N_125multi_tensor_apply_kernelINS1_18TensorListMetadataILi1EEENS1_21BinaryOpScalarFunctorIN3c107complexIdEELi1ELi1ELi0EEEJSt4plusIS8_ES8_EEEvT_T0_DpT1_.num_vgpr, 31
	.set _ZN2at6native12_GLOBAL__N_125multi_tensor_apply_kernelINS1_18TensorListMetadataILi1EEENS1_21BinaryOpScalarFunctorIN3c107complexIdEELi1ELi1ELi0EEEJSt4plusIS8_ES8_EEEvT_T0_DpT1_.num_agpr, 0
	.set _ZN2at6native12_GLOBAL__N_125multi_tensor_apply_kernelINS1_18TensorListMetadataILi1EEENS1_21BinaryOpScalarFunctorIN3c107complexIdEELi1ELi1ELi0EEEJSt4plusIS8_ES8_EEEvT_T0_DpT1_.numbered_sgpr, 29
	.set _ZN2at6native12_GLOBAL__N_125multi_tensor_apply_kernelINS1_18TensorListMetadataILi1EEENS1_21BinaryOpScalarFunctorIN3c107complexIdEELi1ELi1ELi0EEEJSt4plusIS8_ES8_EEEvT_T0_DpT1_.num_named_barrier, 0
	.set _ZN2at6native12_GLOBAL__N_125multi_tensor_apply_kernelINS1_18TensorListMetadataILi1EEENS1_21BinaryOpScalarFunctorIN3c107complexIdEELi1ELi1ELi0EEEJSt4plusIS8_ES8_EEEvT_T0_DpT1_.private_seg_size, 0
	.set _ZN2at6native12_GLOBAL__N_125multi_tensor_apply_kernelINS1_18TensorListMetadataILi1EEENS1_21BinaryOpScalarFunctorIN3c107complexIdEELi1ELi1ELi0EEEJSt4plusIS8_ES8_EEEvT_T0_DpT1_.uses_vcc, 1
	.set _ZN2at6native12_GLOBAL__N_125multi_tensor_apply_kernelINS1_18TensorListMetadataILi1EEENS1_21BinaryOpScalarFunctorIN3c107complexIdEELi1ELi1ELi0EEEJSt4plusIS8_ES8_EEEvT_T0_DpT1_.uses_flat_scratch, 0
	.set _ZN2at6native12_GLOBAL__N_125multi_tensor_apply_kernelINS1_18TensorListMetadataILi1EEENS1_21BinaryOpScalarFunctorIN3c107complexIdEELi1ELi1ELi0EEEJSt4plusIS8_ES8_EEEvT_T0_DpT1_.has_dyn_sized_stack, 0
	.set _ZN2at6native12_GLOBAL__N_125multi_tensor_apply_kernelINS1_18TensorListMetadataILi1EEENS1_21BinaryOpScalarFunctorIN3c107complexIdEELi1ELi1ELi0EEEJSt4plusIS8_ES8_EEEvT_T0_DpT1_.has_recursion, 0
	.set _ZN2at6native12_GLOBAL__N_125multi_tensor_apply_kernelINS1_18TensorListMetadataILi1EEENS1_21BinaryOpScalarFunctorIN3c107complexIdEELi1ELi1ELi0EEEJSt4plusIS8_ES8_EEEvT_T0_DpT1_.has_indirect_call, 0
	.section	.AMDGPU.csdata,"",@progbits
; Kernel info:
; codeLenInByte = 1456
; TotalNumSgprs: 31
; NumVgprs: 31
; ScratchSize: 0
; MemoryBound: 1
; FloatMode: 240
; IeeeMode: 1
; LDSByteSize: 0 bytes/workgroup (compile time only)
; SGPRBlocks: 0
; VGPRBlocks: 3
; NumSGPRsForWavesPerEU: 31
; NumVGPRsForWavesPerEU: 31
; Occupancy: 16
; WaveLimiterHint : 0
; COMPUTE_PGM_RSRC2:SCRATCH_EN: 0
; COMPUTE_PGM_RSRC2:USER_SGPR: 2
; COMPUTE_PGM_RSRC2:TRAP_HANDLER: 0
; COMPUTE_PGM_RSRC2:TGID_X_EN: 1
; COMPUTE_PGM_RSRC2:TGID_Y_EN: 0
; COMPUTE_PGM_RSRC2:TGID_Z_EN: 0
; COMPUTE_PGM_RSRC2:TIDIG_COMP_CNT: 0
	.section	.text._ZN2at6native12_GLOBAL__N_125multi_tensor_apply_kernelINS1_18TensorListMetadataILi1EEENS1_21BinaryOpScalarFunctorIN3c107complexIfEELi1ELi1ELi0EEEJSt4plusIS8_ES8_EEEvT_T0_DpT1_,"axG",@progbits,_ZN2at6native12_GLOBAL__N_125multi_tensor_apply_kernelINS1_18TensorListMetadataILi1EEENS1_21BinaryOpScalarFunctorIN3c107complexIfEELi1ELi1ELi0EEEJSt4plusIS8_ES8_EEEvT_T0_DpT1_,comdat
	.globl	_ZN2at6native12_GLOBAL__N_125multi_tensor_apply_kernelINS1_18TensorListMetadataILi1EEENS1_21BinaryOpScalarFunctorIN3c107complexIfEELi1ELi1ELi0EEEJSt4plusIS8_ES8_EEEvT_T0_DpT1_ ; -- Begin function _ZN2at6native12_GLOBAL__N_125multi_tensor_apply_kernelINS1_18TensorListMetadataILi1EEENS1_21BinaryOpScalarFunctorIN3c107complexIfEELi1ELi1ELi0EEEJSt4plusIS8_ES8_EEEvT_T0_DpT1_
	.p2align	8
	.type	_ZN2at6native12_GLOBAL__N_125multi_tensor_apply_kernelINS1_18TensorListMetadataILi1EEENS1_21BinaryOpScalarFunctorIN3c107complexIfEELi1ELi1ELi0EEEJSt4plusIS8_ES8_EEEvT_T0_DpT1_,@function
_ZN2at6native12_GLOBAL__N_125multi_tensor_apply_kernelINS1_18TensorListMetadataILi1EEENS1_21BinaryOpScalarFunctorIN3c107complexIfEELi1ELi1ELi0EEEJSt4plusIS8_ES8_EEEvT_T0_DpT1_: ; @_ZN2at6native12_GLOBAL__N_125multi_tensor_apply_kernelINS1_18TensorListMetadataILi1EEENS1_21BinaryOpScalarFunctorIN3c107complexIfEELi1ELi1ELi0EEEJSt4plusIS8_ES8_EEEvT_T0_DpT1_
; %bb.0:
	s_load_u8 s8, s[0:1], ttmp9 offset:0x6e0
	s_mov_b32 s2, ttmp9
	s_mov_b32 s3, 0
	s_delay_alu instid0(SALU_CYCLE_1) | instskip(SKIP_1) | instid1(SALU_CYCLE_1)
	s_mul_u64 s[4:5], s[2:3], 3
	s_add_nc_u64 s[6:7], s[0:1], s[2:3]
	s_add_nc_u64 s[4:5], s[6:7], s[4:5]
	s_load_b32 s4, s[4:5], 0x820
	s_wait_kmcnt 0x0
	s_lshl_b32 s2, s8, 3
	s_clause 0x2
	s_load_b64 s[8:9], s[0:1], s2 offset:0x0
	s_load_b64 s[10:11], s[0:1], s2 offset:0x370
	s_load_b64 s[6:7], s[0:1], 0xd30
	s_ashr_i32 s5, s4, 31
	s_delay_alu instid0(SALU_CYCLE_1)
	s_lshl_b64 s[12:13], s[4:5], 19
	s_lshl_b64 s[4:5], s[4:5], 16
	s_wait_kmcnt 0x0
	s_add_nc_u64 s[8:9], s[8:9], s[12:13]
	s_and_b32 s12, s10, 3
	s_and_b32 s2, s8, 31
	s_mov_b32 s13, s3
	s_sub_nc_u64 s[10:11], s[10:11], s[4:5]
	s_or_b64 s[2:3], s[2:3], s[12:13]
	s_delay_alu instid0(SALU_CYCLE_1)
	s_cmp_eq_u64 s[2:3], 0
	s_cbranch_scc1 .LBB8_19
; %bb.1:
	v_cmp_lt_i64_e64 s2, s[10:11], 1
	s_and_b32 vcc_lo, exec_lo, s2
	s_cbranch_vccnz .LBB8_18
; %bb.2:
	s_load_b32 s2, s[0:1], 0xd44
	v_cmp_gt_i64_e64 s3, 0x10000, s[10:11]
	s_mov_b64 s[4:5], src_private_base
	v_mov_b32_e32 v1, 0
	v_cmp_gt_u64_e64 s4, 0x10000, s[10:11]
	s_mov_b32 s13, 0
	s_mov_b64 s[18:19], 0
	s_and_b32 s3, s3, exec_lo
	v_mov_b32_e32 v2, v1
	s_cselect_b32 s15, s11, 0
	s_cselect_b32 s14, s10, 0x10000
	s_wait_kmcnt 0x0
	s_and_b32 s20, s2, 0xffff
	s_and_b32 s2, s4, exec_lo
	s_cselect_b32 s17, s11, 0
	s_cselect_b32 s16, s10, 0x10000
	s_lshl_b32 s21, s20, 1
	s_mul_i32 s22, s20, 3
	s_lshl_b32 s12, s20, 2
	s_branch .LBB8_4
.LBB8_3:                                ;   in Loop: Header=BB8_4 Depth=1
	s_wait_alu 0xfffe
	s_or_b32 exec_lo, exec_lo, s2
	s_add_nc_u64 s[18:19], s[18:19], s[12:13]
	s_wait_alu 0xfffe
	v_cmp_lt_i64_e64 s2, s[18:19], s[14:15]
	s_and_b32 vcc_lo, exec_lo, s2
	s_wait_alu 0xfffe
	s_cbranch_vccz .LBB8_18
.LBB8_4:                                ; =>This Inner Loop Header: Depth=1
	v_add_co_u32 v13, s2, s18, v0
	s_wait_alu 0xf1ff
	v_add_co_ci_u32_e64 v14, null, s19, 0, s2
	v_dual_mov_b32 v6, 0 :: v_dual_mov_b32 v5, 0
	s_delay_alu instid0(VALU_DEP_2)
	v_cmp_gt_u64_e32 vcc_lo, s[16:17], v[13:14]
	v_lshlrev_b64_e32 v[3:4], 3, v[13:14]
	s_and_saveexec_b32 s3, vcc_lo
	s_cbranch_execz .LBB8_6
; %bb.5:                                ;   in Loop: Header=BB8_4 Depth=1
	s_delay_alu instid0(VALU_DEP_1) | instskip(SKIP_1) | instid1(VALU_DEP_2)
	v_add_co_u32 v5, s2, s8, v3
	s_wait_alu 0xf1ff
	v_add_co_ci_u32_e64 v6, null, s9, v4, s2
	global_load_b64 v[5:6], v[5:6], off
.LBB8_6:                                ;   in Loop: Header=BB8_4 Depth=1
	s_wait_alu 0xfffe
	s_or_b32 exec_lo, exec_lo, s3
	v_add_co_u32 v7, s2, v13, s20
	s_wait_alu 0xf1ff
	v_add_co_ci_u32_e64 v8, null, 0, v14, s2
	v_dual_mov_b32 v10, 0 :: v_dual_mov_b32 v9, 0
	s_delay_alu instid0(VALU_DEP_2)
	v_cmp_gt_u64_e64 s2, s[16:17], v[7:8]
	v_lshlrev_b64_e32 v[7:8], 3, v[7:8]
	s_and_saveexec_b32 s4, s2
	s_cbranch_execz .LBB8_8
; %bb.7:                                ;   in Loop: Header=BB8_4 Depth=1
	s_delay_alu instid0(VALU_DEP_1) | instskip(SKIP_1) | instid1(VALU_DEP_2)
	v_add_co_u32 v9, s3, s8, v7
	s_wait_alu 0xf1ff
	v_add_co_ci_u32_e64 v10, null, s9, v8, s3
	global_load_b64 v[9:10], v[9:10], off
.LBB8_8:                                ;   in Loop: Header=BB8_4 Depth=1
	s_wait_alu 0xfffe
	s_or_b32 exec_lo, exec_lo, s4
	v_add_co_u32 v11, s3, v13, s21
	s_wait_alu 0xf1ff
	v_add_co_ci_u32_e64 v12, null, 0, v14, s3
	v_mov_b32_e32 v15, 0
	v_mov_b32_e32 v16, 0
	s_delay_alu instid0(VALU_DEP_3)
	v_cmp_gt_u64_e64 s3, s[16:17], v[11:12]
	v_lshlrev_b64_e32 v[11:12], 3, v[11:12]
	s_and_saveexec_b32 s23, s3
	s_cbranch_execz .LBB8_10
; %bb.9:                                ;   in Loop: Header=BB8_4 Depth=1
	s_delay_alu instid0(VALU_DEP_1) | instskip(SKIP_1) | instid1(VALU_DEP_2)
	v_add_co_u32 v15, s4, s8, v11
	s_wait_alu 0xf1ff
	v_add_co_ci_u32_e64 v16, null, s9, v12, s4
	global_load_b64 v[15:16], v[15:16], off
.LBB8_10:                               ;   in Loop: Header=BB8_4 Depth=1
	s_wait_alu 0xfffe
	s_or_b32 exec_lo, exec_lo, s23
	v_add_co_u32 v17, s4, v13, s22
	s_wait_alu 0xf1ff
	v_add_co_ci_u32_e64 v18, null, 0, v14, s4
	scratch_store_b64 off, v[1:2], off
	v_lshlrev_b64_e32 v[13:14], 3, v[17:18]
	s_delay_alu instid0(VALU_DEP_1) | instskip(SKIP_1) | instid1(VALU_DEP_2)
	v_add_co_u32 v13, s4, s8, v13
	s_wait_alu 0xf1ff
	v_add_co_ci_u32_e64 v14, null, s9, v14, s4
	v_cmp_gt_u64_e64 s4, s[16:17], v[17:18]
	s_wait_alu 0xf1ff
	s_delay_alu instid0(VALU_DEP_1)
	v_cndmask_b32_e64 v18, s5, v14, s4
	v_cndmask_b32_e64 v17, 0, v13, s4
	flat_load_b64 v[17:18], v[17:18]
	s_wait_loadcnt_dscnt 0x0
	v_dual_add_f32 v17, s6, v17 :: v_dual_add_f32 v18, s7, v18
	scratch_store_b64 off, v[17:18], off
	s_and_saveexec_b32 s23, vcc_lo
	s_cbranch_execnz .LBB8_14
; %bb.11:                               ;   in Loop: Header=BB8_4 Depth=1
	s_wait_alu 0xfffe
	s_or_b32 exec_lo, exec_lo, s23
	s_and_saveexec_b32 s23, s2
	s_cbranch_execnz .LBB8_15
.LBB8_12:                               ;   in Loop: Header=BB8_4 Depth=1
	s_wait_alu 0xfffe
	s_or_b32 exec_lo, exec_lo, s23
	s_and_saveexec_b32 s2, s3
	s_cbranch_execnz .LBB8_16
.LBB8_13:                               ;   in Loop: Header=BB8_4 Depth=1
	s_wait_alu 0xfffe
	s_or_b32 exec_lo, exec_lo, s2
	s_and_saveexec_b32 s2, s4
	s_cbranch_execz .LBB8_3
	s_branch .LBB8_17
.LBB8_14:                               ;   in Loop: Header=BB8_4 Depth=1
	v_add_co_u32 v3, vcc_lo, s8, v3
	s_wait_alu 0xfffd
	v_add_co_ci_u32_e64 v4, null, s9, v4, vcc_lo
	v_dual_add_f32 v5, s6, v5 :: v_dual_add_f32 v6, s7, v6
	global_store_b64 v[3:4], v[5:6], off
	s_wait_alu 0xfffe
	s_or_b32 exec_lo, exec_lo, s23
	s_and_saveexec_b32 s23, s2
	s_cbranch_execz .LBB8_12
.LBB8_15:                               ;   in Loop: Header=BB8_4 Depth=1
	v_add_co_u32 v5, vcc_lo, s8, v7
	v_dual_add_f32 v3, s6, v9 :: v_dual_add_f32 v4, s7, v10
	s_wait_alu 0xfffd
	v_add_co_ci_u32_e64 v6, null, s9, v8, vcc_lo
	global_store_b64 v[5:6], v[3:4], off
	s_wait_alu 0xfffe
	s_or_b32 exec_lo, exec_lo, s23
	s_and_saveexec_b32 s2, s3
	s_cbranch_execz .LBB8_13
.LBB8_16:                               ;   in Loop: Header=BB8_4 Depth=1
	v_add_co_u32 v5, vcc_lo, s8, v11
	v_dual_add_f32 v3, s6, v15 :: v_dual_add_f32 v4, s7, v16
	s_wait_alu 0xfffd
	v_add_co_ci_u32_e64 v6, null, s9, v12, vcc_lo
	global_store_b64 v[5:6], v[3:4], off
	s_wait_alu 0xfffe
	s_or_b32 exec_lo, exec_lo, s2
	s_and_saveexec_b32 s2, s4
	s_cbranch_execz .LBB8_3
.LBB8_17:                               ;   in Loop: Header=BB8_4 Depth=1
	scratch_load_b64 v[3:4], off, off
	s_wait_loadcnt 0x0
	global_store_b64 v[13:14], v[3:4], off
	s_branch .LBB8_3
.LBB8_18:
	s_cbranch_execz .LBB8_20
	s_branch .LBB8_23
.LBB8_19:
.LBB8_20:
	v_cmp_gt_i64_e64 s2, 0x10000, s[10:11]
	v_dual_mov_b32 v2, 0 :: v_dual_lshlrev_b32 v1, 2, v0
	s_mov_b32 s4, 0
	s_mov_b32 s5, exec_lo
	s_and_b32 s2, s2, exec_lo
	s_cselect_b32 s3, s11, 0
	s_cselect_b32 s2, s10, 0x10000
	s_wait_alu 0xfffe
	v_cmpx_gt_i64_e64 s[2:3], v[1:2]
	s_cbranch_execz .LBB8_23
; %bb.21:
	s_load_b32 s0, s[0:1], 0xd44
	v_lshlrev_b32_e32 v3, 5, v0
	v_mov_b32_e32 v1, v2
	s_delay_alu instid0(VALU_DEP_2) | instskip(NEXT) | instid1(VALU_DEP_1)
	v_add_co_u32 v2, s1, s8, v3
	v_add_co_ci_u32_e64 v3, null, s9, 0, s1
	s_wait_kmcnt 0x0
	s_and_b32 s1, s0, 0xffff
	s_wait_alu 0xfffe
	s_lshl_b32 s5, s1, 5
.LBB8_22:                               ; =>This Inner Loop Header: Depth=1
	s_clause 0x1
	global_load_b128 v[4:7], v[2:3], off
	global_load_b128 v[8:11], v[2:3], off offset:16
	v_add_co_u32 v0, vcc_lo, v0, s1
	s_wait_alu 0xfffd
	v_add_co_ci_u32_e64 v1, null, 0, v1, vcc_lo
	s_delay_alu instid0(VALU_DEP_1) | instskip(NEXT) | instid1(VALU_DEP_1)
	v_lshlrev_b64_e32 v[12:13], 2, v[0:1]
	v_cmp_le_i64_e32 vcc_lo, s[2:3], v[12:13]
	s_or_b32 s4, vcc_lo, s4
	s_wait_loadcnt 0x1
	v_dual_add_f32 v4, s6, v4 :: v_dual_add_f32 v5, s7, v5
	v_dual_add_f32 v6, s6, v6 :: v_dual_add_f32 v7, s7, v7
	s_wait_loadcnt 0x0
	v_dual_add_f32 v8, s6, v8 :: v_dual_add_f32 v9, s7, v9
	v_dual_add_f32 v10, s6, v10 :: v_dual_add_f32 v11, s7, v11
	s_clause 0x1
	global_store_b128 v[2:3], v[4:7], off
	global_store_b128 v[2:3], v[8:11], off offset:16
	s_wait_alu 0xfffe
	v_add_co_u32 v2, s0, v2, s5
	s_wait_alu 0xf1ff
	v_add_co_ci_u32_e64 v3, null, 0, v3, s0
	scratch_store_b64 off, v[10:11], off
	s_and_not1_b32 exec_lo, exec_lo, s4
	s_cbranch_execnz .LBB8_22
.LBB8_23:
	s_endpgm
	.section	.rodata,"a",@progbits
	.p2align	6, 0x0
	.amdhsa_kernel _ZN2at6native12_GLOBAL__N_125multi_tensor_apply_kernelINS1_18TensorListMetadataILi1EEENS1_21BinaryOpScalarFunctorIN3c107complexIfEELi1ELi1ELi0EEEJSt4plusIS8_ES8_EEEvT_T0_DpT1_
		.amdhsa_group_segment_fixed_size 0
		.amdhsa_private_segment_fixed_size 16
		.amdhsa_kernarg_size 3640
		.amdhsa_user_sgpr_count 2
		.amdhsa_user_sgpr_dispatch_ptr 0
		.amdhsa_user_sgpr_queue_ptr 0
		.amdhsa_user_sgpr_kernarg_segment_ptr 1
		.amdhsa_user_sgpr_dispatch_id 0
		.amdhsa_user_sgpr_private_segment_size 0
		.amdhsa_wavefront_size32 1
		.amdhsa_uses_dynamic_stack 0
		.amdhsa_enable_private_segment 1
		.amdhsa_system_sgpr_workgroup_id_x 1
		.amdhsa_system_sgpr_workgroup_id_y 0
		.amdhsa_system_sgpr_workgroup_id_z 0
		.amdhsa_system_sgpr_workgroup_info 0
		.amdhsa_system_vgpr_workitem_id 0
		.amdhsa_next_free_vgpr 19
		.amdhsa_next_free_sgpr 24
		.amdhsa_reserve_vcc 1
		.amdhsa_float_round_mode_32 0
		.amdhsa_float_round_mode_16_64 0
		.amdhsa_float_denorm_mode_32 3
		.amdhsa_float_denorm_mode_16_64 3
		.amdhsa_fp16_overflow 0
		.amdhsa_workgroup_processor_mode 1
		.amdhsa_memory_ordered 1
		.amdhsa_forward_progress 1
		.amdhsa_inst_pref_size 10
		.amdhsa_round_robin_scheduling 0
		.amdhsa_exception_fp_ieee_invalid_op 0
		.amdhsa_exception_fp_denorm_src 0
		.amdhsa_exception_fp_ieee_div_zero 0
		.amdhsa_exception_fp_ieee_overflow 0
		.amdhsa_exception_fp_ieee_underflow 0
		.amdhsa_exception_fp_ieee_inexact 0
		.amdhsa_exception_int_div_zero 0
	.end_amdhsa_kernel
	.section	.text._ZN2at6native12_GLOBAL__N_125multi_tensor_apply_kernelINS1_18TensorListMetadataILi1EEENS1_21BinaryOpScalarFunctorIN3c107complexIfEELi1ELi1ELi0EEEJSt4plusIS8_ES8_EEEvT_T0_DpT1_,"axG",@progbits,_ZN2at6native12_GLOBAL__N_125multi_tensor_apply_kernelINS1_18TensorListMetadataILi1EEENS1_21BinaryOpScalarFunctorIN3c107complexIfEELi1ELi1ELi0EEEJSt4plusIS8_ES8_EEEvT_T0_DpT1_,comdat
.Lfunc_end8:
	.size	_ZN2at6native12_GLOBAL__N_125multi_tensor_apply_kernelINS1_18TensorListMetadataILi1EEENS1_21BinaryOpScalarFunctorIN3c107complexIfEELi1ELi1ELi0EEEJSt4plusIS8_ES8_EEEvT_T0_DpT1_, .Lfunc_end8-_ZN2at6native12_GLOBAL__N_125multi_tensor_apply_kernelINS1_18TensorListMetadataILi1EEENS1_21BinaryOpScalarFunctorIN3c107complexIfEELi1ELi1ELi0EEEJSt4plusIS8_ES8_EEEvT_T0_DpT1_
                                        ; -- End function
	.set _ZN2at6native12_GLOBAL__N_125multi_tensor_apply_kernelINS1_18TensorListMetadataILi1EEENS1_21BinaryOpScalarFunctorIN3c107complexIfEELi1ELi1ELi0EEEJSt4plusIS8_ES8_EEEvT_T0_DpT1_.num_vgpr, 19
	.set _ZN2at6native12_GLOBAL__N_125multi_tensor_apply_kernelINS1_18TensorListMetadataILi1EEENS1_21BinaryOpScalarFunctorIN3c107complexIfEELi1ELi1ELi0EEEJSt4plusIS8_ES8_EEEvT_T0_DpT1_.num_agpr, 0
	.set _ZN2at6native12_GLOBAL__N_125multi_tensor_apply_kernelINS1_18TensorListMetadataILi1EEENS1_21BinaryOpScalarFunctorIN3c107complexIfEELi1ELi1ELi0EEEJSt4plusIS8_ES8_EEEvT_T0_DpT1_.numbered_sgpr, 24
	.set _ZN2at6native12_GLOBAL__N_125multi_tensor_apply_kernelINS1_18TensorListMetadataILi1EEENS1_21BinaryOpScalarFunctorIN3c107complexIfEELi1ELi1ELi0EEEJSt4plusIS8_ES8_EEEvT_T0_DpT1_.num_named_barrier, 0
	.set _ZN2at6native12_GLOBAL__N_125multi_tensor_apply_kernelINS1_18TensorListMetadataILi1EEENS1_21BinaryOpScalarFunctorIN3c107complexIfEELi1ELi1ELi0EEEJSt4plusIS8_ES8_EEEvT_T0_DpT1_.private_seg_size, 16
	.set _ZN2at6native12_GLOBAL__N_125multi_tensor_apply_kernelINS1_18TensorListMetadataILi1EEENS1_21BinaryOpScalarFunctorIN3c107complexIfEELi1ELi1ELi0EEEJSt4plusIS8_ES8_EEEvT_T0_DpT1_.uses_vcc, 1
	.set _ZN2at6native12_GLOBAL__N_125multi_tensor_apply_kernelINS1_18TensorListMetadataILi1EEENS1_21BinaryOpScalarFunctorIN3c107complexIfEELi1ELi1ELi0EEEJSt4plusIS8_ES8_EEEvT_T0_DpT1_.uses_flat_scratch, 0
	.set _ZN2at6native12_GLOBAL__N_125multi_tensor_apply_kernelINS1_18TensorListMetadataILi1EEENS1_21BinaryOpScalarFunctorIN3c107complexIfEELi1ELi1ELi0EEEJSt4plusIS8_ES8_EEEvT_T0_DpT1_.has_dyn_sized_stack, 0
	.set _ZN2at6native12_GLOBAL__N_125multi_tensor_apply_kernelINS1_18TensorListMetadataILi1EEENS1_21BinaryOpScalarFunctorIN3c107complexIfEELi1ELi1ELi0EEEJSt4plusIS8_ES8_EEEvT_T0_DpT1_.has_recursion, 0
	.set _ZN2at6native12_GLOBAL__N_125multi_tensor_apply_kernelINS1_18TensorListMetadataILi1EEENS1_21BinaryOpScalarFunctorIN3c107complexIfEELi1ELi1ELi0EEEJSt4plusIS8_ES8_EEEvT_T0_DpT1_.has_indirect_call, 0
	.section	.AMDGPU.csdata,"",@progbits
; Kernel info:
; codeLenInByte = 1272
; TotalNumSgprs: 26
; NumVgprs: 19
; ScratchSize: 16
; MemoryBound: 0
; FloatMode: 240
; IeeeMode: 1
; LDSByteSize: 0 bytes/workgroup (compile time only)
; SGPRBlocks: 0
; VGPRBlocks: 2
; NumSGPRsForWavesPerEU: 26
; NumVGPRsForWavesPerEU: 19
; Occupancy: 16
; WaveLimiterHint : 0
; COMPUTE_PGM_RSRC2:SCRATCH_EN: 1
; COMPUTE_PGM_RSRC2:USER_SGPR: 2
; COMPUTE_PGM_RSRC2:TRAP_HANDLER: 0
; COMPUTE_PGM_RSRC2:TGID_X_EN: 1
; COMPUTE_PGM_RSRC2:TGID_Y_EN: 0
; COMPUTE_PGM_RSRC2:TGID_Z_EN: 0
; COMPUTE_PGM_RSRC2:TIDIG_COMP_CNT: 0
	.section	.text._ZN2at6native12_GLOBAL__N_125multi_tensor_apply_kernelINS1_18TensorListMetadataILi1EEENS1_21BinaryOpScalarFunctorIbLi1ELi1ELi0EEEJSt4plusIbEbEEEvT_T0_DpT1_,"axG",@progbits,_ZN2at6native12_GLOBAL__N_125multi_tensor_apply_kernelINS1_18TensorListMetadataILi1EEENS1_21BinaryOpScalarFunctorIbLi1ELi1ELi0EEEJSt4plusIbEbEEEvT_T0_DpT1_,comdat
	.globl	_ZN2at6native12_GLOBAL__N_125multi_tensor_apply_kernelINS1_18TensorListMetadataILi1EEENS1_21BinaryOpScalarFunctorIbLi1ELi1ELi0EEEJSt4plusIbEbEEEvT_T0_DpT1_ ; -- Begin function _ZN2at6native12_GLOBAL__N_125multi_tensor_apply_kernelINS1_18TensorListMetadataILi1EEENS1_21BinaryOpScalarFunctorIbLi1ELi1ELi0EEEJSt4plusIbEbEEEvT_T0_DpT1_
	.p2align	8
	.type	_ZN2at6native12_GLOBAL__N_125multi_tensor_apply_kernelINS1_18TensorListMetadataILi1EEENS1_21BinaryOpScalarFunctorIbLi1ELi1ELi0EEEJSt4plusIbEbEEEvT_T0_DpT1_,@function
_ZN2at6native12_GLOBAL__N_125multi_tensor_apply_kernelINS1_18TensorListMetadataILi1EEENS1_21BinaryOpScalarFunctorIbLi1ELi1ELi0EEEJSt4plusIbEbEEEvT_T0_DpT1_: ; @_ZN2at6native12_GLOBAL__N_125multi_tensor_apply_kernelINS1_18TensorListMetadataILi1EEENS1_21BinaryOpScalarFunctorIbLi1ELi1ELi0EEEJSt4plusIbEbEEEvT_T0_DpT1_
; %bb.0:
	s_load_u8 s6, s[0:1], ttmp9 offset:0x6e0
	s_mov_b32 s2, ttmp9
	s_mov_b32 s3, 0
	s_delay_alu instid0(SALU_CYCLE_1) | instskip(SKIP_1) | instid1(SALU_CYCLE_1)
	s_mul_u64 s[4:5], s[2:3], 3
	s_add_nc_u64 s[2:3], s[0:1], s[2:3]
	s_add_nc_u64 s[2:3], s[2:3], s[4:5]
	s_load_b32 s2, s[2:3], 0x820
	s_wait_kmcnt 0x0
	s_lshl_b32 s3, s6, 3
	s_clause 0x2
	s_load_b64 s[4:5], s[0:1], s3 offset:0x370
	s_load_b64 s[6:7], s[0:1], s3 offset:0x0
	s_load_b32 s10, s[0:1], 0xd28
	s_ashr_i32 s3, s2, 31
	s_delay_alu instid0(SALU_CYCLE_1)
	s_lshl_b64 s[8:9], s[2:3], 16
	s_wait_kmcnt 0x0
	s_or_b32 s11, s4, s6
	s_bfe_u32 s20, s10, 0x10010
	s_and_b32 s2, s11, 3
	s_sub_nc_u64 s[10:11], s[4:5], s[8:9]
	s_cmp_eq_u32 s2, 0
	s_cbranch_scc1 .LBB9_21
; %bb.1:
	v_cmp_lt_i64_e64 s2, s[10:11], 1
	s_and_b32 vcc_lo, exec_lo, s2
	s_cbranch_vccnz .LBB9_20
; %bb.2:
	s_load_b32 s2, s[0:1], 0xd3c
	v_cmp_gt_i64_e64 s4, 0x10000, s[10:11]
	s_mov_b32 s17, 0
	v_cmp_gt_u64_e64 s14, 0x10000, s[10:11]
	s_mov_b32 s5, s17
	v_add_co_u32 v11, s3, s8, v0
	s_and_b32 s4, s4, exec_lo
	s_cselect_b32 s13, s11, 0
	s_cselect_b32 s12, s10, 0x10000
	v_add_co_ci_u32_e64 v12, null, s9, 0, s3
	s_mov_b32 s3, s17
	v_add_co_u32 v1, vcc_lo, s6, v11
	s_delay_alu instid0(VALU_DEP_1)
	v_add_co_ci_u32_e64 v2, null, s7, v12, vcc_lo
	s_wait_kmcnt 0x0
	s_and_b32 s16, s2, 0xffff
	s_and_b32 s2, s14, exec_lo
	s_mul_i32 s4, s16, 3
	s_cselect_b32 s15, s11, 0
	s_add_nc_u64 s[18:19], s[8:9], s[4:5]
	s_cselect_b32 s14, s10, 0x10000
	s_add_nc_u64 s[18:19], s[6:7], s[18:19]
	s_lshl_b32 s2, s16, 1
	v_add_co_u32 v3, s5, s18, v0
	s_delay_alu instid0(VALU_DEP_1)
	v_add_co_ci_u32_e64 v4, null, s19, 0, s5
	s_wait_alu 0xfffe
	s_add_nc_u64 s[18:19], s[8:9], s[2:3]
	v_add_co_u32 v5, s3, s4, v0
	s_wait_alu 0xfffe
	s_add_nc_u64 s[4:5], s[6:7], s[18:19]
	v_add_co_ci_u32_e64 v6, null, 0, 0, s3
	s_wait_alu 0xfffe
	v_add_co_u32 v7, s3, s4, v0
	v_add_co_u32 v9, s2, s2, v0
	s_wait_alu 0xf1ff
	v_add_co_ci_u32_e64 v8, null, s5, 0, s3
	v_add_co_ci_u32_e64 v10, null, 0, 0, s2
	s_add_nc_u64 s[2:3], s[6:7], s[16:17]
	s_mov_b64 s[18:19], 0
	s_wait_alu 0xfffe
	v_add_co_u32 v11, vcc_lo, s2, v11
	v_add_co_u32 v13, s2, v0, s16
	s_wait_alu 0xfffd
	v_add_co_ci_u32_e64 v12, null, s3, v12, vcc_lo
	s_wait_alu 0xf1ff
	v_add_co_ci_u32_e64 v14, null, 0, 0, s2
	s_lshl_b32 s16, s16, 2
	s_branch .LBB9_4
.LBB9_3:                                ;   in Loop: Header=BB9_4 Depth=1
	s_wait_alu 0xfffe
	s_or_b32 exec_lo, exec_lo, s2
	s_add_nc_u64 s[18:19], s[18:19], s[16:17]
	s_wait_alu 0xfffe
	v_cmp_lt_i64_e64 s2, s[18:19], s[12:13]
	s_and_b32 vcc_lo, exec_lo, s2
	s_wait_alu 0xfffe
	s_cbranch_vccz .LBB9_20
.LBB9_4:                                ; =>This Inner Loop Header: Depth=1
	s_wait_loadcnt 0x0
	v_add_co_u32 v15, s2, v0, s18
	s_wait_alu 0xf1ff
	v_add_co_ci_u32_e64 v16, null, 0, s19, s2
	s_delay_alu instid0(VALU_DEP_1)
	v_cmp_gt_u64_e32 vcc_lo, s[14:15], v[15:16]
	v_mov_b32_e32 v16, 0
	s_and_saveexec_b32 s3, vcc_lo
	s_cbranch_execz .LBB9_6
; %bb.5:                                ;   in Loop: Header=BB9_4 Depth=1
	v_add_co_u32 v15, s2, v1, s18
	s_wait_alu 0xf1ff
	v_add_co_ci_u32_e64 v16, null, s19, v2, s2
	global_load_u8 v16, v[15:16], off
.LBB9_6:                                ;   in Loop: Header=BB9_4 Depth=1
	s_wait_alu 0xfffe
	s_or_b32 exec_lo, exec_lo, s3
	v_add_co_u32 v17, s2, v13, s18
	s_wait_alu 0xf1ff
	v_add_co_ci_u32_e64 v18, null, s19, v14, s2
	v_mov_b32_e32 v15, 0
	s_delay_alu instid0(VALU_DEP_2)
	v_cmp_gt_u64_e64 s2, s[14:15], v[17:18]
	v_mov_b32_e32 v17, 0
	s_and_saveexec_b32 s4, s2
	s_cbranch_execz .LBB9_8
; %bb.7:                                ;   in Loop: Header=BB9_4 Depth=1
	v_add_co_u32 v17, s3, v11, s18
	s_wait_alu 0xf1ff
	v_add_co_ci_u32_e64 v18, null, s19, v12, s3
	global_load_u8 v17, v[17:18], off
.LBB9_8:                                ;   in Loop: Header=BB9_4 Depth=1
	s_wait_alu 0xfffe
	s_or_b32 exec_lo, exec_lo, s4
	v_add_co_u32 v18, s3, v9, s18
	s_wait_alu 0xf1ff
	v_add_co_ci_u32_e64 v19, null, s19, v10, s3
	s_delay_alu instid0(VALU_DEP_1)
	v_cmp_gt_u64_e64 s3, s[14:15], v[18:19]
	s_and_saveexec_b32 s5, s3
	s_cbranch_execz .LBB9_10
; %bb.9:                                ;   in Loop: Header=BB9_4 Depth=1
	v_add_co_u32 v18, s4, v7, s18
	s_wait_alu 0xf1ff
	v_add_co_ci_u32_e64 v19, null, s19, v8, s4
	global_load_u8 v15, v[18:19], off
.LBB9_10:                               ;   in Loop: Header=BB9_4 Depth=1
	s_wait_alu 0xfffe
	s_or_b32 exec_lo, exec_lo, s5
	v_add_co_u32 v18, s4, v5, s18
	s_wait_alu 0xf1ff
	v_add_co_ci_u32_e64 v19, null, s19, v6, s4
	s_delay_alu instid0(VALU_DEP_1)
	v_cmp_gt_u64_e64 s4, s[14:15], v[18:19]
	v_mov_b32_e32 v18, 0
	s_and_saveexec_b32 s21, s4
	s_cbranch_execnz .LBB9_15
; %bb.11:                               ;   in Loop: Header=BB9_4 Depth=1
	s_wait_alu 0xfffe
	s_or_b32 exec_lo, exec_lo, s21
	s_and_saveexec_b32 s5, vcc_lo
	s_cbranch_execnz .LBB9_16
.LBB9_12:                               ;   in Loop: Header=BB9_4 Depth=1
	s_wait_alu 0xfffe
	s_or_b32 exec_lo, exec_lo, s5
	s_and_saveexec_b32 s5, s2
	s_cbranch_execnz .LBB9_17
.LBB9_13:                               ;   in Loop: Header=BB9_4 Depth=1
	s_wait_alu 0xfffe
	s_or_b32 exec_lo, exec_lo, s5
	s_and_saveexec_b32 s2, s3
	s_cbranch_execnz .LBB9_18
.LBB9_14:                               ;   in Loop: Header=BB9_4 Depth=1
	s_wait_alu 0xfffe
	s_or_b32 exec_lo, exec_lo, s2
	s_and_saveexec_b32 s2, s4
	s_cbranch_execz .LBB9_3
	s_branch .LBB9_19
.LBB9_15:                               ;   in Loop: Header=BB9_4 Depth=1
	v_add_co_u32 v18, s5, v3, s18
	s_wait_alu 0xf1ff
	v_add_co_ci_u32_e64 v19, null, s19, v4, s5
	global_load_u8 v18, v[18:19], off
	s_wait_alu 0xfffe
	s_or_b32 exec_lo, exec_lo, s21
	s_and_saveexec_b32 s5, vcc_lo
	s_cbranch_execz .LBB9_12
.LBB9_16:                               ;   in Loop: Header=BB9_4 Depth=1
	v_add_co_u32 v19, vcc_lo, v1, s18
	s_wait_loadcnt 0x0
	v_or_b32_e32 v16, s20, v16
	s_wait_alu 0xfffd
	v_add_co_ci_u32_e64 v20, null, s19, v2, vcc_lo
	global_store_b8 v[19:20], v16, off
	s_wait_alu 0xfffe
	s_or_b32 exec_lo, exec_lo, s5
	s_and_saveexec_b32 s5, s2
	s_cbranch_execz .LBB9_13
.LBB9_17:                               ;   in Loop: Header=BB9_4 Depth=1
	s_wait_loadcnt 0x0
	v_add_co_u32 v16, vcc_lo, v11, s18
	v_or_b32_e32 v19, s20, v17
	s_wait_alu 0xfffd
	v_add_co_ci_u32_e64 v17, null, s19, v12, vcc_lo
	global_store_b8 v[16:17], v19, off
	s_wait_alu 0xfffe
	s_or_b32 exec_lo, exec_lo, s5
	s_and_saveexec_b32 s2, s3
	s_cbranch_execz .LBB9_14
.LBB9_18:                               ;   in Loop: Header=BB9_4 Depth=1
	s_wait_loadcnt 0x0
	v_or_b32_e32 v17, s20, v15
	v_add_co_u32 v15, vcc_lo, v7, s18
	s_wait_alu 0xfffd
	v_add_co_ci_u32_e64 v16, null, s19, v8, vcc_lo
	global_store_b8 v[15:16], v17, off
	s_wait_alu 0xfffe
	s_or_b32 exec_lo, exec_lo, s2
	s_and_saveexec_b32 s2, s4
	s_cbranch_execz .LBB9_3
.LBB9_19:                               ;   in Loop: Header=BB9_4 Depth=1
	s_wait_loadcnt 0x0
	v_add_co_u32 v15, vcc_lo, v3, s18
	v_or_b32_e32 v17, s20, v18
	s_wait_alu 0xfffd
	v_add_co_ci_u32_e64 v16, null, s19, v4, vcc_lo
	global_store_b8 v[15:16], v17, off
	s_branch .LBB9_3
.LBB9_20:
	s_cbranch_execz .LBB9_22
	s_branch .LBB9_25
.LBB9_21:
.LBB9_22:
	v_cmp_gt_i64_e64 s2, 0x10000, s[10:11]
	v_dual_mov_b32 v3, 0 :: v_dual_lshlrev_b32 v2, 2, v0
	s_mov_b32 s4, 0
	s_mov_b32 s5, exec_lo
	s_and_b32 s2, s2, exec_lo
	s_cselect_b32 s3, s11, 0
	s_cselect_b32 s2, s10, 0x10000
	s_wait_alu 0xfffe
	v_cmpx_gt_i64_e64 s[2:3], v[2:3]
	s_cbranch_execz .LBB9_25
; %bb.23:
	s_load_b32 s5, s[0:1], 0xd3c
	s_add_nc_u64 s[0:1], s[6:7], s[8:9]
	v_mov_b32_e32 v1, v3
	v_add_co_u32 v2, s0, s0, v2
	s_wait_alu 0xf1ff
	v_add_co_ci_u32_e64 v3, null, s1, 0, s0
	s_wait_kmcnt 0x0
	s_and_b32 s1, s5, 0xffff
	s_wait_alu 0xfffe
	s_lshl_b32 s5, s1, 2
.LBB9_24:                               ; =>This Inner Loop Header: Depth=1
	global_load_b32 v4, v[2:3], off
	v_add_co_u32 v0, vcc_lo, v0, s1
	s_wait_alu 0xfffd
	v_add_co_ci_u32_e64 v1, null, 0, v1, vcc_lo
	s_wait_loadcnt 0x0
	v_lshrrev_b32_e32 v5, 8, v4
	v_lshrrev_b32_e32 v6, 24, v4
	;; [unrolled: 1-line block ×3, first 2 shown]
	v_or_b32_e32 v4, s20, v4
	s_delay_alu instid0(VALU_DEP_4) | instskip(NEXT) | instid1(VALU_DEP_4)
	v_or_b32_e32 v5, s20, v5
	v_or_b32_e32 v6, s20, v6
	s_delay_alu instid0(VALU_DEP_4) | instskip(NEXT) | instid1(VALU_DEP_4)
	v_or_b32_e32 v7, s20, v7
	v_and_b32_e32 v4, 0xff, v4
	s_delay_alu instid0(VALU_DEP_4) | instskip(NEXT) | instid1(VALU_DEP_4)
	v_lshlrev_b16 v5, 8, v5
	v_lshlrev_b16 v6, 8, v6
	s_delay_alu instid0(VALU_DEP_4) | instskip(NEXT) | instid1(VALU_DEP_3)
	v_and_b32_e32 v7, 0xff, v7
	v_or_b32_e32 v4, v4, v5
	s_delay_alu instid0(VALU_DEP_2) | instskip(NEXT) | instid1(VALU_DEP_2)
	v_or_b32_e32 v5, v7, v6
	v_and_b32_e32 v6, 0xffff, v4
	s_delay_alu instid0(VALU_DEP_2) | instskip(SKIP_1) | instid1(VALU_DEP_2)
	v_lshlrev_b32_e32 v7, 16, v5
	v_lshlrev_b64_e32 v[4:5], 2, v[0:1]
	v_or_b32_e32 v6, v6, v7
	s_delay_alu instid0(VALU_DEP_2)
	v_cmp_le_i64_e32 vcc_lo, s[2:3], v[4:5]
	global_store_b32 v[2:3], v6, off
	s_wait_alu 0xfffe
	v_add_co_u32 v2, s0, v2, s5
	s_wait_alu 0xf1ff
	v_add_co_ci_u32_e64 v3, null, 0, v3, s0
	s_or_b32 s4, vcc_lo, s4
	s_wait_alu 0xfffe
	s_and_not1_b32 exec_lo, exec_lo, s4
	s_cbranch_execnz .LBB9_24
.LBB9_25:
	s_endpgm
	.section	.rodata,"a",@progbits
	.p2align	6, 0x0
	.amdhsa_kernel _ZN2at6native12_GLOBAL__N_125multi_tensor_apply_kernelINS1_18TensorListMetadataILi1EEENS1_21BinaryOpScalarFunctorIbLi1ELi1ELi0EEEJSt4plusIbEbEEEvT_T0_DpT1_
		.amdhsa_group_segment_fixed_size 0
		.amdhsa_private_segment_fixed_size 0
		.amdhsa_kernarg_size 3632
		.amdhsa_user_sgpr_count 2
		.amdhsa_user_sgpr_dispatch_ptr 0
		.amdhsa_user_sgpr_queue_ptr 0
		.amdhsa_user_sgpr_kernarg_segment_ptr 1
		.amdhsa_user_sgpr_dispatch_id 0
		.amdhsa_user_sgpr_private_segment_size 0
		.amdhsa_wavefront_size32 1
		.amdhsa_uses_dynamic_stack 0
		.amdhsa_enable_private_segment 0
		.amdhsa_system_sgpr_workgroup_id_x 1
		.amdhsa_system_sgpr_workgroup_id_y 0
		.amdhsa_system_sgpr_workgroup_id_z 0
		.amdhsa_system_sgpr_workgroup_info 0
		.amdhsa_system_vgpr_workitem_id 0
		.amdhsa_next_free_vgpr 21
		.amdhsa_next_free_sgpr 22
		.amdhsa_reserve_vcc 1
		.amdhsa_float_round_mode_32 0
		.amdhsa_float_round_mode_16_64 0
		.amdhsa_float_denorm_mode_32 3
		.amdhsa_float_denorm_mode_16_64 3
		.amdhsa_fp16_overflow 0
		.amdhsa_workgroup_processor_mode 1
		.amdhsa_memory_ordered 1
		.amdhsa_forward_progress 1
		.amdhsa_inst_pref_size 12
		.amdhsa_round_robin_scheduling 0
		.amdhsa_exception_fp_ieee_invalid_op 0
		.amdhsa_exception_fp_denorm_src 0
		.amdhsa_exception_fp_ieee_div_zero 0
		.amdhsa_exception_fp_ieee_overflow 0
		.amdhsa_exception_fp_ieee_underflow 0
		.amdhsa_exception_fp_ieee_inexact 0
		.amdhsa_exception_int_div_zero 0
	.end_amdhsa_kernel
	.section	.text._ZN2at6native12_GLOBAL__N_125multi_tensor_apply_kernelINS1_18TensorListMetadataILi1EEENS1_21BinaryOpScalarFunctorIbLi1ELi1ELi0EEEJSt4plusIbEbEEEvT_T0_DpT1_,"axG",@progbits,_ZN2at6native12_GLOBAL__N_125multi_tensor_apply_kernelINS1_18TensorListMetadataILi1EEENS1_21BinaryOpScalarFunctorIbLi1ELi1ELi0EEEJSt4plusIbEbEEEvT_T0_DpT1_,comdat
.Lfunc_end9:
	.size	_ZN2at6native12_GLOBAL__N_125multi_tensor_apply_kernelINS1_18TensorListMetadataILi1EEENS1_21BinaryOpScalarFunctorIbLi1ELi1ELi0EEEJSt4plusIbEbEEEvT_T0_DpT1_, .Lfunc_end9-_ZN2at6native12_GLOBAL__N_125multi_tensor_apply_kernelINS1_18TensorListMetadataILi1EEENS1_21BinaryOpScalarFunctorIbLi1ELi1ELi0EEEJSt4plusIbEbEEEvT_T0_DpT1_
                                        ; -- End function
	.set _ZN2at6native12_GLOBAL__N_125multi_tensor_apply_kernelINS1_18TensorListMetadataILi1EEENS1_21BinaryOpScalarFunctorIbLi1ELi1ELi0EEEJSt4plusIbEbEEEvT_T0_DpT1_.num_vgpr, 21
	.set _ZN2at6native12_GLOBAL__N_125multi_tensor_apply_kernelINS1_18TensorListMetadataILi1EEENS1_21BinaryOpScalarFunctorIbLi1ELi1ELi0EEEJSt4plusIbEbEEEvT_T0_DpT1_.num_agpr, 0
	.set _ZN2at6native12_GLOBAL__N_125multi_tensor_apply_kernelINS1_18TensorListMetadataILi1EEENS1_21BinaryOpScalarFunctorIbLi1ELi1ELi0EEEJSt4plusIbEbEEEvT_T0_DpT1_.numbered_sgpr, 22
	.set _ZN2at6native12_GLOBAL__N_125multi_tensor_apply_kernelINS1_18TensorListMetadataILi1EEENS1_21BinaryOpScalarFunctorIbLi1ELi1ELi0EEEJSt4plusIbEbEEEvT_T0_DpT1_.num_named_barrier, 0
	.set _ZN2at6native12_GLOBAL__N_125multi_tensor_apply_kernelINS1_18TensorListMetadataILi1EEENS1_21BinaryOpScalarFunctorIbLi1ELi1ELi0EEEJSt4plusIbEbEEEvT_T0_DpT1_.private_seg_size, 0
	.set _ZN2at6native12_GLOBAL__N_125multi_tensor_apply_kernelINS1_18TensorListMetadataILi1EEENS1_21BinaryOpScalarFunctorIbLi1ELi1ELi0EEEJSt4plusIbEbEEEvT_T0_DpT1_.uses_vcc, 1
	.set _ZN2at6native12_GLOBAL__N_125multi_tensor_apply_kernelINS1_18TensorListMetadataILi1EEENS1_21BinaryOpScalarFunctorIbLi1ELi1ELi0EEEJSt4plusIbEbEEEvT_T0_DpT1_.uses_flat_scratch, 0
	.set _ZN2at6native12_GLOBAL__N_125multi_tensor_apply_kernelINS1_18TensorListMetadataILi1EEENS1_21BinaryOpScalarFunctorIbLi1ELi1ELi0EEEJSt4plusIbEbEEEvT_T0_DpT1_.has_dyn_sized_stack, 0
	.set _ZN2at6native12_GLOBAL__N_125multi_tensor_apply_kernelINS1_18TensorListMetadataILi1EEENS1_21BinaryOpScalarFunctorIbLi1ELi1ELi0EEEJSt4plusIbEbEEEvT_T0_DpT1_.has_recursion, 0
	.set _ZN2at6native12_GLOBAL__N_125multi_tensor_apply_kernelINS1_18TensorListMetadataILi1EEENS1_21BinaryOpScalarFunctorIbLi1ELi1ELi0EEEJSt4plusIbEbEEEvT_T0_DpT1_.has_indirect_call, 0
	.section	.AMDGPU.csdata,"",@progbits
; Kernel info:
; codeLenInByte = 1424
; TotalNumSgprs: 24
; NumVgprs: 21
; ScratchSize: 0
; MemoryBound: 0
; FloatMode: 240
; IeeeMode: 1
; LDSByteSize: 0 bytes/workgroup (compile time only)
; SGPRBlocks: 0
; VGPRBlocks: 2
; NumSGPRsForWavesPerEU: 24
; NumVGPRsForWavesPerEU: 21
; Occupancy: 16
; WaveLimiterHint : 0
; COMPUTE_PGM_RSRC2:SCRATCH_EN: 0
; COMPUTE_PGM_RSRC2:USER_SGPR: 2
; COMPUTE_PGM_RSRC2:TRAP_HANDLER: 0
; COMPUTE_PGM_RSRC2:TGID_X_EN: 1
; COMPUTE_PGM_RSRC2:TGID_Y_EN: 0
; COMPUTE_PGM_RSRC2:TGID_Z_EN: 0
; COMPUTE_PGM_RSRC2:TIDIG_COMP_CNT: 0
	.section	.text._ZN2at6native12_GLOBAL__N_125multi_tensor_apply_kernelINS1_18TensorListMetadataILi1EEENS1_21BinaryOpScalarFunctorIN3c104HalfELi1ELi1ELi0EEEJSt4plusIfEfEEEvT_T0_DpT1_,"axG",@progbits,_ZN2at6native12_GLOBAL__N_125multi_tensor_apply_kernelINS1_18TensorListMetadataILi1EEENS1_21BinaryOpScalarFunctorIN3c104HalfELi1ELi1ELi0EEEJSt4plusIfEfEEEvT_T0_DpT1_,comdat
	.globl	_ZN2at6native12_GLOBAL__N_125multi_tensor_apply_kernelINS1_18TensorListMetadataILi1EEENS1_21BinaryOpScalarFunctorIN3c104HalfELi1ELi1ELi0EEEJSt4plusIfEfEEEvT_T0_DpT1_ ; -- Begin function _ZN2at6native12_GLOBAL__N_125multi_tensor_apply_kernelINS1_18TensorListMetadataILi1EEENS1_21BinaryOpScalarFunctorIN3c104HalfELi1ELi1ELi0EEEJSt4plusIfEfEEEvT_T0_DpT1_
	.p2align	8
	.type	_ZN2at6native12_GLOBAL__N_125multi_tensor_apply_kernelINS1_18TensorListMetadataILi1EEENS1_21BinaryOpScalarFunctorIN3c104HalfELi1ELi1ELi0EEEJSt4plusIfEfEEEvT_T0_DpT1_,@function
_ZN2at6native12_GLOBAL__N_125multi_tensor_apply_kernelINS1_18TensorListMetadataILi1EEENS1_21BinaryOpScalarFunctorIN3c104HalfELi1ELi1ELi0EEEJSt4plusIfEfEEEvT_T0_DpT1_: ; @_ZN2at6native12_GLOBAL__N_125multi_tensor_apply_kernelINS1_18TensorListMetadataILi1EEENS1_21BinaryOpScalarFunctorIN3c104HalfELi1ELi1ELi0EEEJSt4plusIfEfEEEvT_T0_DpT1_
; %bb.0:
	s_load_u8 s8, s[0:1], ttmp9 offset:0x6e0
	s_mov_b32 s2, ttmp9
	s_mov_b32 s3, 0
	s_delay_alu instid0(SALU_CYCLE_1)
	s_mul_u64 s[4:5], s[2:3], 3
	s_add_nc_u64 s[6:7], s[0:1], s[2:3]
	s_mov_b32 s13, s3
	s_add_nc_u64 s[4:5], s[6:7], s[4:5]
	s_load_b32 s4, s[4:5], 0x820
	s_wait_kmcnt 0x0
	s_lshl_b32 s2, s8, 3
	s_clause 0x2
	s_load_b64 s[6:7], s[0:1], s2 offset:0x0
	s_load_b64 s[10:11], s[0:1], s2 offset:0x370
	s_load_b32 s22, s[0:1], 0xd2c
	s_ashr_i32 s5, s4, 31
	s_delay_alu instid0(SALU_CYCLE_1)
	s_lshl_b64 s[8:9], s[4:5], 17
	s_lshl_b64 s[4:5], s[4:5], 16
	s_wait_kmcnt 0x0
	s_and_b32 s2, s6, 7
	s_and_b32 s12, s10, 3
	s_sub_nc_u64 s[10:11], s[10:11], s[4:5]
	s_or_b64 s[2:3], s[2:3], s[12:13]
	s_delay_alu instid0(SALU_CYCLE_1)
	s_cmp_eq_u64 s[2:3], 0
	s_cbranch_scc1 .LBB10_21
; %bb.1:
	v_cmp_lt_i64_e64 s2, s[10:11], 1
	s_and_b32 vcc_lo, exec_lo, s2
	s_cbranch_vccnz .LBB10_20
; %bb.2:
	s_load_b32 s2, s[0:1], 0xd3c
	v_cmp_gt_i64_e64 s12, 0x10000, s[10:11]
	v_lshlrev_b32_e32 v1, 1, v0
	s_add_nc_u64 s[4:5], s[6:7], s[8:9]
	v_cmp_gt_u64_e64 s14, 0x10000, s[10:11]
	s_mov_b32 s3, 0
	v_add_co_u32 v1, s13, s4, v1
	s_and_b32 s12, s12, exec_lo
	v_add_co_ci_u32_e64 v2, null, s5, 0, s13
	s_cselect_b32 s13, s11, 0
	s_cselect_b32 s12, s10, 0x10000
	s_wait_kmcnt 0x0
	s_and_b32 s2, s2, 0xffff
	s_and_b32 s14, s14, exec_lo
	v_add_co_u32 v5, s21, v0, s2
	s_cselect_b32 s15, s11, 0
	s_cselect_b32 s14, s10, 0x10000
	s_lshl_b32 s17, s2, 1
	v_lshlrev_b32_e32 v3, 1, v5
	s_mul_i32 s20, s2, 3
	v_add_co_u32 v9, s17, s17, v0
	v_add_co_u32 v6, s20, s20, v0
	s_delay_alu instid0(VALU_DEP_3)
	v_add_co_u32 v3, s4, s4, v3
	s_wait_alu 0xf1ff
	v_add_co_ci_u32_e64 v7, null, 0, 0, s20
	v_add_co_ci_u32_e64 v8, null, 0, 0, s21
	;; [unrolled: 1-line block ×4, first 2 shown]
	s_lshl_b32 s16, s2, 2
	s_mul_u64 s[18:19], s[2:3], 6
	s_mov_b32 s17, s3
	s_lshl_b32 s23, s2, 3
	s_mov_b64 s[20:21], 0
	s_branch .LBB10_4
.LBB10_3:                               ;   in Loop: Header=BB10_4 Depth=1
	s_wait_alu 0xfffe
	s_or_b32 exec_lo, exec_lo, s2
	s_add_nc_u64 s[20:21], s[20:21], s[16:17]
	v_add_co_u32 v1, vcc_lo, v1, s23
	s_wait_alu 0xfffe
	v_cmp_lt_i64_e64 s2, s[20:21], s[12:13]
	s_wait_alu 0xfffd
	v_add_co_ci_u32_e64 v2, null, 0, v2, vcc_lo
	v_add_co_u32 v3, vcc_lo, v3, s23
	s_wait_alu 0xfffd
	v_add_co_ci_u32_e64 v4, null, 0, v4, vcc_lo
	s_and_b32 vcc_lo, exec_lo, s2
	s_wait_alu 0xfffe
	s_cbranch_vccz .LBB10_20
.LBB10_4:                               ; =>This Inner Loop Header: Depth=1
	s_wait_alu 0xfffe
	v_add_co_u32 v11, s2, v0, s20
	s_wait_alu 0xf1ff
	v_add_co_ci_u32_e64 v12, null, 0, s21, s2
	s_delay_alu instid0(VALU_DEP_1)
	v_cmp_gt_u64_e32 vcc_lo, s[14:15], v[11:12]
	v_mov_b32_e32 v11, 0
	s_and_saveexec_b32 s2, vcc_lo
	s_cbranch_execz .LBB10_6
; %bb.5:                                ;   in Loop: Header=BB10_4 Depth=1
	global_load_u16 v11, v[1:2], off
	s_wait_loadcnt 0x0
	v_cvt_f32_f16_e32 v11, v11
.LBB10_6:                               ;   in Loop: Header=BB10_4 Depth=1
	s_wait_alu 0xfffe
	s_or_b32 exec_lo, exec_lo, s2
	v_add_co_u32 v12, s2, v5, s20
	s_wait_alu 0xf1ff
	v_add_co_ci_u32_e64 v13, null, s21, v8, s2
	s_delay_alu instid0(VALU_DEP_1)
	v_cmp_gt_u64_e64 s2, s[14:15], v[12:13]
	v_dual_mov_b32 v12, 0 :: v_dual_mov_b32 v13, 0
	s_and_saveexec_b32 s3, s2
	s_cbranch_execz .LBB10_8
; %bb.7:                                ;   in Loop: Header=BB10_4 Depth=1
	global_load_u16 v13, v[3:4], off
	s_wait_loadcnt 0x0
	v_cvt_f32_f16_e32 v13, v13
.LBB10_8:                               ;   in Loop: Header=BB10_4 Depth=1
	s_wait_alu 0xfffe
	s_or_b32 exec_lo, exec_lo, s3
	v_add_co_u32 v14, s3, v9, s20
	s_wait_alu 0xf1ff
	v_add_co_ci_u32_e64 v15, null, s21, v10, s3
	s_delay_alu instid0(VALU_DEP_1)
	v_cmp_gt_u64_e64 s3, s[14:15], v[14:15]
	s_and_saveexec_b32 s5, s3
	s_cbranch_execz .LBB10_10
; %bb.9:                                ;   in Loop: Header=BB10_4 Depth=1
	v_add_co_u32 v14, s4, v1, s16
	s_wait_alu 0xf1ff
	v_add_co_ci_u32_e64 v15, null, 0, v2, s4
	global_load_u16 v12, v[14:15], off
	s_wait_loadcnt 0x0
	v_cvt_f32_f16_e32 v12, v12
.LBB10_10:                              ;   in Loop: Header=BB10_4 Depth=1
	s_wait_alu 0xfffe
	s_or_b32 exec_lo, exec_lo, s5
	v_add_co_u32 v14, s4, v6, s20
	s_wait_alu 0xf1ff
	v_add_co_ci_u32_e64 v15, null, s21, v7, s4
	s_delay_alu instid0(VALU_DEP_1)
	v_cmp_gt_u64_e64 s4, s[14:15], v[14:15]
	v_mov_b32_e32 v14, 0
	s_and_saveexec_b32 s24, s4
	s_cbranch_execnz .LBB10_15
; %bb.11:                               ;   in Loop: Header=BB10_4 Depth=1
	s_or_b32 exec_lo, exec_lo, s24
	s_and_saveexec_b32 s5, vcc_lo
	s_cbranch_execnz .LBB10_16
.LBB10_12:                              ;   in Loop: Header=BB10_4 Depth=1
	s_wait_alu 0xfffe
	s_or_b32 exec_lo, exec_lo, s5
	s_and_saveexec_b32 s5, s2
	s_cbranch_execnz .LBB10_17
.LBB10_13:                              ;   in Loop: Header=BB10_4 Depth=1
	s_wait_alu 0xfffe
	s_or_b32 exec_lo, exec_lo, s5
	s_and_saveexec_b32 s2, s3
	s_cbranch_execnz .LBB10_18
.LBB10_14:                              ;   in Loop: Header=BB10_4 Depth=1
	s_wait_alu 0xfffe
	s_or_b32 exec_lo, exec_lo, s2
	s_and_saveexec_b32 s2, s4
	s_cbranch_execz .LBB10_3
	s_branch .LBB10_19
.LBB10_15:                              ;   in Loop: Header=BB10_4 Depth=1
	v_add_co_u32 v14, s5, v1, s18
	s_wait_alu 0xf1ff
	v_add_co_ci_u32_e64 v15, null, s19, v2, s5
	global_load_u16 v14, v[14:15], off
	s_wait_loadcnt 0x0
	v_cvt_f32_f16_e32 v14, v14
	s_or_b32 exec_lo, exec_lo, s24
	s_and_saveexec_b32 s5, vcc_lo
	s_cbranch_execz .LBB10_12
.LBB10_16:                              ;   in Loop: Header=BB10_4 Depth=1
	v_add_f32_e32 v11, s22, v11
	s_delay_alu instid0(VALU_DEP_1)
	v_cvt_f16_f32_e32 v11, v11
	global_store_b16 v[1:2], v11, off
	s_wait_alu 0xfffe
	s_or_b32 exec_lo, exec_lo, s5
	s_and_saveexec_b32 s5, s2
	s_cbranch_execz .LBB10_13
.LBB10_17:                              ;   in Loop: Header=BB10_4 Depth=1
	v_add_f32_e32 v11, s22, v13
	s_delay_alu instid0(VALU_DEP_1)
	v_cvt_f16_f32_e32 v11, v11
	global_store_b16 v[3:4], v11, off
	s_wait_alu 0xfffe
	s_or_b32 exec_lo, exec_lo, s5
	s_and_saveexec_b32 s2, s3
	s_cbranch_execz .LBB10_14
.LBB10_18:                              ;   in Loop: Header=BB10_4 Depth=1
	v_add_f32_e32 v11, s22, v12
	s_delay_alu instid0(VALU_DEP_1)
	v_cvt_f16_f32_e32 v13, v11
	v_add_co_u32 v11, vcc_lo, v1, s16
	s_wait_alu 0xfffd
	v_add_co_ci_u32_e64 v12, null, 0, v2, vcc_lo
	global_store_b16 v[11:12], v13, off
	s_wait_alu 0xfffe
	s_or_b32 exec_lo, exec_lo, s2
	s_and_saveexec_b32 s2, s4
	s_cbranch_execz .LBB10_3
.LBB10_19:                              ;   in Loop: Header=BB10_4 Depth=1
	v_add_f32_e32 v11, s22, v14
	s_delay_alu instid0(VALU_DEP_1)
	v_cvt_f16_f32_e32 v13, v11
	v_add_co_u32 v11, vcc_lo, v1, s18
	s_wait_alu 0xfffd
	v_add_co_ci_u32_e64 v12, null, s19, v2, vcc_lo
	global_store_b16 v[11:12], v13, off
	s_branch .LBB10_3
.LBB10_20:
	s_cbranch_execz .LBB10_22
	s_branch .LBB10_25
.LBB10_21:
.LBB10_22:
	v_cmp_gt_i64_e64 s2, 0x10000, s[10:11]
	v_dual_mov_b32 v2, 0 :: v_dual_lshlrev_b32 v1, 2, v0
	s_mov_b32 s4, 0
	s_mov_b32 s5, exec_lo
	s_and_b32 s2, s2, exec_lo
	s_cselect_b32 s3, s11, 0
	s_cselect_b32 s2, s10, 0x10000
	s_wait_alu 0xfffe
	v_cmpx_gt_i64_e64 s[2:3], v[1:2]
	s_cbranch_execz .LBB10_25
; %bb.23:
	s_load_b32 s5, s[0:1], 0xd3c
	v_lshlrev_b32_e32 v1, 3, v0
	s_add_nc_u64 s[0:1], s[6:7], s[8:9]
	s_delay_alu instid0(VALU_DEP_1) | instid1(SALU_CYCLE_1)
	v_add_co_u32 v3, s0, s0, v1
	s_wait_alu 0xf1ff
	v_add_co_ci_u32_e64 v4, null, s1, 0, s0
	v_mov_b32_e32 v1, v2
	s_delay_alu instid0(VALU_DEP_3) | instskip(SKIP_1) | instid1(VALU_DEP_3)
	v_add_co_u32 v2, vcc_lo, v3, 6
	s_wait_alu 0xfffd
	v_add_co_ci_u32_e64 v3, null, 0, v4, vcc_lo
	s_wait_kmcnt 0x0
	s_and_b32 s1, s5, 0xffff
	s_mov_b32 s5, s22
	s_wait_alu 0xfffe
	s_lshl_b32 s6, s1, 3
.LBB10_24:                              ; =>This Inner Loop Header: Depth=1
	global_load_b64 v[4:5], v[2:3], off offset:-6
	v_add_co_u32 v0, vcc_lo, v0, s1
	s_wait_alu 0xfffd
	v_add_co_ci_u32_e64 v1, null, 0, v1, vcc_lo
	s_wait_loadcnt 0x0
	v_lshrrev_b32_e32 v6, 16, v5
	v_lshrrev_b32_e32 v7, 16, v4
	v_cvt_f32_f16_e32 v4, v4
	v_cvt_f32_f16_e32 v5, v5
	s_delay_alu instid0(VALU_DEP_4) | instskip(NEXT) | instid1(VALU_DEP_4)
	v_cvt_f32_f16_e32 v6, v6
	v_cvt_f32_f16_e32 v7, v7
	s_delay_alu instid0(VALU_DEP_3) | instskip(NEXT) | instid1(VALU_DEP_2)
	v_dual_add_f32 v4, s22, v4 :: v_dual_add_f32 v5, s5, v5
	v_dual_add_f32 v6, s22, v6 :: v_dual_add_f32 v7, s22, v7
	s_delay_alu instid0(VALU_DEP_2) | instskip(NEXT) | instid1(VALU_DEP_3)
	v_cvt_f16_f32_e32 v8, v4
	v_cvt_f16_f32_e32 v9, v5
	v_lshlrev_b64_e32 v[4:5], 2, v[0:1]
	s_delay_alu instid0(VALU_DEP_4) | instskip(SKIP_1) | instid1(VALU_DEP_3)
	v_cvt_f16_f32_e32 v6, v6
	v_cvt_f16_f32_e32 v10, v7
	v_cmp_le_i64_e32 vcc_lo, s[2:3], v[4:5]
	s_delay_alu instid0(VALU_DEP_3) | instskip(NEXT) | instid1(VALU_DEP_3)
	v_pack_b32_f16 v7, v9, v6
	v_pack_b32_f16 v6, v8, v10
	s_or_b32 s4, vcc_lo, s4
	global_store_b64 v[2:3], v[6:7], off offset:-6
	v_add_co_u32 v2, s0, v2, s6
	s_wait_alu 0xf1ff
	v_add_co_ci_u32_e64 v3, null, 0, v3, s0
	s_wait_alu 0xfffe
	s_and_not1_b32 exec_lo, exec_lo, s4
	s_cbranch_execnz .LBB10_24
.LBB10_25:
	s_endpgm
	.section	.rodata,"a",@progbits
	.p2align	6, 0x0
	.amdhsa_kernel _ZN2at6native12_GLOBAL__N_125multi_tensor_apply_kernelINS1_18TensorListMetadataILi1EEENS1_21BinaryOpScalarFunctorIN3c104HalfELi1ELi1ELi0EEEJSt4plusIfEfEEEvT_T0_DpT1_
		.amdhsa_group_segment_fixed_size 0
		.amdhsa_private_segment_fixed_size 0
		.amdhsa_kernarg_size 3632
		.amdhsa_user_sgpr_count 2
		.amdhsa_user_sgpr_dispatch_ptr 0
		.amdhsa_user_sgpr_queue_ptr 0
		.amdhsa_user_sgpr_kernarg_segment_ptr 1
		.amdhsa_user_sgpr_dispatch_id 0
		.amdhsa_user_sgpr_private_segment_size 0
		.amdhsa_wavefront_size32 1
		.amdhsa_uses_dynamic_stack 0
		.amdhsa_enable_private_segment 0
		.amdhsa_system_sgpr_workgroup_id_x 1
		.amdhsa_system_sgpr_workgroup_id_y 0
		.amdhsa_system_sgpr_workgroup_id_z 0
		.amdhsa_system_sgpr_workgroup_info 0
		.amdhsa_system_vgpr_workitem_id 0
		.amdhsa_next_free_vgpr 16
		.amdhsa_next_free_sgpr 25
		.amdhsa_reserve_vcc 1
		.amdhsa_float_round_mode_32 0
		.amdhsa_float_round_mode_16_64 0
		.amdhsa_float_denorm_mode_32 3
		.amdhsa_float_denorm_mode_16_64 3
		.amdhsa_fp16_overflow 0
		.amdhsa_workgroup_processor_mode 1
		.amdhsa_memory_ordered 1
		.amdhsa_forward_progress 1
		.amdhsa_inst_pref_size 11
		.amdhsa_round_robin_scheduling 0
		.amdhsa_exception_fp_ieee_invalid_op 0
		.amdhsa_exception_fp_denorm_src 0
		.amdhsa_exception_fp_ieee_div_zero 0
		.amdhsa_exception_fp_ieee_overflow 0
		.amdhsa_exception_fp_ieee_underflow 0
		.amdhsa_exception_fp_ieee_inexact 0
		.amdhsa_exception_int_div_zero 0
	.end_amdhsa_kernel
	.section	.text._ZN2at6native12_GLOBAL__N_125multi_tensor_apply_kernelINS1_18TensorListMetadataILi1EEENS1_21BinaryOpScalarFunctorIN3c104HalfELi1ELi1ELi0EEEJSt4plusIfEfEEEvT_T0_DpT1_,"axG",@progbits,_ZN2at6native12_GLOBAL__N_125multi_tensor_apply_kernelINS1_18TensorListMetadataILi1EEENS1_21BinaryOpScalarFunctorIN3c104HalfELi1ELi1ELi0EEEJSt4plusIfEfEEEvT_T0_DpT1_,comdat
.Lfunc_end10:
	.size	_ZN2at6native12_GLOBAL__N_125multi_tensor_apply_kernelINS1_18TensorListMetadataILi1EEENS1_21BinaryOpScalarFunctorIN3c104HalfELi1ELi1ELi0EEEJSt4plusIfEfEEEvT_T0_DpT1_, .Lfunc_end10-_ZN2at6native12_GLOBAL__N_125multi_tensor_apply_kernelINS1_18TensorListMetadataILi1EEENS1_21BinaryOpScalarFunctorIN3c104HalfELi1ELi1ELi0EEEJSt4plusIfEfEEEvT_T0_DpT1_
                                        ; -- End function
	.set _ZN2at6native12_GLOBAL__N_125multi_tensor_apply_kernelINS1_18TensorListMetadataILi1EEENS1_21BinaryOpScalarFunctorIN3c104HalfELi1ELi1ELi0EEEJSt4plusIfEfEEEvT_T0_DpT1_.num_vgpr, 16
	.set _ZN2at6native12_GLOBAL__N_125multi_tensor_apply_kernelINS1_18TensorListMetadataILi1EEENS1_21BinaryOpScalarFunctorIN3c104HalfELi1ELi1ELi0EEEJSt4plusIfEfEEEvT_T0_DpT1_.num_agpr, 0
	.set _ZN2at6native12_GLOBAL__N_125multi_tensor_apply_kernelINS1_18TensorListMetadataILi1EEENS1_21BinaryOpScalarFunctorIN3c104HalfELi1ELi1ELi0EEEJSt4plusIfEfEEEvT_T0_DpT1_.numbered_sgpr, 25
	.set _ZN2at6native12_GLOBAL__N_125multi_tensor_apply_kernelINS1_18TensorListMetadataILi1EEENS1_21BinaryOpScalarFunctorIN3c104HalfELi1ELi1ELi0EEEJSt4plusIfEfEEEvT_T0_DpT1_.num_named_barrier, 0
	.set _ZN2at6native12_GLOBAL__N_125multi_tensor_apply_kernelINS1_18TensorListMetadataILi1EEENS1_21BinaryOpScalarFunctorIN3c104HalfELi1ELi1ELi0EEEJSt4plusIfEfEEEvT_T0_DpT1_.private_seg_size, 0
	.set _ZN2at6native12_GLOBAL__N_125multi_tensor_apply_kernelINS1_18TensorListMetadataILi1EEENS1_21BinaryOpScalarFunctorIN3c104HalfELi1ELi1ELi0EEEJSt4plusIfEfEEEvT_T0_DpT1_.uses_vcc, 1
	.set _ZN2at6native12_GLOBAL__N_125multi_tensor_apply_kernelINS1_18TensorListMetadataILi1EEENS1_21BinaryOpScalarFunctorIN3c104HalfELi1ELi1ELi0EEEJSt4plusIfEfEEEvT_T0_DpT1_.uses_flat_scratch, 0
	.set _ZN2at6native12_GLOBAL__N_125multi_tensor_apply_kernelINS1_18TensorListMetadataILi1EEENS1_21BinaryOpScalarFunctorIN3c104HalfELi1ELi1ELi0EEEJSt4plusIfEfEEEvT_T0_DpT1_.has_dyn_sized_stack, 0
	.set _ZN2at6native12_GLOBAL__N_125multi_tensor_apply_kernelINS1_18TensorListMetadataILi1EEENS1_21BinaryOpScalarFunctorIN3c104HalfELi1ELi1ELi0EEEJSt4plusIfEfEEEvT_T0_DpT1_.has_recursion, 0
	.set _ZN2at6native12_GLOBAL__N_125multi_tensor_apply_kernelINS1_18TensorListMetadataILi1EEENS1_21BinaryOpScalarFunctorIN3c104HalfELi1ELi1ELi0EEEJSt4plusIfEfEEEvT_T0_DpT1_.has_indirect_call, 0
	.section	.AMDGPU.csdata,"",@progbits
; Kernel info:
; codeLenInByte = 1364
; TotalNumSgprs: 27
; NumVgprs: 16
; ScratchSize: 0
; MemoryBound: 0
; FloatMode: 240
; IeeeMode: 1
; LDSByteSize: 0 bytes/workgroup (compile time only)
; SGPRBlocks: 0
; VGPRBlocks: 1
; NumSGPRsForWavesPerEU: 27
; NumVGPRsForWavesPerEU: 16
; Occupancy: 16
; WaveLimiterHint : 0
; COMPUTE_PGM_RSRC2:SCRATCH_EN: 0
; COMPUTE_PGM_RSRC2:USER_SGPR: 2
; COMPUTE_PGM_RSRC2:TRAP_HANDLER: 0
; COMPUTE_PGM_RSRC2:TGID_X_EN: 1
; COMPUTE_PGM_RSRC2:TGID_Y_EN: 0
; COMPUTE_PGM_RSRC2:TGID_Z_EN: 0
; COMPUTE_PGM_RSRC2:TIDIG_COMP_CNT: 0
	.section	.text._ZN2at6native12_GLOBAL__N_125multi_tensor_apply_kernelINS1_18TensorListMetadataILi1EEENS1_21BinaryOpScalarFunctorIN3c108BFloat16ELi1ELi1ELi0EEEJSt4plusIfEfEEEvT_T0_DpT1_,"axG",@progbits,_ZN2at6native12_GLOBAL__N_125multi_tensor_apply_kernelINS1_18TensorListMetadataILi1EEENS1_21BinaryOpScalarFunctorIN3c108BFloat16ELi1ELi1ELi0EEEJSt4plusIfEfEEEvT_T0_DpT1_,comdat
	.globl	_ZN2at6native12_GLOBAL__N_125multi_tensor_apply_kernelINS1_18TensorListMetadataILi1EEENS1_21BinaryOpScalarFunctorIN3c108BFloat16ELi1ELi1ELi0EEEJSt4plusIfEfEEEvT_T0_DpT1_ ; -- Begin function _ZN2at6native12_GLOBAL__N_125multi_tensor_apply_kernelINS1_18TensorListMetadataILi1EEENS1_21BinaryOpScalarFunctorIN3c108BFloat16ELi1ELi1ELi0EEEJSt4plusIfEfEEEvT_T0_DpT1_
	.p2align	8
	.type	_ZN2at6native12_GLOBAL__N_125multi_tensor_apply_kernelINS1_18TensorListMetadataILi1EEENS1_21BinaryOpScalarFunctorIN3c108BFloat16ELi1ELi1ELi0EEEJSt4plusIfEfEEEvT_T0_DpT1_,@function
_ZN2at6native12_GLOBAL__N_125multi_tensor_apply_kernelINS1_18TensorListMetadataILi1EEENS1_21BinaryOpScalarFunctorIN3c108BFloat16ELi1ELi1ELi0EEEJSt4plusIfEfEEEvT_T0_DpT1_: ; @_ZN2at6native12_GLOBAL__N_125multi_tensor_apply_kernelINS1_18TensorListMetadataILi1EEENS1_21BinaryOpScalarFunctorIN3c108BFloat16ELi1ELi1ELi0EEEJSt4plusIfEfEEEvT_T0_DpT1_
; %bb.0:
	s_load_u8 s8, s[0:1], ttmp9 offset:0x6e0
	s_mov_b32 s2, ttmp9
	s_mov_b32 s3, 0
	s_delay_alu instid0(SALU_CYCLE_1)
	s_mul_u64 s[4:5], s[2:3], 3
	s_add_nc_u64 s[6:7], s[0:1], s[2:3]
	s_mov_b32 s13, s3
	s_add_nc_u64 s[4:5], s[6:7], s[4:5]
	s_load_b32 s4, s[4:5], 0x820
	s_wait_kmcnt 0x0
	s_lshl_b32 s2, s8, 3
	s_clause 0x2
	s_load_b64 s[6:7], s[0:1], s2 offset:0x0
	s_load_b64 s[10:11], s[0:1], s2 offset:0x370
	s_load_b32 s22, s[0:1], 0xd2c
	s_ashr_i32 s5, s4, 31
	s_delay_alu instid0(SALU_CYCLE_1)
	s_lshl_b64 s[8:9], s[4:5], 17
	s_lshl_b64 s[4:5], s[4:5], 16
	s_wait_kmcnt 0x0
	s_and_b32 s2, s6, 7
	s_and_b32 s12, s10, 3
	s_sub_nc_u64 s[10:11], s[10:11], s[4:5]
	s_or_b64 s[2:3], s[2:3], s[12:13]
	s_delay_alu instid0(SALU_CYCLE_1)
	s_cmp_eq_u64 s[2:3], 0
	s_cbranch_scc1 .LBB11_21
; %bb.1:
	v_cmp_lt_i64_e64 s2, s[10:11], 1
	s_and_b32 vcc_lo, exec_lo, s2
	s_cbranch_vccnz .LBB11_20
; %bb.2:
	s_load_b32 s2, s[0:1], 0xd3c
	v_cmp_gt_i64_e64 s12, 0x10000, s[10:11]
	v_lshlrev_b32_e32 v1, 1, v0
	s_add_nc_u64 s[4:5], s[6:7], s[8:9]
	v_cmp_gt_u64_e64 s14, 0x10000, s[10:11]
	s_mov_b32 s3, 0
	v_add_co_u32 v1, s13, s4, v1
	s_and_b32 s12, s12, exec_lo
	v_add_co_ci_u32_e64 v2, null, s5, 0, s13
	s_cselect_b32 s13, s11, 0
	s_cselect_b32 s12, s10, 0x10000
	s_wait_kmcnt 0x0
	s_and_b32 s2, s2, 0xffff
	s_and_b32 s14, s14, exec_lo
	v_add_co_u32 v5, s21, v0, s2
	s_cselect_b32 s15, s11, 0
	s_cselect_b32 s14, s10, 0x10000
	s_lshl_b32 s17, s2, 1
	v_lshlrev_b32_e32 v3, 1, v5
	s_mul_i32 s20, s2, 3
	v_add_co_u32 v9, s17, s17, v0
	v_add_co_u32 v6, s20, s20, v0
	s_delay_alu instid0(VALU_DEP_3)
	v_add_co_u32 v3, s4, s4, v3
	s_wait_alu 0xf1ff
	v_add_co_ci_u32_e64 v7, null, 0, 0, s20
	v_add_co_ci_u32_e64 v8, null, 0, 0, s21
	;; [unrolled: 1-line block ×4, first 2 shown]
	s_lshl_b32 s16, s2, 2
	s_mul_u64 s[18:19], s[2:3], 6
	s_mov_b32 s17, s3
	s_lshl_b32 s23, s2, 3
	s_mov_b64 s[20:21], 0
	s_branch .LBB11_4
.LBB11_3:                               ;   in Loop: Header=BB11_4 Depth=1
	s_wait_alu 0xfffe
	s_or_b32 exec_lo, exec_lo, s2
	s_add_nc_u64 s[20:21], s[20:21], s[16:17]
	v_add_co_u32 v1, vcc_lo, v1, s23
	s_wait_alu 0xfffe
	v_cmp_lt_i64_e64 s2, s[20:21], s[12:13]
	s_wait_alu 0xfffd
	v_add_co_ci_u32_e64 v2, null, 0, v2, vcc_lo
	v_add_co_u32 v3, vcc_lo, v3, s23
	s_wait_alu 0xfffd
	v_add_co_ci_u32_e64 v4, null, 0, v4, vcc_lo
	s_and_b32 vcc_lo, exec_lo, s2
	s_wait_alu 0xfffe
	s_cbranch_vccz .LBB11_20
.LBB11_4:                               ; =>This Inner Loop Header: Depth=1
	s_wait_alu 0xfffe
	v_add_co_u32 v11, s2, v0, s20
	s_wait_alu 0xf1ff
	v_add_co_ci_u32_e64 v12, null, 0, s21, s2
	s_delay_alu instid0(VALU_DEP_1)
	v_cmp_gt_u64_e32 vcc_lo, s[14:15], v[11:12]
	v_mov_b32_e32 v12, 0
	s_and_saveexec_b32 s2, vcc_lo
	s_cbranch_execz .LBB11_6
; %bb.5:                                ;   in Loop: Header=BB11_4 Depth=1
	global_load_u16 v11, v[1:2], off
	s_wait_loadcnt 0x0
	v_lshlrev_b32_e32 v12, 16, v11
.LBB11_6:                               ;   in Loop: Header=BB11_4 Depth=1
	s_wait_alu 0xfffe
	s_or_b32 exec_lo, exec_lo, s2
	v_add_co_u32 v13, s2, v5, s20
	s_wait_alu 0xf1ff
	v_add_co_ci_u32_e64 v14, null, s21, v8, s2
	v_mov_b32_e32 v11, 0
	s_delay_alu instid0(VALU_DEP_2)
	v_cmp_gt_u64_e64 s2, s[14:15], v[13:14]
	v_mov_b32_e32 v13, 0
	s_and_saveexec_b32 s3, s2
	s_cbranch_execz .LBB11_8
; %bb.7:                                ;   in Loop: Header=BB11_4 Depth=1
	global_load_u16 v13, v[3:4], off
	s_wait_loadcnt 0x0
	v_lshlrev_b32_e32 v13, 16, v13
.LBB11_8:                               ;   in Loop: Header=BB11_4 Depth=1
	s_wait_alu 0xfffe
	s_or_b32 exec_lo, exec_lo, s3
	v_add_co_u32 v14, s3, v9, s20
	s_wait_alu 0xf1ff
	v_add_co_ci_u32_e64 v15, null, s21, v10, s3
	s_delay_alu instid0(VALU_DEP_1)
	v_cmp_gt_u64_e64 s3, s[14:15], v[14:15]
	s_and_saveexec_b32 s5, s3
	s_cbranch_execz .LBB11_10
; %bb.9:                                ;   in Loop: Header=BB11_4 Depth=1
	v_add_co_u32 v14, s4, v1, s16
	s_wait_alu 0xf1ff
	v_add_co_ci_u32_e64 v15, null, 0, v2, s4
	global_load_u16 v11, v[14:15], off
	s_wait_loadcnt 0x0
	v_lshlrev_b32_e32 v11, 16, v11
.LBB11_10:                              ;   in Loop: Header=BB11_4 Depth=1
	s_wait_alu 0xfffe
	s_or_b32 exec_lo, exec_lo, s5
	v_add_co_u32 v14, s4, v6, s20
	s_wait_alu 0xf1ff
	v_add_co_ci_u32_e64 v15, null, s21, v7, s4
	s_delay_alu instid0(VALU_DEP_1)
	v_cmp_gt_u64_e64 s4, s[14:15], v[14:15]
	v_mov_b32_e32 v14, 0
	s_and_saveexec_b32 s24, s4
	s_cbranch_execnz .LBB11_15
; %bb.11:                               ;   in Loop: Header=BB11_4 Depth=1
	s_or_b32 exec_lo, exec_lo, s24
	s_and_saveexec_b32 s5, vcc_lo
	s_cbranch_execnz .LBB11_16
.LBB11_12:                              ;   in Loop: Header=BB11_4 Depth=1
	s_wait_alu 0xfffe
	s_or_b32 exec_lo, exec_lo, s5
	s_and_saveexec_b32 s5, s2
	s_cbranch_execnz .LBB11_17
.LBB11_13:                              ;   in Loop: Header=BB11_4 Depth=1
	s_wait_alu 0xfffe
	s_or_b32 exec_lo, exec_lo, s5
	s_and_saveexec_b32 s2, s3
	s_cbranch_execnz .LBB11_18
.LBB11_14:                              ;   in Loop: Header=BB11_4 Depth=1
	s_wait_alu 0xfffe
	s_or_b32 exec_lo, exec_lo, s2
	s_and_saveexec_b32 s2, s4
	s_cbranch_execz .LBB11_3
	s_branch .LBB11_19
.LBB11_15:                              ;   in Loop: Header=BB11_4 Depth=1
	v_add_co_u32 v14, s5, v1, s18
	s_wait_alu 0xf1ff
	v_add_co_ci_u32_e64 v15, null, s19, v2, s5
	global_load_u16 v14, v[14:15], off
	s_wait_loadcnt 0x0
	v_lshlrev_b32_e32 v14, 16, v14
	s_or_b32 exec_lo, exec_lo, s24
	s_and_saveexec_b32 s5, vcc_lo
	s_cbranch_execz .LBB11_12
.LBB11_16:                              ;   in Loop: Header=BB11_4 Depth=1
	v_add_f32_e32 v12, s22, v12
	s_delay_alu instid0(VALU_DEP_1) | instskip(SKIP_1) | instid1(VALU_DEP_2)
	v_bfe_u32 v15, v12, 16, 1
	v_cmp_o_f32_e32 vcc_lo, v12, v12
	v_add3_u32 v15, v12, v15, 0x7fff
	s_delay_alu instid0(VALU_DEP_1) | instskip(SKIP_1) | instid1(VALU_DEP_1)
	v_lshrrev_b32_e32 v15, 16, v15
	s_wait_alu 0xfffd
	v_cndmask_b32_e32 v12, 0x7fc0, v15, vcc_lo
	global_store_b16 v[1:2], v12, off
	s_wait_alu 0xfffe
	s_or_b32 exec_lo, exec_lo, s5
	s_and_saveexec_b32 s5, s2
	s_cbranch_execz .LBB11_13
.LBB11_17:                              ;   in Loop: Header=BB11_4 Depth=1
	v_add_f32_e32 v12, s22, v13
	s_delay_alu instid0(VALU_DEP_1) | instskip(SKIP_1) | instid1(VALU_DEP_2)
	v_bfe_u32 v13, v12, 16, 1
	v_cmp_o_f32_e32 vcc_lo, v12, v12
	v_add3_u32 v13, v12, v13, 0x7fff
	s_delay_alu instid0(VALU_DEP_1) | instskip(SKIP_1) | instid1(VALU_DEP_1)
	v_lshrrev_b32_e32 v13, 16, v13
	s_wait_alu 0xfffd
	v_cndmask_b32_e32 v12, 0x7fc0, v13, vcc_lo
	global_store_b16 v[3:4], v12, off
	s_wait_alu 0xfffe
	s_or_b32 exec_lo, exec_lo, s5
	s_and_saveexec_b32 s2, s3
	s_cbranch_execz .LBB11_14
.LBB11_18:                              ;   in Loop: Header=BB11_4 Depth=1
	v_add_f32_e32 v11, s22, v11
	s_delay_alu instid0(VALU_DEP_1) | instskip(SKIP_1) | instid1(VALU_DEP_2)
	v_bfe_u32 v12, v11, 16, 1
	v_cmp_o_f32_e32 vcc_lo, v11, v11
	v_add3_u32 v12, v11, v12, 0x7fff
	s_delay_alu instid0(VALU_DEP_1) | instskip(SKIP_1) | instid1(VALU_DEP_1)
	v_lshrrev_b32_e32 v12, 16, v12
	s_wait_alu 0xfffd
	v_cndmask_b32_e32 v13, 0x7fc0, v12, vcc_lo
	v_add_co_u32 v11, vcc_lo, v1, s16
	s_wait_alu 0xfffd
	v_add_co_ci_u32_e64 v12, null, 0, v2, vcc_lo
	global_store_b16 v[11:12], v13, off
	s_wait_alu 0xfffe
	s_or_b32 exec_lo, exec_lo, s2
	s_and_saveexec_b32 s2, s4
	s_cbranch_execz .LBB11_3
.LBB11_19:                              ;   in Loop: Header=BB11_4 Depth=1
	v_add_f32_e32 v11, s22, v14
	s_delay_alu instid0(VALU_DEP_1) | instskip(SKIP_1) | instid1(VALU_DEP_2)
	v_bfe_u32 v12, v11, 16, 1
	v_cmp_o_f32_e32 vcc_lo, v11, v11
	v_add3_u32 v12, v11, v12, 0x7fff
	s_delay_alu instid0(VALU_DEP_1) | instskip(SKIP_1) | instid1(VALU_DEP_1)
	v_lshrrev_b32_e32 v12, 16, v12
	s_wait_alu 0xfffd
	v_cndmask_b32_e32 v13, 0x7fc0, v12, vcc_lo
	v_add_co_u32 v11, vcc_lo, v1, s18
	s_wait_alu 0xfffd
	v_add_co_ci_u32_e64 v12, null, s19, v2, vcc_lo
	global_store_b16 v[11:12], v13, off
	s_branch .LBB11_3
.LBB11_20:
	s_cbranch_execz .LBB11_22
	s_branch .LBB11_25
.LBB11_21:
.LBB11_22:
	v_cmp_gt_i64_e64 s2, 0x10000, s[10:11]
	v_dual_mov_b32 v2, 0 :: v_dual_lshlrev_b32 v1, 2, v0
	s_mov_b32 s4, 0
	s_mov_b32 s5, exec_lo
	s_and_b32 s2, s2, exec_lo
	s_cselect_b32 s3, s11, 0
	s_cselect_b32 s2, s10, 0x10000
	s_wait_alu 0xfffe
	v_cmpx_gt_i64_e64 s[2:3], v[1:2]
	s_cbranch_execz .LBB11_25
; %bb.23:
	s_load_b32 s5, s[0:1], 0xd3c
	v_lshlrev_b32_e32 v3, 3, v0
	s_add_nc_u64 s[0:1], s[6:7], s[8:9]
	v_mov_b32_e32 v1, v2
	s_delay_alu instid0(VALU_DEP_2)
	v_add_co_u32 v2, s0, s0, v3
	s_wait_alu 0xf1ff
	v_add_co_ci_u32_e64 v3, null, s1, 0, s0
	s_wait_kmcnt 0x0
	s_and_b32 s1, s5, 0xffff
	s_wait_alu 0xfffe
	s_lshl_b32 s5, s1, 3
.LBB11_24:                              ; =>This Inner Loop Header: Depth=1
	global_load_b64 v[4:5], v[2:3], off
	v_add_co_u32 v0, vcc_lo, v0, s1
	s_wait_alu 0xfffd
	v_add_co_ci_u32_e64 v1, null, 0, v1, vcc_lo
	s_wait_loadcnt 0x0
	v_alignbit_b32 v6, v5, v4, 16
	s_delay_alu instid0(VALU_DEP_1) | instskip(NEXT) | instid1(VALU_DEP_1)
	v_and_b32_e32 v6, 0xffff0000, v6
	v_dual_add_f32 v6, s22, v6 :: v_dual_lshlrev_b32 v7, 16, v4
	s_delay_alu instid0(VALU_DEP_1) | instskip(SKIP_1) | instid1(VALU_DEP_3)
	v_dual_add_f32 v7, s22, v7 :: v_dual_and_b32 v4, 0xffff0000, v4
	v_and_b32_e32 v5, 0xffff0000, v5
	v_bfe_u32 v11, v6, 16, 1
	s_delay_alu instid0(VALU_DEP_3) | instskip(NEXT) | instid1(VALU_DEP_4)
	v_add_f32_e32 v4, s22, v4
	v_bfe_u32 v8, v7, 16, 1
	s_delay_alu instid0(VALU_DEP_4) | instskip(NEXT) | instid1(VALU_DEP_4)
	v_add_f32_e32 v5, s22, v5
	v_add3_u32 v11, v6, v11, 0x7fff
	s_delay_alu instid0(VALU_DEP_4) | instskip(NEXT) | instid1(VALU_DEP_4)
	v_bfe_u32 v9, v4, 16, 1
	v_add3_u32 v8, v7, v8, 0x7fff
	s_delay_alu instid0(VALU_DEP_4)
	v_bfe_u32 v10, v5, 16, 1
	v_cmp_o_f32_e32 vcc_lo, v4, v4
	v_lshrrev_b32_e32 v11, 16, v11
	v_add3_u32 v9, v4, v9, 0x7fff
	v_lshrrev_b32_e32 v8, 16, v8
	v_add3_u32 v10, v5, v10, 0x7fff
	s_delay_alu instid0(VALU_DEP_3) | instskip(NEXT) | instid1(VALU_DEP_2)
	v_and_b32_e32 v9, 0xffff0000, v9
	v_and_b32_e32 v10, 0xffff0000, v10
	s_wait_alu 0xfffd
	s_delay_alu instid0(VALU_DEP_2) | instskip(SKIP_4) | instid1(VALU_DEP_2)
	v_cndmask_b32_e32 v4, 0x7fc00000, v9, vcc_lo
	v_cmp_o_f32_e32 vcc_lo, v7, v7
	s_wait_alu 0xfffd
	v_cndmask_b32_e32 v7, 0x7fc0, v8, vcc_lo
	v_cmp_o_f32_e32 vcc_lo, v5, v5
	v_or_b32_e32 v9, v7, v4
	s_wait_alu 0xfffd
	v_cndmask_b32_e32 v8, 0x7fc00000, v10, vcc_lo
	v_cmp_o_f32_e32 vcc_lo, v6, v6
	v_lshlrev_b64_e32 v[4:5], 2, v[0:1]
	s_wait_alu 0xfffd
	v_cndmask_b32_e32 v6, 0x7fc0, v11, vcc_lo
	s_delay_alu instid0(VALU_DEP_2) | instskip(NEXT) | instid1(VALU_DEP_2)
	v_cmp_le_i64_e32 vcc_lo, s[2:3], v[4:5]
	v_or3_b32 v7, 0, v6, v8
	v_or3_b32 v6, v9, 0, 0
	s_or_b32 s4, vcc_lo, s4
	global_store_b64 v[2:3], v[6:7], off
	s_wait_alu 0xfffe
	v_add_co_u32 v2, s0, v2, s5
	s_wait_alu 0xf1ff
	v_add_co_ci_u32_e64 v3, null, 0, v3, s0
	s_and_not1_b32 exec_lo, exec_lo, s4
	s_cbranch_execnz .LBB11_24
.LBB11_25:
	s_endpgm
	.section	.rodata,"a",@progbits
	.p2align	6, 0x0
	.amdhsa_kernel _ZN2at6native12_GLOBAL__N_125multi_tensor_apply_kernelINS1_18TensorListMetadataILi1EEENS1_21BinaryOpScalarFunctorIN3c108BFloat16ELi1ELi1ELi0EEEJSt4plusIfEfEEEvT_T0_DpT1_
		.amdhsa_group_segment_fixed_size 0
		.amdhsa_private_segment_fixed_size 0
		.amdhsa_kernarg_size 3632
		.amdhsa_user_sgpr_count 2
		.amdhsa_user_sgpr_dispatch_ptr 0
		.amdhsa_user_sgpr_queue_ptr 0
		.amdhsa_user_sgpr_kernarg_segment_ptr 1
		.amdhsa_user_sgpr_dispatch_id 0
		.amdhsa_user_sgpr_private_segment_size 0
		.amdhsa_wavefront_size32 1
		.amdhsa_uses_dynamic_stack 0
		.amdhsa_enable_private_segment 0
		.amdhsa_system_sgpr_workgroup_id_x 1
		.amdhsa_system_sgpr_workgroup_id_y 0
		.amdhsa_system_sgpr_workgroup_id_z 0
		.amdhsa_system_sgpr_workgroup_info 0
		.amdhsa_system_vgpr_workitem_id 0
		.amdhsa_next_free_vgpr 16
		.amdhsa_next_free_sgpr 25
		.amdhsa_reserve_vcc 1
		.amdhsa_float_round_mode_32 0
		.amdhsa_float_round_mode_16_64 0
		.amdhsa_float_denorm_mode_32 3
		.amdhsa_float_denorm_mode_16_64 3
		.amdhsa_fp16_overflow 0
		.amdhsa_workgroup_processor_mode 1
		.amdhsa_memory_ordered 1
		.amdhsa_forward_progress 1
		.amdhsa_inst_pref_size 14
		.amdhsa_round_robin_scheduling 0
		.amdhsa_exception_fp_ieee_invalid_op 0
		.amdhsa_exception_fp_denorm_src 0
		.amdhsa_exception_fp_ieee_div_zero 0
		.amdhsa_exception_fp_ieee_overflow 0
		.amdhsa_exception_fp_ieee_underflow 0
		.amdhsa_exception_fp_ieee_inexact 0
		.amdhsa_exception_int_div_zero 0
	.end_amdhsa_kernel
	.section	.text._ZN2at6native12_GLOBAL__N_125multi_tensor_apply_kernelINS1_18TensorListMetadataILi1EEENS1_21BinaryOpScalarFunctorIN3c108BFloat16ELi1ELi1ELi0EEEJSt4plusIfEfEEEvT_T0_DpT1_,"axG",@progbits,_ZN2at6native12_GLOBAL__N_125multi_tensor_apply_kernelINS1_18TensorListMetadataILi1EEENS1_21BinaryOpScalarFunctorIN3c108BFloat16ELi1ELi1ELi0EEEJSt4plusIfEfEEEvT_T0_DpT1_,comdat
.Lfunc_end11:
	.size	_ZN2at6native12_GLOBAL__N_125multi_tensor_apply_kernelINS1_18TensorListMetadataILi1EEENS1_21BinaryOpScalarFunctorIN3c108BFloat16ELi1ELi1ELi0EEEJSt4plusIfEfEEEvT_T0_DpT1_, .Lfunc_end11-_ZN2at6native12_GLOBAL__N_125multi_tensor_apply_kernelINS1_18TensorListMetadataILi1EEENS1_21BinaryOpScalarFunctorIN3c108BFloat16ELi1ELi1ELi0EEEJSt4plusIfEfEEEvT_T0_DpT1_
                                        ; -- End function
	.set _ZN2at6native12_GLOBAL__N_125multi_tensor_apply_kernelINS1_18TensorListMetadataILi1EEENS1_21BinaryOpScalarFunctorIN3c108BFloat16ELi1ELi1ELi0EEEJSt4plusIfEfEEEvT_T0_DpT1_.num_vgpr, 16
	.set _ZN2at6native12_GLOBAL__N_125multi_tensor_apply_kernelINS1_18TensorListMetadataILi1EEENS1_21BinaryOpScalarFunctorIN3c108BFloat16ELi1ELi1ELi0EEEJSt4plusIfEfEEEvT_T0_DpT1_.num_agpr, 0
	.set _ZN2at6native12_GLOBAL__N_125multi_tensor_apply_kernelINS1_18TensorListMetadataILi1EEENS1_21BinaryOpScalarFunctorIN3c108BFloat16ELi1ELi1ELi0EEEJSt4plusIfEfEEEvT_T0_DpT1_.numbered_sgpr, 25
	.set _ZN2at6native12_GLOBAL__N_125multi_tensor_apply_kernelINS1_18TensorListMetadataILi1EEENS1_21BinaryOpScalarFunctorIN3c108BFloat16ELi1ELi1ELi0EEEJSt4plusIfEfEEEvT_T0_DpT1_.num_named_barrier, 0
	.set _ZN2at6native12_GLOBAL__N_125multi_tensor_apply_kernelINS1_18TensorListMetadataILi1EEENS1_21BinaryOpScalarFunctorIN3c108BFloat16ELi1ELi1ELi0EEEJSt4plusIfEfEEEvT_T0_DpT1_.private_seg_size, 0
	.set _ZN2at6native12_GLOBAL__N_125multi_tensor_apply_kernelINS1_18TensorListMetadataILi1EEENS1_21BinaryOpScalarFunctorIN3c108BFloat16ELi1ELi1ELi0EEEJSt4plusIfEfEEEvT_T0_DpT1_.uses_vcc, 1
	.set _ZN2at6native12_GLOBAL__N_125multi_tensor_apply_kernelINS1_18TensorListMetadataILi1EEENS1_21BinaryOpScalarFunctorIN3c108BFloat16ELi1ELi1ELi0EEEJSt4plusIfEfEEEvT_T0_DpT1_.uses_flat_scratch, 0
	.set _ZN2at6native12_GLOBAL__N_125multi_tensor_apply_kernelINS1_18TensorListMetadataILi1EEENS1_21BinaryOpScalarFunctorIN3c108BFloat16ELi1ELi1ELi0EEEJSt4plusIfEfEEEvT_T0_DpT1_.has_dyn_sized_stack, 0
	.set _ZN2at6native12_GLOBAL__N_125multi_tensor_apply_kernelINS1_18TensorListMetadataILi1EEENS1_21BinaryOpScalarFunctorIN3c108BFloat16ELi1ELi1ELi0EEEJSt4plusIfEfEEEvT_T0_DpT1_.has_recursion, 0
	.set _ZN2at6native12_GLOBAL__N_125multi_tensor_apply_kernelINS1_18TensorListMetadataILi1EEENS1_21BinaryOpScalarFunctorIN3c108BFloat16ELi1ELi1ELi0EEEJSt4plusIfEfEEEvT_T0_DpT1_.has_indirect_call, 0
	.section	.AMDGPU.csdata,"",@progbits
; Kernel info:
; codeLenInByte = 1680
; TotalNumSgprs: 27
; NumVgprs: 16
; ScratchSize: 0
; MemoryBound: 0
; FloatMode: 240
; IeeeMode: 1
; LDSByteSize: 0 bytes/workgroup (compile time only)
; SGPRBlocks: 0
; VGPRBlocks: 1
; NumSGPRsForWavesPerEU: 27
; NumVGPRsForWavesPerEU: 16
; Occupancy: 16
; WaveLimiterHint : 0
; COMPUTE_PGM_RSRC2:SCRATCH_EN: 0
; COMPUTE_PGM_RSRC2:USER_SGPR: 2
; COMPUTE_PGM_RSRC2:TRAP_HANDLER: 0
; COMPUTE_PGM_RSRC2:TGID_X_EN: 1
; COMPUTE_PGM_RSRC2:TGID_Y_EN: 0
; COMPUTE_PGM_RSRC2:TGID_Z_EN: 0
; COMPUTE_PGM_RSRC2:TIDIG_COMP_CNT: 0
	.section	.text._ZN2at6native12_GLOBAL__N_125multi_tensor_apply_kernelINS1_18TensorListMetadataILi2EEENS1_21BinaryOpScalarFunctorIhLi2ELi1ELi1EEEJSt4plusIhEhEEEvT_T0_DpT1_,"axG",@progbits,_ZN2at6native12_GLOBAL__N_125multi_tensor_apply_kernelINS1_18TensorListMetadataILi2EEENS1_21BinaryOpScalarFunctorIhLi2ELi1ELi1EEEJSt4plusIhEhEEEvT_T0_DpT1_,comdat
	.globl	_ZN2at6native12_GLOBAL__N_125multi_tensor_apply_kernelINS1_18TensorListMetadataILi2EEENS1_21BinaryOpScalarFunctorIhLi2ELi1ELi1EEEJSt4plusIhEhEEEvT_T0_DpT1_ ; -- Begin function _ZN2at6native12_GLOBAL__N_125multi_tensor_apply_kernelINS1_18TensorListMetadataILi2EEENS1_21BinaryOpScalarFunctorIhLi2ELi1ELi1EEEJSt4plusIhEhEEEvT_T0_DpT1_
	.p2align	8
	.type	_ZN2at6native12_GLOBAL__N_125multi_tensor_apply_kernelINS1_18TensorListMetadataILi2EEENS1_21BinaryOpScalarFunctorIhLi2ELi1ELi1EEEJSt4plusIhEhEEEvT_T0_DpT1_,@function
_ZN2at6native12_GLOBAL__N_125multi_tensor_apply_kernelINS1_18TensorListMetadataILi2EEENS1_21BinaryOpScalarFunctorIhLi2ELi1ELi1EEEJSt4plusIhEhEEEvT_T0_DpT1_: ; @_ZN2at6native12_GLOBAL__N_125multi_tensor_apply_kernelINS1_18TensorListMetadataILi2EEENS1_21BinaryOpScalarFunctorIhLi2ELi1ELi1EEEJSt4plusIhEhEEEvT_T0_DpT1_
; %bb.0:
	s_load_u8 s6, s[0:1], ttmp9 offset:0x600
	s_mov_b32 s2, ttmp9
	s_mov_b32 s3, 0
	s_delay_alu instid0(SALU_CYCLE_1) | instskip(SKIP_1) | instid1(SALU_CYCLE_1)
	s_mul_u64 s[4:5], s[2:3], 3
	s_add_nc_u64 s[2:3], s[0:1], s[2:3]
	s_add_nc_u64 s[2:3], s[2:3], s[4:5]
	s_load_b32 s2, s[2:3], 0x740
	s_wait_kmcnt 0x0
	s_lshl_b32 s3, s6, 3
	s_clause 0x3
	s_load_b64 s[4:5], s[0:1], s3 offset:0x400
	s_load_b64 s[6:7], s[0:1], s3 offset:0x0
	;; [unrolled: 1-line block ×3, first 2 shown]
	s_load_b32 s22, s[0:1], 0xc48
	s_ashr_i32 s3, s2, 31
	s_delay_alu instid0(SALU_CYCLE_1) | instskip(SKIP_4) | instid1(SALU_CYCLE_1)
	s_lshl_b64 s[10:11], s[2:3], 16
	s_wait_kmcnt 0x0
	s_sub_nc_u64 s[12:13], s[4:5], s[10:11]
	s_add_nc_u64 s[2:3], s[6:7], s[10:11]
	s_or_b32 s3, s4, s8
	s_or_b32 s2, s3, s2
	s_delay_alu instid0(SALU_CYCLE_1) | instskip(NEXT) | instid1(SALU_CYCLE_1)
	s_and_b32 s2, s2, 3
	s_cmp_eq_u32 s2, 0
	s_mov_b32 s2, -1
	s_cbranch_scc1 .LBB12_21
; %bb.1:
	v_cmp_lt_i64_e64 s2, s[12:13], 1
	s_and_b32 vcc_lo, exec_lo, s2
	s_cbranch_vccnz .LBB12_20
; %bb.2:
	s_load_b32 s2, s[0:1], 0xc5c
	v_cmp_gt_i64_e64 s4, 0x10000, s[12:13]
	v_cmp_gt_u64_e64 s16, 0x10000, s[12:13]
	s_mov_b32 s3, 0
	v_add_co_u32 v15, s5, s10, v0
	s_delay_alu instid0(VALU_DEP_1)
	v_add_co_ci_u32_e64 v16, null, s11, 0, s5
	s_and_b32 s4, s4, exec_lo
	s_cselect_b32 s15, s13, 0
	s_cselect_b32 s14, s12, 0x10000
	s_mov_b32 s5, s3
	v_add_co_u32 v1, vcc_lo, s6, v15
	s_delay_alu instid0(VALU_DEP_1)
	v_add_co_ci_u32_e64 v2, null, s7, v16, vcc_lo
	v_add_co_u32 v3, vcc_lo, s8, v15
	s_wait_alu 0xfffd
	v_add_co_ci_u32_e64 v4, null, s9, v16, vcc_lo
	s_wait_kmcnt 0x0
	s_and_b32 s19, s2, 0xffff
	s_and_b32 s2, s16, exec_lo
	s_mul_i32 s4, s19, 3
	s_cselect_b32 s17, s13, 0
	s_wait_alu 0xfffe
	s_add_nc_u64 s[20:21], s[10:11], s[4:5]
	s_cselect_b32 s16, s12, 0x10000
	s_lshl_b32 s2, s19, 1
	v_add_co_u32 v7, s5, s20, v0
	s_wait_alu 0xf1ff
	v_add_co_ci_u32_e64 v8, null, s21, 0, s5
	s_add_nc_u64 s[20:21], s[10:11], s[2:3]
	v_add_co_u32 v5, vcc_lo, s6, v7
	s_wait_alu 0xfffe
	v_add_co_u32 v13, s5, s20, v0
	s_wait_alu 0xf1ff
	v_add_co_ci_u32_e64 v14, null, s21, 0, s5
	s_wait_alu 0xfffd
	v_add_co_ci_u32_e64 v6, null, s7, v8, vcc_lo
	v_add_co_u32 v7, vcc_lo, s8, v7
	s_wait_alu 0xfffd
	v_add_co_ci_u32_e64 v8, null, s9, v8, vcc_lo
	v_add_co_u32 v11, vcc_lo, s6, v13
	s_wait_alu 0xfffd
	v_add_co_ci_u32_e64 v12, null, s7, v14, vcc_lo
	v_add_co_u32 v13, vcc_lo, s8, v13
	s_wait_alu 0xfffd
	v_add_co_ci_u32_e64 v14, null, s9, v14, vcc_lo
	v_add_co_u32 v19, vcc_lo, v15, s19
	s_wait_alu 0xfffd
	v_add_co_ci_u32_e64 v20, null, 0, v16, vcc_lo
	v_add_co_u32 v15, s2, s2, v0
	s_delay_alu instid0(VALU_DEP_3)
	v_add_co_u32 v17, vcc_lo, s6, v19
	v_add_co_u32 v9, s4, s4, v0
	s_wait_alu 0xf1ff
	v_add_co_ci_u32_e64 v16, null, 0, 0, s2
	s_wait_alu 0xfffd
	v_add_co_ci_u32_e64 v18, null, s7, v20, vcc_lo
	v_add_co_u32 v19, vcc_lo, s8, v19
	v_add_co_u32 v21, s2, v0, s19
	v_add_co_ci_u32_e64 v10, null, 0, 0, s4
	s_wait_alu 0xfffd
	v_add_co_ci_u32_e64 v20, null, s9, v20, vcc_lo
	s_wait_alu 0xf1ff
	v_add_co_ci_u32_e64 v22, null, 0, 0, s2
	s_lshl_b32 s18, s19, 2
	s_mov_b32 s19, s3
	s_mov_b64 s[20:21], 0
	s_lshr_b32 s23, s22, 16
	s_branch .LBB12_4
.LBB12_3:                               ;   in Loop: Header=BB12_4 Depth=1
	s_wait_alu 0xfffe
	s_or_b32 exec_lo, exec_lo, s2
	s_add_nc_u64 s[20:21], s[20:21], s[18:19]
	s_wait_alu 0xfffe
	v_cmp_lt_i64_e64 s2, s[20:21], s[14:15]
	s_and_b32 vcc_lo, exec_lo, s2
	s_wait_alu 0xfffe
	s_cbranch_vccz .LBB12_20
.LBB12_4:                               ; =>This Inner Loop Header: Depth=1
	s_wait_loadcnt 0x0
	s_wait_alu 0xfffe
	v_add_co_u32 v23, s2, v0, s20
	s_wait_alu 0xf1ff
	v_add_co_ci_u32_e64 v24, null, 0, s21, s2
	s_delay_alu instid0(VALU_DEP_1)
	v_cmp_gt_u64_e32 vcc_lo, s[16:17], v[23:24]
	v_mov_b32_e32 v24, 0
	s_and_saveexec_b32 s3, vcc_lo
	s_cbranch_execz .LBB12_6
; %bb.5:                                ;   in Loop: Header=BB12_4 Depth=1
	v_add_co_u32 v23, s2, v1, s20
	s_wait_alu 0xf1ff
	v_add_co_ci_u32_e64 v24, null, s21, v2, s2
	global_load_u8 v24, v[23:24], off
.LBB12_6:                               ;   in Loop: Header=BB12_4 Depth=1
	s_wait_alu 0xfffe
	s_or_b32 exec_lo, exec_lo, s3
	v_add_co_u32 v25, s2, v21, s20
	s_wait_alu 0xf1ff
	v_add_co_ci_u32_e64 v26, null, s21, v22, s2
	v_mov_b32_e32 v23, 0
	s_delay_alu instid0(VALU_DEP_2)
	v_cmp_gt_u64_e64 s2, s[16:17], v[25:26]
	v_mov_b32_e32 v25, 0
	s_and_saveexec_b32 s4, s2
	s_cbranch_execz .LBB12_8
; %bb.7:                                ;   in Loop: Header=BB12_4 Depth=1
	v_add_co_u32 v25, s3, v17, s20
	s_wait_alu 0xf1ff
	v_add_co_ci_u32_e64 v26, null, s21, v18, s3
	global_load_u8 v25, v[25:26], off
.LBB12_8:                               ;   in Loop: Header=BB12_4 Depth=1
	s_wait_alu 0xfffe
	s_or_b32 exec_lo, exec_lo, s4
	v_add_co_u32 v26, s3, v15, s20
	s_wait_alu 0xf1ff
	v_add_co_ci_u32_e64 v27, null, s21, v16, s3
	s_delay_alu instid0(VALU_DEP_1)
	v_cmp_gt_u64_e64 s3, s[16:17], v[26:27]
	s_and_saveexec_b32 s5, s3
	s_cbranch_execz .LBB12_10
; %bb.9:                                ;   in Loop: Header=BB12_4 Depth=1
	v_add_co_u32 v26, s4, v11, s20
	s_wait_alu 0xf1ff
	v_add_co_ci_u32_e64 v27, null, s21, v12, s4
	global_load_u8 v23, v[26:27], off
.LBB12_10:                              ;   in Loop: Header=BB12_4 Depth=1
	s_wait_alu 0xfffe
	s_or_b32 exec_lo, exec_lo, s5
	v_add_co_u32 v26, s4, v9, s20
	s_wait_alu 0xf1ff
	v_add_co_ci_u32_e64 v27, null, s21, v10, s4
	s_delay_alu instid0(VALU_DEP_1)
	v_cmp_gt_u64_e64 s4, s[16:17], v[26:27]
	v_mov_b32_e32 v26, 0
	s_and_saveexec_b32 s24, s4
	s_cbranch_execnz .LBB12_15
; %bb.11:                               ;   in Loop: Header=BB12_4 Depth=1
	s_or_b32 exec_lo, exec_lo, s24
	s_and_saveexec_b32 s5, vcc_lo
	s_cbranch_execnz .LBB12_16
.LBB12_12:                              ;   in Loop: Header=BB12_4 Depth=1
	s_wait_alu 0xfffe
	s_or_b32 exec_lo, exec_lo, s5
	s_and_saveexec_b32 s5, s2
	s_cbranch_execnz .LBB12_17
.LBB12_13:                              ;   in Loop: Header=BB12_4 Depth=1
	s_wait_alu 0xfffe
	s_or_b32 exec_lo, exec_lo, s5
	s_and_saveexec_b32 s2, s3
	s_cbranch_execnz .LBB12_18
.LBB12_14:                              ;   in Loop: Header=BB12_4 Depth=1
	s_wait_alu 0xfffe
	s_or_b32 exec_lo, exec_lo, s2
	s_and_saveexec_b32 s2, s4
	s_cbranch_execz .LBB12_3
	s_branch .LBB12_19
.LBB12_15:                              ;   in Loop: Header=BB12_4 Depth=1
	v_add_co_u32 v26, s5, v5, s20
	s_wait_alu 0xf1ff
	v_add_co_ci_u32_e64 v27, null, s21, v6, s5
	global_load_u8 v26, v[26:27], off
	s_or_b32 exec_lo, exec_lo, s24
	s_and_saveexec_b32 s5, vcc_lo
	s_cbranch_execz .LBB12_12
.LBB12_16:                              ;   in Loop: Header=BB12_4 Depth=1
	v_add_co_u32 v27, vcc_lo, v3, s20
	s_wait_loadcnt 0x0
	v_add_nc_u16 v24, v24, s23
	s_wait_alu 0xfffd
	v_add_co_ci_u32_e64 v28, null, s21, v4, vcc_lo
	global_store_b8 v[27:28], v24, off
	s_wait_alu 0xfffe
	s_or_b32 exec_lo, exec_lo, s5
	s_and_saveexec_b32 s5, s2
	s_cbranch_execz .LBB12_13
.LBB12_17:                              ;   in Loop: Header=BB12_4 Depth=1
	s_wait_loadcnt 0x0
	v_add_co_u32 v24, vcc_lo, v19, s20
	v_add_nc_u16 v27, v25, s23
	s_wait_alu 0xfffd
	v_add_co_ci_u32_e64 v25, null, s21, v20, vcc_lo
	global_store_b8 v[24:25], v27, off
	s_wait_alu 0xfffe
	s_or_b32 exec_lo, exec_lo, s5
	s_and_saveexec_b32 s2, s3
	s_cbranch_execz .LBB12_14
.LBB12_18:                              ;   in Loop: Header=BB12_4 Depth=1
	s_wait_loadcnt 0x0
	v_add_nc_u16 v25, v23, s23
	v_add_co_u32 v23, vcc_lo, v13, s20
	s_wait_alu 0xfffd
	v_add_co_ci_u32_e64 v24, null, s21, v14, vcc_lo
	global_store_b8 v[23:24], v25, off
	s_wait_alu 0xfffe
	s_or_b32 exec_lo, exec_lo, s2
	s_and_saveexec_b32 s2, s4
	s_cbranch_execz .LBB12_3
.LBB12_19:                              ;   in Loop: Header=BB12_4 Depth=1
	s_wait_loadcnt 0x0
	v_add_co_u32 v23, vcc_lo, v7, s20
	v_add_nc_u16 v25, v26, s23
	s_wait_alu 0xfffd
	v_add_co_ci_u32_e64 v24, null, s21, v8, vcc_lo
	global_store_b8 v[23:24], v25, off
	s_branch .LBB12_3
.LBB12_20:
	s_mov_b32 s2, 0
.LBB12_21:
	s_wait_alu 0xfffe
	s_and_not1_b32 vcc_lo, exec_lo, s2
	s_wait_alu 0xfffe
	s_cbranch_vccnz .LBB12_25
; %bb.22:
	v_cmp_gt_i64_e64 s2, 0x10000, s[12:13]
	v_dual_mov_b32 v3, 0 :: v_dual_lshlrev_b32 v2, 2, v0
	s_mov_b32 s4, 0
	s_mov_b32 s5, exec_lo
	s_and_b32 s2, s2, exec_lo
	s_cselect_b32 s3, s13, 0
	s_cselect_b32 s2, s12, 0x10000
	s_wait_alu 0xfffe
	v_cmpx_gt_i64_e64 s[2:3], v[2:3]
	s_cbranch_execz .LBB12_25
; %bb.23:
	s_load_b32 s0, s[0:1], 0xc5c
	v_add_co_u32 v2, s1, s10, v2
	v_mov_b32_e32 v1, v3
	v_add_co_ci_u32_e64 v3, null, s11, 0, s1
	s_lshr_b32 s10, s22, 16
	s_wait_kmcnt 0x0
	s_and_b32 s1, s0, 0xffff
	s_wait_alu 0xfffe
	s_lshl_b32 s5, s1, 2
.LBB12_24:                              ; =>This Inner Loop Header: Depth=1
	v_add_co_u32 v4, vcc_lo, s6, v2
	s_wait_alu 0xfffd
	v_add_co_ci_u32_e64 v5, null, s7, v3, vcc_lo
	v_add_co_u32 v0, vcc_lo, v0, s1
	s_wait_alu 0xfffd
	v_add_co_ci_u32_e64 v1, null, 0, v1, vcc_lo
	global_load_b32 v4, v[4:5], off
	s_wait_loadcnt 0x0
	v_lshrrev_b32_e32 v5, 8, v4
	v_lshrrev_b32_e32 v6, 24, v4
	;; [unrolled: 1-line block ×3, first 2 shown]
	v_add_nc_u16 v4, s10, v4
	s_delay_alu instid0(VALU_DEP_4) | instskip(NEXT) | instid1(VALU_DEP_4)
	v_add_nc_u16 v5, s10, v5
	v_add_nc_u16 v6, s10, v6
	s_delay_alu instid0(VALU_DEP_4) | instskip(NEXT) | instid1(VALU_DEP_4)
	v_add_nc_u16 v7, s10, v7
	v_and_b32_e32 v8, 0xff, v4
	v_add_co_u32 v4, vcc_lo, s8, v2
	v_lshlrev_b16 v5, 8, v5
	v_lshlrev_b16 v9, 8, v6
	v_and_b32_e32 v10, 0xff, v7
	v_lshlrev_b64_e32 v[6:7], 2, v[0:1]
	s_wait_alu 0xfffe
	v_add_co_u32 v2, s0, v2, s5
	v_or_b32_e32 v8, v8, v5
	v_or_b32_e32 v9, v10, v9
	s_wait_alu 0xfffd
	v_add_co_ci_u32_e64 v5, null, s9, v3, vcc_lo
	v_cmp_le_i64_e32 vcc_lo, s[2:3], v[6:7]
	v_and_b32_e32 v8, 0xffff, v8
	v_lshlrev_b32_e32 v9, 16, v9
	s_wait_alu 0xf1ff
	v_add_co_ci_u32_e64 v3, null, 0, v3, s0
	s_or_b32 s4, vcc_lo, s4
	v_or_b32_e32 v6, v8, v9
	global_store_b32 v[4:5], v6, off
	s_wait_alu 0xfffe
	s_and_not1_b32 exec_lo, exec_lo, s4
	s_cbranch_execnz .LBB12_24
.LBB12_25:
	s_endpgm
	.section	.rodata,"a",@progbits
	.p2align	6, 0x0
	.amdhsa_kernel _ZN2at6native12_GLOBAL__N_125multi_tensor_apply_kernelINS1_18TensorListMetadataILi2EEENS1_21BinaryOpScalarFunctorIhLi2ELi1ELi1EEEJSt4plusIhEhEEEvT_T0_DpT1_
		.amdhsa_group_segment_fixed_size 0
		.amdhsa_private_segment_fixed_size 0
		.amdhsa_kernarg_size 3408
		.amdhsa_user_sgpr_count 2
		.amdhsa_user_sgpr_dispatch_ptr 0
		.amdhsa_user_sgpr_queue_ptr 0
		.amdhsa_user_sgpr_kernarg_segment_ptr 1
		.amdhsa_user_sgpr_dispatch_id 0
		.amdhsa_user_sgpr_private_segment_size 0
		.amdhsa_wavefront_size32 1
		.amdhsa_uses_dynamic_stack 0
		.amdhsa_enable_private_segment 0
		.amdhsa_system_sgpr_workgroup_id_x 1
		.amdhsa_system_sgpr_workgroup_id_y 0
		.amdhsa_system_sgpr_workgroup_id_z 0
		.amdhsa_system_sgpr_workgroup_info 0
		.amdhsa_system_vgpr_workitem_id 0
		.amdhsa_next_free_vgpr 29
		.amdhsa_next_free_sgpr 25
		.amdhsa_reserve_vcc 1
		.amdhsa_float_round_mode_32 0
		.amdhsa_float_round_mode_16_64 0
		.amdhsa_float_denorm_mode_32 3
		.amdhsa_float_denorm_mode_16_64 3
		.amdhsa_fp16_overflow 0
		.amdhsa_workgroup_processor_mode 1
		.amdhsa_memory_ordered 1
		.amdhsa_forward_progress 1
		.amdhsa_inst_pref_size 13
		.amdhsa_round_robin_scheduling 0
		.amdhsa_exception_fp_ieee_invalid_op 0
		.amdhsa_exception_fp_denorm_src 0
		.amdhsa_exception_fp_ieee_div_zero 0
		.amdhsa_exception_fp_ieee_overflow 0
		.amdhsa_exception_fp_ieee_underflow 0
		.amdhsa_exception_fp_ieee_inexact 0
		.amdhsa_exception_int_div_zero 0
	.end_amdhsa_kernel
	.section	.text._ZN2at6native12_GLOBAL__N_125multi_tensor_apply_kernelINS1_18TensorListMetadataILi2EEENS1_21BinaryOpScalarFunctorIhLi2ELi1ELi1EEEJSt4plusIhEhEEEvT_T0_DpT1_,"axG",@progbits,_ZN2at6native12_GLOBAL__N_125multi_tensor_apply_kernelINS1_18TensorListMetadataILi2EEENS1_21BinaryOpScalarFunctorIhLi2ELi1ELi1EEEJSt4plusIhEhEEEvT_T0_DpT1_,comdat
.Lfunc_end12:
	.size	_ZN2at6native12_GLOBAL__N_125multi_tensor_apply_kernelINS1_18TensorListMetadataILi2EEENS1_21BinaryOpScalarFunctorIhLi2ELi1ELi1EEEJSt4plusIhEhEEEvT_T0_DpT1_, .Lfunc_end12-_ZN2at6native12_GLOBAL__N_125multi_tensor_apply_kernelINS1_18TensorListMetadataILi2EEENS1_21BinaryOpScalarFunctorIhLi2ELi1ELi1EEEJSt4plusIhEhEEEvT_T0_DpT1_
                                        ; -- End function
	.set _ZN2at6native12_GLOBAL__N_125multi_tensor_apply_kernelINS1_18TensorListMetadataILi2EEENS1_21BinaryOpScalarFunctorIhLi2ELi1ELi1EEEJSt4plusIhEhEEEvT_T0_DpT1_.num_vgpr, 29
	.set _ZN2at6native12_GLOBAL__N_125multi_tensor_apply_kernelINS1_18TensorListMetadataILi2EEENS1_21BinaryOpScalarFunctorIhLi2ELi1ELi1EEEJSt4plusIhEhEEEvT_T0_DpT1_.num_agpr, 0
	.set _ZN2at6native12_GLOBAL__N_125multi_tensor_apply_kernelINS1_18TensorListMetadataILi2EEENS1_21BinaryOpScalarFunctorIhLi2ELi1ELi1EEEJSt4plusIhEhEEEvT_T0_DpT1_.numbered_sgpr, 25
	.set _ZN2at6native12_GLOBAL__N_125multi_tensor_apply_kernelINS1_18TensorListMetadataILi2EEENS1_21BinaryOpScalarFunctorIhLi2ELi1ELi1EEEJSt4plusIhEhEEEvT_T0_DpT1_.num_named_barrier, 0
	.set _ZN2at6native12_GLOBAL__N_125multi_tensor_apply_kernelINS1_18TensorListMetadataILi2EEENS1_21BinaryOpScalarFunctorIhLi2ELi1ELi1EEEJSt4plusIhEhEEEvT_T0_DpT1_.private_seg_size, 0
	.set _ZN2at6native12_GLOBAL__N_125multi_tensor_apply_kernelINS1_18TensorListMetadataILi2EEENS1_21BinaryOpScalarFunctorIhLi2ELi1ELi1EEEJSt4plusIhEhEEEvT_T0_DpT1_.uses_vcc, 1
	.set _ZN2at6native12_GLOBAL__N_125multi_tensor_apply_kernelINS1_18TensorListMetadataILi2EEENS1_21BinaryOpScalarFunctorIhLi2ELi1ELi1EEEJSt4plusIhEhEEEvT_T0_DpT1_.uses_flat_scratch, 0
	.set _ZN2at6native12_GLOBAL__N_125multi_tensor_apply_kernelINS1_18TensorListMetadataILi2EEENS1_21BinaryOpScalarFunctorIhLi2ELi1ELi1EEEJSt4plusIhEhEEEvT_T0_DpT1_.has_dyn_sized_stack, 0
	.set _ZN2at6native12_GLOBAL__N_125multi_tensor_apply_kernelINS1_18TensorListMetadataILi2EEENS1_21BinaryOpScalarFunctorIhLi2ELi1ELi1EEEJSt4plusIhEhEEEvT_T0_DpT1_.has_recursion, 0
	.set _ZN2at6native12_GLOBAL__N_125multi_tensor_apply_kernelINS1_18TensorListMetadataILi2EEENS1_21BinaryOpScalarFunctorIhLi2ELi1ELi1EEEJSt4plusIhEhEEEvT_T0_DpT1_.has_indirect_call, 0
	.section	.AMDGPU.csdata,"",@progbits
; Kernel info:
; codeLenInByte = 1632
; TotalNumSgprs: 27
; NumVgprs: 29
; ScratchSize: 0
; MemoryBound: 0
; FloatMode: 240
; IeeeMode: 1
; LDSByteSize: 0 bytes/workgroup (compile time only)
; SGPRBlocks: 0
; VGPRBlocks: 3
; NumSGPRsForWavesPerEU: 27
; NumVGPRsForWavesPerEU: 29
; Occupancy: 16
; WaveLimiterHint : 0
; COMPUTE_PGM_RSRC2:SCRATCH_EN: 0
; COMPUTE_PGM_RSRC2:USER_SGPR: 2
; COMPUTE_PGM_RSRC2:TRAP_HANDLER: 0
; COMPUTE_PGM_RSRC2:TGID_X_EN: 1
; COMPUTE_PGM_RSRC2:TGID_Y_EN: 0
; COMPUTE_PGM_RSRC2:TGID_Z_EN: 0
; COMPUTE_PGM_RSRC2:TIDIG_COMP_CNT: 0
	.section	.text._ZN2at6native12_GLOBAL__N_125multi_tensor_apply_kernelINS1_18TensorListMetadataILi2EEENS1_21BinaryOpScalarFunctorIaLi2ELi1ELi1EEEJSt4plusIaEaEEEvT_T0_DpT1_,"axG",@progbits,_ZN2at6native12_GLOBAL__N_125multi_tensor_apply_kernelINS1_18TensorListMetadataILi2EEENS1_21BinaryOpScalarFunctorIaLi2ELi1ELi1EEEJSt4plusIaEaEEEvT_T0_DpT1_,comdat
	.globl	_ZN2at6native12_GLOBAL__N_125multi_tensor_apply_kernelINS1_18TensorListMetadataILi2EEENS1_21BinaryOpScalarFunctorIaLi2ELi1ELi1EEEJSt4plusIaEaEEEvT_T0_DpT1_ ; -- Begin function _ZN2at6native12_GLOBAL__N_125multi_tensor_apply_kernelINS1_18TensorListMetadataILi2EEENS1_21BinaryOpScalarFunctorIaLi2ELi1ELi1EEEJSt4plusIaEaEEEvT_T0_DpT1_
	.p2align	8
	.type	_ZN2at6native12_GLOBAL__N_125multi_tensor_apply_kernelINS1_18TensorListMetadataILi2EEENS1_21BinaryOpScalarFunctorIaLi2ELi1ELi1EEEJSt4plusIaEaEEEvT_T0_DpT1_,@function
_ZN2at6native12_GLOBAL__N_125multi_tensor_apply_kernelINS1_18TensorListMetadataILi2EEENS1_21BinaryOpScalarFunctorIaLi2ELi1ELi1EEEJSt4plusIaEaEEEvT_T0_DpT1_: ; @_ZN2at6native12_GLOBAL__N_125multi_tensor_apply_kernelINS1_18TensorListMetadataILi2EEENS1_21BinaryOpScalarFunctorIaLi2ELi1ELi1EEEJSt4plusIaEaEEEvT_T0_DpT1_
; %bb.0:
	s_load_u8 s6, s[0:1], ttmp9 offset:0x600
	s_mov_b32 s2, ttmp9
	s_mov_b32 s3, 0
	s_delay_alu instid0(SALU_CYCLE_1) | instskip(SKIP_1) | instid1(SALU_CYCLE_1)
	s_mul_u64 s[4:5], s[2:3], 3
	s_add_nc_u64 s[2:3], s[0:1], s[2:3]
	s_add_nc_u64 s[2:3], s[2:3], s[4:5]
	s_load_b32 s2, s[2:3], 0x740
	s_wait_kmcnt 0x0
	s_lshl_b32 s3, s6, 3
	s_clause 0x3
	s_load_b64 s[4:5], s[0:1], s3 offset:0x400
	s_load_b64 s[6:7], s[0:1], s3 offset:0x0
	;; [unrolled: 1-line block ×3, first 2 shown]
	s_load_b32 s22, s[0:1], 0xc48
	s_ashr_i32 s3, s2, 31
	s_delay_alu instid0(SALU_CYCLE_1) | instskip(SKIP_4) | instid1(SALU_CYCLE_1)
	s_lshl_b64 s[10:11], s[2:3], 16
	s_wait_kmcnt 0x0
	s_sub_nc_u64 s[12:13], s[4:5], s[10:11]
	s_add_nc_u64 s[2:3], s[6:7], s[10:11]
	s_or_b32 s3, s4, s8
	s_or_b32 s2, s3, s2
	s_delay_alu instid0(SALU_CYCLE_1) | instskip(NEXT) | instid1(SALU_CYCLE_1)
	s_and_b32 s2, s2, 3
	s_cmp_eq_u32 s2, 0
	s_mov_b32 s2, -1
	s_cbranch_scc1 .LBB13_21
; %bb.1:
	v_cmp_lt_i64_e64 s2, s[12:13], 1
	s_and_b32 vcc_lo, exec_lo, s2
	s_cbranch_vccnz .LBB13_20
; %bb.2:
	s_load_b32 s2, s[0:1], 0xc5c
	v_cmp_gt_i64_e64 s4, 0x10000, s[12:13]
	v_cmp_gt_u64_e64 s16, 0x10000, s[12:13]
	s_mov_b32 s3, 0
	v_add_co_u32 v15, s5, s10, v0
	s_delay_alu instid0(VALU_DEP_1)
	v_add_co_ci_u32_e64 v16, null, s11, 0, s5
	s_and_b32 s4, s4, exec_lo
	s_cselect_b32 s15, s13, 0
	s_cselect_b32 s14, s12, 0x10000
	s_mov_b32 s5, s3
	v_add_co_u32 v1, vcc_lo, s6, v15
	s_delay_alu instid0(VALU_DEP_1)
	v_add_co_ci_u32_e64 v2, null, s7, v16, vcc_lo
	v_add_co_u32 v3, vcc_lo, s8, v15
	s_wait_alu 0xfffd
	v_add_co_ci_u32_e64 v4, null, s9, v16, vcc_lo
	s_wait_kmcnt 0x0
	s_and_b32 s19, s2, 0xffff
	s_and_b32 s2, s16, exec_lo
	s_mul_i32 s4, s19, 3
	s_cselect_b32 s17, s13, 0
	s_wait_alu 0xfffe
	s_add_nc_u64 s[20:21], s[10:11], s[4:5]
	s_cselect_b32 s16, s12, 0x10000
	s_lshl_b32 s2, s19, 1
	v_add_co_u32 v7, s5, s20, v0
	s_wait_alu 0xf1ff
	v_add_co_ci_u32_e64 v8, null, s21, 0, s5
	s_add_nc_u64 s[20:21], s[10:11], s[2:3]
	v_add_co_u32 v5, vcc_lo, s6, v7
	s_wait_alu 0xfffe
	v_add_co_u32 v13, s5, s20, v0
	s_wait_alu 0xf1ff
	v_add_co_ci_u32_e64 v14, null, s21, 0, s5
	s_wait_alu 0xfffd
	v_add_co_ci_u32_e64 v6, null, s7, v8, vcc_lo
	v_add_co_u32 v7, vcc_lo, s8, v7
	s_wait_alu 0xfffd
	v_add_co_ci_u32_e64 v8, null, s9, v8, vcc_lo
	v_add_co_u32 v11, vcc_lo, s6, v13
	;; [unrolled: 3-line block ×4, first 2 shown]
	s_wait_alu 0xfffd
	v_add_co_ci_u32_e64 v20, null, 0, v16, vcc_lo
	v_add_co_u32 v15, s2, s2, v0
	s_delay_alu instid0(VALU_DEP_3)
	v_add_co_u32 v17, vcc_lo, s6, v19
	v_add_co_u32 v9, s4, s4, v0
	s_wait_alu 0xf1ff
	v_add_co_ci_u32_e64 v16, null, 0, 0, s2
	s_wait_alu 0xfffd
	v_add_co_ci_u32_e64 v18, null, s7, v20, vcc_lo
	v_add_co_u32 v19, vcc_lo, s8, v19
	v_add_co_u32 v21, s2, v0, s19
	v_add_co_ci_u32_e64 v10, null, 0, 0, s4
	s_wait_alu 0xfffd
	v_add_co_ci_u32_e64 v20, null, s9, v20, vcc_lo
	s_wait_alu 0xf1ff
	v_add_co_ci_u32_e64 v22, null, 0, 0, s2
	s_lshl_b32 s18, s19, 2
	s_mov_b32 s19, s3
	s_mov_b64 s[20:21], 0
	s_lshr_b32 s23, s22, 16
	s_branch .LBB13_4
.LBB13_3:                               ;   in Loop: Header=BB13_4 Depth=1
	s_wait_alu 0xfffe
	s_or_b32 exec_lo, exec_lo, s2
	s_add_nc_u64 s[20:21], s[20:21], s[18:19]
	s_wait_alu 0xfffe
	v_cmp_lt_i64_e64 s2, s[20:21], s[14:15]
	s_and_b32 vcc_lo, exec_lo, s2
	s_wait_alu 0xfffe
	s_cbranch_vccz .LBB13_20
.LBB13_4:                               ; =>This Inner Loop Header: Depth=1
	s_wait_loadcnt 0x0
	s_wait_alu 0xfffe
	v_add_co_u32 v23, s2, v0, s20
	s_wait_alu 0xf1ff
	v_add_co_ci_u32_e64 v24, null, 0, s21, s2
	s_delay_alu instid0(VALU_DEP_1)
	v_cmp_gt_u64_e32 vcc_lo, s[16:17], v[23:24]
	v_mov_b32_e32 v24, 0
	s_and_saveexec_b32 s3, vcc_lo
	s_cbranch_execz .LBB13_6
; %bb.5:                                ;   in Loop: Header=BB13_4 Depth=1
	v_add_co_u32 v23, s2, v1, s20
	s_wait_alu 0xf1ff
	v_add_co_ci_u32_e64 v24, null, s21, v2, s2
	global_load_u8 v24, v[23:24], off
.LBB13_6:                               ;   in Loop: Header=BB13_4 Depth=1
	s_wait_alu 0xfffe
	s_or_b32 exec_lo, exec_lo, s3
	v_add_co_u32 v25, s2, v21, s20
	s_wait_alu 0xf1ff
	v_add_co_ci_u32_e64 v26, null, s21, v22, s2
	v_mov_b32_e32 v23, 0
	s_delay_alu instid0(VALU_DEP_2)
	v_cmp_gt_u64_e64 s2, s[16:17], v[25:26]
	v_mov_b32_e32 v25, 0
	s_and_saveexec_b32 s4, s2
	s_cbranch_execz .LBB13_8
; %bb.7:                                ;   in Loop: Header=BB13_4 Depth=1
	v_add_co_u32 v25, s3, v17, s20
	s_wait_alu 0xf1ff
	v_add_co_ci_u32_e64 v26, null, s21, v18, s3
	global_load_u8 v25, v[25:26], off
.LBB13_8:                               ;   in Loop: Header=BB13_4 Depth=1
	s_wait_alu 0xfffe
	s_or_b32 exec_lo, exec_lo, s4
	v_add_co_u32 v26, s3, v15, s20
	s_wait_alu 0xf1ff
	v_add_co_ci_u32_e64 v27, null, s21, v16, s3
	s_delay_alu instid0(VALU_DEP_1)
	v_cmp_gt_u64_e64 s3, s[16:17], v[26:27]
	s_and_saveexec_b32 s5, s3
	s_cbranch_execz .LBB13_10
; %bb.9:                                ;   in Loop: Header=BB13_4 Depth=1
	v_add_co_u32 v26, s4, v11, s20
	s_wait_alu 0xf1ff
	v_add_co_ci_u32_e64 v27, null, s21, v12, s4
	global_load_u8 v23, v[26:27], off
.LBB13_10:                              ;   in Loop: Header=BB13_4 Depth=1
	s_wait_alu 0xfffe
	s_or_b32 exec_lo, exec_lo, s5
	v_add_co_u32 v26, s4, v9, s20
	s_wait_alu 0xf1ff
	v_add_co_ci_u32_e64 v27, null, s21, v10, s4
	s_delay_alu instid0(VALU_DEP_1)
	v_cmp_gt_u64_e64 s4, s[16:17], v[26:27]
	v_mov_b32_e32 v26, 0
	s_and_saveexec_b32 s24, s4
	s_cbranch_execnz .LBB13_15
; %bb.11:                               ;   in Loop: Header=BB13_4 Depth=1
	s_or_b32 exec_lo, exec_lo, s24
	s_and_saveexec_b32 s5, vcc_lo
	s_cbranch_execnz .LBB13_16
.LBB13_12:                              ;   in Loop: Header=BB13_4 Depth=1
	s_wait_alu 0xfffe
	s_or_b32 exec_lo, exec_lo, s5
	s_and_saveexec_b32 s5, s2
	s_cbranch_execnz .LBB13_17
.LBB13_13:                              ;   in Loop: Header=BB13_4 Depth=1
	s_wait_alu 0xfffe
	s_or_b32 exec_lo, exec_lo, s5
	s_and_saveexec_b32 s2, s3
	s_cbranch_execnz .LBB13_18
.LBB13_14:                              ;   in Loop: Header=BB13_4 Depth=1
	s_wait_alu 0xfffe
	s_or_b32 exec_lo, exec_lo, s2
	s_and_saveexec_b32 s2, s4
	s_cbranch_execz .LBB13_3
	s_branch .LBB13_19
.LBB13_15:                              ;   in Loop: Header=BB13_4 Depth=1
	v_add_co_u32 v26, s5, v5, s20
	s_wait_alu 0xf1ff
	v_add_co_ci_u32_e64 v27, null, s21, v6, s5
	global_load_u8 v26, v[26:27], off
	s_or_b32 exec_lo, exec_lo, s24
	s_and_saveexec_b32 s5, vcc_lo
	s_cbranch_execz .LBB13_12
.LBB13_16:                              ;   in Loop: Header=BB13_4 Depth=1
	v_add_co_u32 v27, vcc_lo, v3, s20
	s_wait_loadcnt 0x0
	v_add_nc_u16 v24, v24, s23
	s_wait_alu 0xfffd
	v_add_co_ci_u32_e64 v28, null, s21, v4, vcc_lo
	global_store_b8 v[27:28], v24, off
	s_wait_alu 0xfffe
	s_or_b32 exec_lo, exec_lo, s5
	s_and_saveexec_b32 s5, s2
	s_cbranch_execz .LBB13_13
.LBB13_17:                              ;   in Loop: Header=BB13_4 Depth=1
	s_wait_loadcnt 0x0
	v_add_co_u32 v24, vcc_lo, v19, s20
	v_add_nc_u16 v27, v25, s23
	s_wait_alu 0xfffd
	v_add_co_ci_u32_e64 v25, null, s21, v20, vcc_lo
	global_store_b8 v[24:25], v27, off
	s_wait_alu 0xfffe
	s_or_b32 exec_lo, exec_lo, s5
	s_and_saveexec_b32 s2, s3
	s_cbranch_execz .LBB13_14
.LBB13_18:                              ;   in Loop: Header=BB13_4 Depth=1
	s_wait_loadcnt 0x0
	v_add_nc_u16 v25, v23, s23
	v_add_co_u32 v23, vcc_lo, v13, s20
	s_wait_alu 0xfffd
	v_add_co_ci_u32_e64 v24, null, s21, v14, vcc_lo
	global_store_b8 v[23:24], v25, off
	s_wait_alu 0xfffe
	s_or_b32 exec_lo, exec_lo, s2
	s_and_saveexec_b32 s2, s4
	s_cbranch_execz .LBB13_3
.LBB13_19:                              ;   in Loop: Header=BB13_4 Depth=1
	s_wait_loadcnt 0x0
	v_add_co_u32 v23, vcc_lo, v7, s20
	v_add_nc_u16 v25, v26, s23
	s_wait_alu 0xfffd
	v_add_co_ci_u32_e64 v24, null, s21, v8, vcc_lo
	global_store_b8 v[23:24], v25, off
	s_branch .LBB13_3
.LBB13_20:
	s_mov_b32 s2, 0
.LBB13_21:
	s_wait_alu 0xfffe
	s_and_not1_b32 vcc_lo, exec_lo, s2
	s_wait_alu 0xfffe
	s_cbranch_vccnz .LBB13_25
; %bb.22:
	v_cmp_gt_i64_e64 s2, 0x10000, s[12:13]
	v_dual_mov_b32 v3, 0 :: v_dual_lshlrev_b32 v2, 2, v0
	s_mov_b32 s4, 0
	s_mov_b32 s5, exec_lo
	s_and_b32 s2, s2, exec_lo
	s_cselect_b32 s3, s13, 0
	s_cselect_b32 s2, s12, 0x10000
	s_wait_alu 0xfffe
	v_cmpx_gt_i64_e64 s[2:3], v[2:3]
	s_cbranch_execz .LBB13_25
; %bb.23:
	s_load_b32 s0, s[0:1], 0xc5c
	v_add_co_u32 v2, s1, s10, v2
	v_mov_b32_e32 v1, v3
	v_add_co_ci_u32_e64 v3, null, s11, 0, s1
	s_lshr_b32 s10, s22, 16
	s_wait_kmcnt 0x0
	s_and_b32 s1, s0, 0xffff
	s_wait_alu 0xfffe
	s_lshl_b32 s5, s1, 2
.LBB13_24:                              ; =>This Inner Loop Header: Depth=1
	v_add_co_u32 v4, vcc_lo, s6, v2
	s_wait_alu 0xfffd
	v_add_co_ci_u32_e64 v5, null, s7, v3, vcc_lo
	v_add_co_u32 v0, vcc_lo, v0, s1
	s_wait_alu 0xfffd
	v_add_co_ci_u32_e64 v1, null, 0, v1, vcc_lo
	global_load_b32 v4, v[4:5], off
	s_wait_loadcnt 0x0
	v_lshrrev_b32_e32 v5, 8, v4
	v_lshrrev_b32_e32 v6, 24, v4
	;; [unrolled: 1-line block ×3, first 2 shown]
	v_add_nc_u16 v4, s10, v4
	s_delay_alu instid0(VALU_DEP_4) | instskip(NEXT) | instid1(VALU_DEP_4)
	v_add_nc_u16 v5, s10, v5
	v_add_nc_u16 v6, s10, v6
	s_delay_alu instid0(VALU_DEP_4) | instskip(NEXT) | instid1(VALU_DEP_4)
	v_add_nc_u16 v7, s10, v7
	v_and_b32_e32 v8, 0xff, v4
	v_add_co_u32 v4, vcc_lo, s8, v2
	v_lshlrev_b16 v5, 8, v5
	v_lshlrev_b16 v9, 8, v6
	v_and_b32_e32 v10, 0xff, v7
	v_lshlrev_b64_e32 v[6:7], 2, v[0:1]
	s_wait_alu 0xfffe
	v_add_co_u32 v2, s0, v2, s5
	v_or_b32_e32 v8, v8, v5
	v_or_b32_e32 v9, v10, v9
	s_wait_alu 0xfffd
	v_add_co_ci_u32_e64 v5, null, s9, v3, vcc_lo
	v_cmp_le_i64_e32 vcc_lo, s[2:3], v[6:7]
	v_and_b32_e32 v8, 0xffff, v8
	v_lshlrev_b32_e32 v9, 16, v9
	s_wait_alu 0xf1ff
	v_add_co_ci_u32_e64 v3, null, 0, v3, s0
	s_or_b32 s4, vcc_lo, s4
	v_or_b32_e32 v6, v8, v9
	global_store_b32 v[4:5], v6, off
	s_wait_alu 0xfffe
	s_and_not1_b32 exec_lo, exec_lo, s4
	s_cbranch_execnz .LBB13_24
.LBB13_25:
	s_endpgm
	.section	.rodata,"a",@progbits
	.p2align	6, 0x0
	.amdhsa_kernel _ZN2at6native12_GLOBAL__N_125multi_tensor_apply_kernelINS1_18TensorListMetadataILi2EEENS1_21BinaryOpScalarFunctorIaLi2ELi1ELi1EEEJSt4plusIaEaEEEvT_T0_DpT1_
		.amdhsa_group_segment_fixed_size 0
		.amdhsa_private_segment_fixed_size 0
		.amdhsa_kernarg_size 3408
		.amdhsa_user_sgpr_count 2
		.amdhsa_user_sgpr_dispatch_ptr 0
		.amdhsa_user_sgpr_queue_ptr 0
		.amdhsa_user_sgpr_kernarg_segment_ptr 1
		.amdhsa_user_sgpr_dispatch_id 0
		.amdhsa_user_sgpr_private_segment_size 0
		.amdhsa_wavefront_size32 1
		.amdhsa_uses_dynamic_stack 0
		.amdhsa_enable_private_segment 0
		.amdhsa_system_sgpr_workgroup_id_x 1
		.amdhsa_system_sgpr_workgroup_id_y 0
		.amdhsa_system_sgpr_workgroup_id_z 0
		.amdhsa_system_sgpr_workgroup_info 0
		.amdhsa_system_vgpr_workitem_id 0
		.amdhsa_next_free_vgpr 29
		.amdhsa_next_free_sgpr 25
		.amdhsa_reserve_vcc 1
		.amdhsa_float_round_mode_32 0
		.amdhsa_float_round_mode_16_64 0
		.amdhsa_float_denorm_mode_32 3
		.amdhsa_float_denorm_mode_16_64 3
		.amdhsa_fp16_overflow 0
		.amdhsa_workgroup_processor_mode 1
		.amdhsa_memory_ordered 1
		.amdhsa_forward_progress 1
		.amdhsa_inst_pref_size 13
		.amdhsa_round_robin_scheduling 0
		.amdhsa_exception_fp_ieee_invalid_op 0
		.amdhsa_exception_fp_denorm_src 0
		.amdhsa_exception_fp_ieee_div_zero 0
		.amdhsa_exception_fp_ieee_overflow 0
		.amdhsa_exception_fp_ieee_underflow 0
		.amdhsa_exception_fp_ieee_inexact 0
		.amdhsa_exception_int_div_zero 0
	.end_amdhsa_kernel
	.section	.text._ZN2at6native12_GLOBAL__N_125multi_tensor_apply_kernelINS1_18TensorListMetadataILi2EEENS1_21BinaryOpScalarFunctorIaLi2ELi1ELi1EEEJSt4plusIaEaEEEvT_T0_DpT1_,"axG",@progbits,_ZN2at6native12_GLOBAL__N_125multi_tensor_apply_kernelINS1_18TensorListMetadataILi2EEENS1_21BinaryOpScalarFunctorIaLi2ELi1ELi1EEEJSt4plusIaEaEEEvT_T0_DpT1_,comdat
.Lfunc_end13:
	.size	_ZN2at6native12_GLOBAL__N_125multi_tensor_apply_kernelINS1_18TensorListMetadataILi2EEENS1_21BinaryOpScalarFunctorIaLi2ELi1ELi1EEEJSt4plusIaEaEEEvT_T0_DpT1_, .Lfunc_end13-_ZN2at6native12_GLOBAL__N_125multi_tensor_apply_kernelINS1_18TensorListMetadataILi2EEENS1_21BinaryOpScalarFunctorIaLi2ELi1ELi1EEEJSt4plusIaEaEEEvT_T0_DpT1_
                                        ; -- End function
	.set _ZN2at6native12_GLOBAL__N_125multi_tensor_apply_kernelINS1_18TensorListMetadataILi2EEENS1_21BinaryOpScalarFunctorIaLi2ELi1ELi1EEEJSt4plusIaEaEEEvT_T0_DpT1_.num_vgpr, 29
	.set _ZN2at6native12_GLOBAL__N_125multi_tensor_apply_kernelINS1_18TensorListMetadataILi2EEENS1_21BinaryOpScalarFunctorIaLi2ELi1ELi1EEEJSt4plusIaEaEEEvT_T0_DpT1_.num_agpr, 0
	.set _ZN2at6native12_GLOBAL__N_125multi_tensor_apply_kernelINS1_18TensorListMetadataILi2EEENS1_21BinaryOpScalarFunctorIaLi2ELi1ELi1EEEJSt4plusIaEaEEEvT_T0_DpT1_.numbered_sgpr, 25
	.set _ZN2at6native12_GLOBAL__N_125multi_tensor_apply_kernelINS1_18TensorListMetadataILi2EEENS1_21BinaryOpScalarFunctorIaLi2ELi1ELi1EEEJSt4plusIaEaEEEvT_T0_DpT1_.num_named_barrier, 0
	.set _ZN2at6native12_GLOBAL__N_125multi_tensor_apply_kernelINS1_18TensorListMetadataILi2EEENS1_21BinaryOpScalarFunctorIaLi2ELi1ELi1EEEJSt4plusIaEaEEEvT_T0_DpT1_.private_seg_size, 0
	.set _ZN2at6native12_GLOBAL__N_125multi_tensor_apply_kernelINS1_18TensorListMetadataILi2EEENS1_21BinaryOpScalarFunctorIaLi2ELi1ELi1EEEJSt4plusIaEaEEEvT_T0_DpT1_.uses_vcc, 1
	.set _ZN2at6native12_GLOBAL__N_125multi_tensor_apply_kernelINS1_18TensorListMetadataILi2EEENS1_21BinaryOpScalarFunctorIaLi2ELi1ELi1EEEJSt4plusIaEaEEEvT_T0_DpT1_.uses_flat_scratch, 0
	.set _ZN2at6native12_GLOBAL__N_125multi_tensor_apply_kernelINS1_18TensorListMetadataILi2EEENS1_21BinaryOpScalarFunctorIaLi2ELi1ELi1EEEJSt4plusIaEaEEEvT_T0_DpT1_.has_dyn_sized_stack, 0
	.set _ZN2at6native12_GLOBAL__N_125multi_tensor_apply_kernelINS1_18TensorListMetadataILi2EEENS1_21BinaryOpScalarFunctorIaLi2ELi1ELi1EEEJSt4plusIaEaEEEvT_T0_DpT1_.has_recursion, 0
	.set _ZN2at6native12_GLOBAL__N_125multi_tensor_apply_kernelINS1_18TensorListMetadataILi2EEENS1_21BinaryOpScalarFunctorIaLi2ELi1ELi1EEEJSt4plusIaEaEEEvT_T0_DpT1_.has_indirect_call, 0
	.section	.AMDGPU.csdata,"",@progbits
; Kernel info:
; codeLenInByte = 1632
; TotalNumSgprs: 27
; NumVgprs: 29
; ScratchSize: 0
; MemoryBound: 0
; FloatMode: 240
; IeeeMode: 1
; LDSByteSize: 0 bytes/workgroup (compile time only)
; SGPRBlocks: 0
; VGPRBlocks: 3
; NumSGPRsForWavesPerEU: 27
; NumVGPRsForWavesPerEU: 29
; Occupancy: 16
; WaveLimiterHint : 0
; COMPUTE_PGM_RSRC2:SCRATCH_EN: 0
; COMPUTE_PGM_RSRC2:USER_SGPR: 2
; COMPUTE_PGM_RSRC2:TRAP_HANDLER: 0
; COMPUTE_PGM_RSRC2:TGID_X_EN: 1
; COMPUTE_PGM_RSRC2:TGID_Y_EN: 0
; COMPUTE_PGM_RSRC2:TGID_Z_EN: 0
; COMPUTE_PGM_RSRC2:TIDIG_COMP_CNT: 0
	.section	.text._ZN2at6native12_GLOBAL__N_125multi_tensor_apply_kernelINS1_18TensorListMetadataILi2EEENS1_21BinaryOpScalarFunctorIiLi2ELi1ELi1EEEJSt4plusIiEiEEEvT_T0_DpT1_,"axG",@progbits,_ZN2at6native12_GLOBAL__N_125multi_tensor_apply_kernelINS1_18TensorListMetadataILi2EEENS1_21BinaryOpScalarFunctorIiLi2ELi1ELi1EEEJSt4plusIiEiEEEvT_T0_DpT1_,comdat
	.globl	_ZN2at6native12_GLOBAL__N_125multi_tensor_apply_kernelINS1_18TensorListMetadataILi2EEENS1_21BinaryOpScalarFunctorIiLi2ELi1ELi1EEEJSt4plusIiEiEEEvT_T0_DpT1_ ; -- Begin function _ZN2at6native12_GLOBAL__N_125multi_tensor_apply_kernelINS1_18TensorListMetadataILi2EEENS1_21BinaryOpScalarFunctorIiLi2ELi1ELi1EEEJSt4plusIiEiEEEvT_T0_DpT1_
	.p2align	8
	.type	_ZN2at6native12_GLOBAL__N_125multi_tensor_apply_kernelINS1_18TensorListMetadataILi2EEENS1_21BinaryOpScalarFunctorIiLi2ELi1ELi1EEEJSt4plusIiEiEEEvT_T0_DpT1_,@function
_ZN2at6native12_GLOBAL__N_125multi_tensor_apply_kernelINS1_18TensorListMetadataILi2EEENS1_21BinaryOpScalarFunctorIiLi2ELi1ELi1EEEJSt4plusIiEiEEEvT_T0_DpT1_: ; @_ZN2at6native12_GLOBAL__N_125multi_tensor_apply_kernelINS1_18TensorListMetadataILi2EEENS1_21BinaryOpScalarFunctorIiLi2ELi1ELi1EEEJSt4plusIiEiEEEvT_T0_DpT1_
; %bb.0:
	s_load_u8 s8, s[0:1], ttmp9 offset:0x600
	s_mov_b32 s2, ttmp9
	s_mov_b32 s3, 0
	s_delay_alu instid0(SALU_CYCLE_1)
	s_mul_u64 s[4:5], s[2:3], 3
	s_add_nc_u64 s[6:7], s[0:1], s[2:3]
	s_mov_b32 s15, s3
	s_add_nc_u64 s[4:5], s[6:7], s[4:5]
	s_mov_b32 s17, s3
	s_load_b32 s4, s[4:5], 0x740
	s_wait_kmcnt 0x0
	s_lshl_b32 s2, s8, 3
	s_clause 0x3
	s_load_b64 s[6:7], s[0:1], s2 offset:0x0
	s_load_b64 s[8:9], s[0:1], s2 offset:0x200
	;; [unrolled: 1-line block ×3, first 2 shown]
	s_load_b32 s22, s[0:1], 0xc4c
	s_ashr_i32 s5, s4, 31
	s_delay_alu instid0(SALU_CYCLE_1)
	s_lshl_b64 s[10:11], s[4:5], 18
	s_lshl_b64 s[4:5], s[4:5], 16
	s_wait_kmcnt 0x0
	s_add_nc_u64 s[18:19], s[6:7], s[10:11]
	s_and_b32 s14, s8, 15
	s_and_b32 s16, s12, 3
	;; [unrolled: 1-line block ×3, first 2 shown]
	s_or_b64 s[14:15], s[14:15], s[16:17]
	s_sub_nc_u64 s[12:13], s[12:13], s[4:5]
	s_or_b64 s[2:3], s[14:15], s[2:3]
	s_delay_alu instid0(SALU_CYCLE_1)
	s_cmp_eq_u64 s[2:3], 0
	s_mov_b32 s2, -1
	s_cbranch_scc1 .LBB14_21
; %bb.1:
	v_cmp_lt_i64_e64 s2, s[12:13], 1
	s_and_b32 vcc_lo, exec_lo, s2
	s_cbranch_vccnz .LBB14_20
; %bb.2:
	s_load_b32 s2, s[0:1], 0xc5c
	v_cmp_gt_i64_e64 s3, 0x10000, s[12:13]
	v_dual_mov_b32 v10, 0 :: v_dual_lshlrev_b32 v9, 2, v0
	v_cmp_gt_u64_e64 s4, 0x10000, s[12:13]
	s_mov_b32 s15, 0
	s_mov_b64 s[20:21], 0
	s_and_b32 s3, s3, exec_lo
	v_add_co_u32 v3, s3, s8, v9
	v_add_co_u32 v1, s5, s6, v9
	s_cselect_b32 s17, s13, 0
	s_cselect_b32 s16, s12, 0x10000
	v_add_co_ci_u32_e64 v4, null, s9, 0, s3
	v_add_co_ci_u32_e64 v2, null, s7, 0, s5
	s_wait_kmcnt 0x0
	s_and_b32 s2, s2, 0xffff
	s_and_b32 s3, s4, exec_lo
	s_cselect_b32 s19, s13, 0
	s_cselect_b32 s18, s12, 0x10000
	s_wait_alu 0xfffe
	s_mul_i32 s4, s2, 3
	s_lshl_b32 s5, s2, 3
	v_mad_co_u64_u32 v[7:8], null, s2, 12, v[9:10]
	s_wait_alu 0xfffe
	v_add_co_u32 v14, s5, s5, v9
	v_add_co_u32 v9, s4, s4, v0
	s_wait_alu 0xf1ff
	v_add_co_ci_u32_e64 v10, null, 0, 0, s4
	v_add_co_u32 v13, s4, v0, s2
	s_lshl_b32 s3, s2, 1
	v_add_co_u32 v5, vcc_lo, s6, v7
	v_lshlrev_b32_e32 v21, 2, v13
	v_add_co_ci_u32_e64 v15, null, 0, 0, s5
	v_add_co_ci_u32_e64 v6, null, s7, v8, vcc_lo
	v_add_co_u32 v7, vcc_lo, s8, v7
	s_wait_alu 0xfffe
	v_add_co_u32 v17, s3, s3, v0
	s_wait_alu 0xfffd
	v_add_co_ci_u32_e64 v8, null, s9, v8, vcc_lo
	v_add_co_u32 v11, vcc_lo, s6, v14
	s_wait_alu 0xf1ff
	v_add_co_ci_u32_e64 v18, null, 0, 0, s3
	v_add_co_u32 v19, s3, s6, v21
	s_wait_alu 0xfffd
	v_add_co_ci_u32_e64 v12, null, s7, v15, vcc_lo
	v_add_co_u32 v14, vcc_lo, s8, v14
	s_wait_alu 0xf1ff
	v_add_co_ci_u32_e64 v20, null, s7, 0, s3
	v_add_co_u32 v21, s3, s8, v21
	s_wait_alu 0xfffd
	v_add_co_ci_u32_e64 v15, null, s9, v15, vcc_lo
	v_add_co_ci_u32_e64 v16, null, 0, 0, s4
	s_wait_alu 0xf1ff
	v_add_co_ci_u32_e64 v22, null, s9, 0, s3
	s_lshl_b32 s14, s2, 2
	s_lshl_b32 s23, s2, 4
	s_branch .LBB14_4
.LBB14_3:                               ;   in Loop: Header=BB14_4 Depth=1
	s_wait_alu 0xfffe
	s_or_b32 exec_lo, exec_lo, s2
	v_add_co_u32 v1, vcc_lo, v1, s23
	s_wait_alu 0xfffd
	v_add_co_ci_u32_e64 v2, null, 0, v2, vcc_lo
	v_add_co_u32 v3, vcc_lo, v3, s23
	s_wait_alu 0xfffd
	v_add_co_ci_u32_e64 v4, null, 0, v4, vcc_lo
	;; [unrolled: 3-line block ×5, first 2 shown]
	v_add_co_u32 v14, vcc_lo, v14, s23
	s_add_nc_u64 s[20:21], s[20:21], s[14:15]
	s_wait_alu 0xfffd
	v_add_co_ci_u32_e64 v15, null, 0, v15, vcc_lo
	v_add_co_u32 v19, vcc_lo, v19, s23
	s_wait_alu 0xfffe
	v_cmp_lt_i64_e64 s2, s[20:21], s[16:17]
	s_wait_alu 0xfffd
	v_add_co_ci_u32_e64 v20, null, 0, v20, vcc_lo
	v_add_co_u32 v21, vcc_lo, v21, s23
	s_wait_alu 0xfffd
	v_add_co_ci_u32_e64 v22, null, 0, v22, vcc_lo
	s_and_b32 vcc_lo, exec_lo, s2
	s_wait_alu 0xfffe
	s_cbranch_vccz .LBB14_20
.LBB14_4:                               ; =>This Inner Loop Header: Depth=1
	s_wait_loadcnt 0x0
	v_add_co_u32 v23, s2, v0, s20
	s_wait_alu 0xf1ff
	v_add_co_ci_u32_e64 v24, null, 0, s21, s2
	s_delay_alu instid0(VALU_DEP_1)
	v_cmp_gt_u64_e32 vcc_lo, s[18:19], v[23:24]
	v_mov_b32_e32 v24, 0
	s_and_saveexec_b32 s3, vcc_lo
	s_cbranch_execz .LBB14_6
; %bb.5:                                ;   in Loop: Header=BB14_4 Depth=1
	v_add_co_u32 v23, s2, v1, s10
	s_wait_alu 0xf1ff
	v_add_co_ci_u32_e64 v24, null, s11, v2, s2
	global_load_b32 v24, v[23:24], off
.LBB14_6:                               ;   in Loop: Header=BB14_4 Depth=1
	s_wait_alu 0xfffe
	s_or_b32 exec_lo, exec_lo, s3
	v_add_co_u32 v25, s2, v13, s20
	s_wait_alu 0xf1ff
	v_add_co_ci_u32_e64 v26, null, s21, v16, s2
	v_mov_b32_e32 v23, 0
	s_delay_alu instid0(VALU_DEP_2)
	v_cmp_gt_u64_e64 s2, s[18:19], v[25:26]
	v_mov_b32_e32 v25, 0
	s_and_saveexec_b32 s4, s2
	s_cbranch_execz .LBB14_8
; %bb.7:                                ;   in Loop: Header=BB14_4 Depth=1
	v_add_co_u32 v25, s3, v19, s10
	s_wait_alu 0xf1ff
	v_add_co_ci_u32_e64 v26, null, s11, v20, s3
	global_load_b32 v25, v[25:26], off
.LBB14_8:                               ;   in Loop: Header=BB14_4 Depth=1
	s_wait_alu 0xfffe
	s_or_b32 exec_lo, exec_lo, s4
	v_add_co_u32 v26, s3, v17, s20
	s_wait_alu 0xf1ff
	v_add_co_ci_u32_e64 v27, null, s21, v18, s3
	s_delay_alu instid0(VALU_DEP_1)
	v_cmp_gt_u64_e64 s3, s[18:19], v[26:27]
	s_and_saveexec_b32 s5, s3
	s_cbranch_execz .LBB14_10
; %bb.9:                                ;   in Loop: Header=BB14_4 Depth=1
	v_add_co_u32 v26, s4, v11, s10
	s_wait_alu 0xf1ff
	v_add_co_ci_u32_e64 v27, null, s11, v12, s4
	global_load_b32 v23, v[26:27], off
.LBB14_10:                              ;   in Loop: Header=BB14_4 Depth=1
	s_wait_alu 0xfffe
	s_or_b32 exec_lo, exec_lo, s5
	v_add_co_u32 v26, s4, v9, s20
	s_wait_alu 0xf1ff
	v_add_co_ci_u32_e64 v27, null, s21, v10, s4
	s_delay_alu instid0(VALU_DEP_1)
	v_cmp_gt_u64_e64 s4, s[18:19], v[26:27]
	v_mov_b32_e32 v26, 0
	s_and_saveexec_b32 s24, s4
	s_cbranch_execnz .LBB14_15
; %bb.11:                               ;   in Loop: Header=BB14_4 Depth=1
	s_or_b32 exec_lo, exec_lo, s24
	s_and_saveexec_b32 s5, vcc_lo
	s_cbranch_execnz .LBB14_16
.LBB14_12:                              ;   in Loop: Header=BB14_4 Depth=1
	s_wait_alu 0xfffe
	s_or_b32 exec_lo, exec_lo, s5
	s_and_saveexec_b32 s5, s2
	s_cbranch_execnz .LBB14_17
.LBB14_13:                              ;   in Loop: Header=BB14_4 Depth=1
	s_wait_alu 0xfffe
	s_or_b32 exec_lo, exec_lo, s5
	s_and_saveexec_b32 s2, s3
	s_cbranch_execnz .LBB14_18
.LBB14_14:                              ;   in Loop: Header=BB14_4 Depth=1
	s_wait_alu 0xfffe
	s_or_b32 exec_lo, exec_lo, s2
	s_and_saveexec_b32 s2, s4
	s_cbranch_execz .LBB14_3
	s_branch .LBB14_19
.LBB14_15:                              ;   in Loop: Header=BB14_4 Depth=1
	v_add_co_u32 v26, s5, v5, s10
	s_wait_alu 0xf1ff
	v_add_co_ci_u32_e64 v27, null, s11, v6, s5
	global_load_b32 v26, v[26:27], off
	s_or_b32 exec_lo, exec_lo, s24
	s_and_saveexec_b32 s5, vcc_lo
	s_cbranch_execz .LBB14_12
.LBB14_16:                              ;   in Loop: Header=BB14_4 Depth=1
	v_add_co_u32 v27, vcc_lo, v3, s10
	s_wait_loadcnt 0x0
	v_add_nc_u32_e32 v24, s22, v24
	s_wait_alu 0xfffd
	v_add_co_ci_u32_e64 v28, null, s11, v4, vcc_lo
	global_store_b32 v[27:28], v24, off
	s_wait_alu 0xfffe
	s_or_b32 exec_lo, exec_lo, s5
	s_and_saveexec_b32 s5, s2
	s_cbranch_execz .LBB14_13
.LBB14_17:                              ;   in Loop: Header=BB14_4 Depth=1
	s_wait_loadcnt 0x0
	v_add_co_u32 v24, vcc_lo, v21, s10
	v_add_nc_u32_e32 v27, s22, v25
	s_wait_alu 0xfffd
	v_add_co_ci_u32_e64 v25, null, s11, v22, vcc_lo
	global_store_b32 v[24:25], v27, off
	s_wait_alu 0xfffe
	s_or_b32 exec_lo, exec_lo, s5
	s_and_saveexec_b32 s2, s3
	s_cbranch_execz .LBB14_14
.LBB14_18:                              ;   in Loop: Header=BB14_4 Depth=1
	s_wait_loadcnt 0x0
	v_add_nc_u32_e32 v25, s22, v23
	v_add_co_u32 v23, vcc_lo, v14, s10
	s_wait_alu 0xfffd
	v_add_co_ci_u32_e64 v24, null, s11, v15, vcc_lo
	global_store_b32 v[23:24], v25, off
	s_wait_alu 0xfffe
	s_or_b32 exec_lo, exec_lo, s2
	s_and_saveexec_b32 s2, s4
	s_cbranch_execz .LBB14_3
.LBB14_19:                              ;   in Loop: Header=BB14_4 Depth=1
	s_wait_loadcnt 0x0
	v_add_co_u32 v23, vcc_lo, v7, s10
	v_add_nc_u32_e32 v25, s22, v26
	s_wait_alu 0xfffd
	v_add_co_ci_u32_e64 v24, null, s11, v8, vcc_lo
	global_store_b32 v[23:24], v25, off
	s_branch .LBB14_3
.LBB14_20:
	s_mov_b32 s2, 0
.LBB14_21:
	s_wait_alu 0xfffe
	s_and_not1_b32 vcc_lo, exec_lo, s2
	s_wait_alu 0xfffe
	s_cbranch_vccnz .LBB14_25
; %bb.22:
	v_cmp_gt_i64_e64 s2, 0x10000, s[12:13]
	v_dual_mov_b32 v2, 0 :: v_dual_lshlrev_b32 v1, 2, v0
	s_mov_b32 s4, 0
	s_mov_b32 s5, exec_lo
	s_and_b32 s2, s2, exec_lo
	s_cselect_b32 s3, s13, 0
	s_cselect_b32 s2, s12, 0x10000
	s_wait_alu 0xfffe
	v_cmpx_gt_i64_e64 s[2:3], v[1:2]
	s_cbranch_execz .LBB14_25
; %bb.23:
	s_load_b32 s0, s[0:1], 0xc5c
	v_lshlrev_b32_e32 v3, 4, v0
	v_mov_b32_e32 v1, v2
	s_delay_alu instid0(VALU_DEP_2) | instskip(NEXT) | instid1(VALU_DEP_1)
	v_add_co_u32 v2, s1, s10, v3
	v_add_co_ci_u32_e64 v3, null, s11, 0, s1
	s_wait_kmcnt 0x0
	s_and_b32 s1, s0, 0xffff
	s_wait_alu 0xfffe
	s_lshl_b32 s5, s1, 4
.LBB14_24:                              ; =>This Inner Loop Header: Depth=1
	v_add_co_u32 v4, vcc_lo, s6, v2
	s_wait_alu 0xfffd
	v_add_co_ci_u32_e64 v5, null, s7, v3, vcc_lo
	v_add_co_u32 v0, vcc_lo, v0, s1
	s_wait_alu 0xfffd
	v_add_co_ci_u32_e64 v1, null, 0, v1, vcc_lo
	global_load_b128 v[4:7], v[4:5], off
	v_add_co_u32 v8, vcc_lo, s8, v2
	v_lshlrev_b64_e32 v[10:11], 2, v[0:1]
	s_wait_alu 0xfffd
	v_add_co_ci_u32_e64 v9, null, s9, v3, vcc_lo
	s_wait_alu 0xfffe
	v_add_co_u32 v2, vcc_lo, v2, s5
	s_wait_alu 0xfffd
	v_add_co_ci_u32_e64 v3, null, 0, v3, vcc_lo
	v_cmp_le_i64_e64 s0, s[2:3], v[10:11]
	s_or_b32 s4, s0, s4
	s_wait_loadcnt 0x0
	v_add_nc_u32_e32 v4, s22, v4
	v_add_nc_u32_e32 v5, s22, v5
	;; [unrolled: 1-line block ×4, first 2 shown]
	global_store_b128 v[8:9], v[4:7], off
	s_wait_alu 0xfffe
	s_and_not1_b32 exec_lo, exec_lo, s4
	s_cbranch_execnz .LBB14_24
.LBB14_25:
	s_endpgm
	.section	.rodata,"a",@progbits
	.p2align	6, 0x0
	.amdhsa_kernel _ZN2at6native12_GLOBAL__N_125multi_tensor_apply_kernelINS1_18TensorListMetadataILi2EEENS1_21BinaryOpScalarFunctorIiLi2ELi1ELi1EEEJSt4plusIiEiEEEvT_T0_DpT1_
		.amdhsa_group_segment_fixed_size 0
		.amdhsa_private_segment_fixed_size 0
		.amdhsa_kernarg_size 3408
		.amdhsa_user_sgpr_count 2
		.amdhsa_user_sgpr_dispatch_ptr 0
		.amdhsa_user_sgpr_queue_ptr 0
		.amdhsa_user_sgpr_kernarg_segment_ptr 1
		.amdhsa_user_sgpr_dispatch_id 0
		.amdhsa_user_sgpr_private_segment_size 0
		.amdhsa_wavefront_size32 1
		.amdhsa_uses_dynamic_stack 0
		.amdhsa_enable_private_segment 0
		.amdhsa_system_sgpr_workgroup_id_x 1
		.amdhsa_system_sgpr_workgroup_id_y 0
		.amdhsa_system_sgpr_workgroup_id_z 0
		.amdhsa_system_sgpr_workgroup_info 0
		.amdhsa_system_vgpr_workitem_id 0
		.amdhsa_next_free_vgpr 29
		.amdhsa_next_free_sgpr 25
		.amdhsa_reserve_vcc 1
		.amdhsa_float_round_mode_32 0
		.amdhsa_float_round_mode_16_64 0
		.amdhsa_float_denorm_mode_32 3
		.amdhsa_float_denorm_mode_16_64 3
		.amdhsa_fp16_overflow 0
		.amdhsa_workgroup_processor_mode 1
		.amdhsa_memory_ordered 1
		.amdhsa_forward_progress 1
		.amdhsa_inst_pref_size 13
		.amdhsa_round_robin_scheduling 0
		.amdhsa_exception_fp_ieee_invalid_op 0
		.amdhsa_exception_fp_denorm_src 0
		.amdhsa_exception_fp_ieee_div_zero 0
		.amdhsa_exception_fp_ieee_overflow 0
		.amdhsa_exception_fp_ieee_underflow 0
		.amdhsa_exception_fp_ieee_inexact 0
		.amdhsa_exception_int_div_zero 0
	.end_amdhsa_kernel
	.section	.text._ZN2at6native12_GLOBAL__N_125multi_tensor_apply_kernelINS1_18TensorListMetadataILi2EEENS1_21BinaryOpScalarFunctorIiLi2ELi1ELi1EEEJSt4plusIiEiEEEvT_T0_DpT1_,"axG",@progbits,_ZN2at6native12_GLOBAL__N_125multi_tensor_apply_kernelINS1_18TensorListMetadataILi2EEENS1_21BinaryOpScalarFunctorIiLi2ELi1ELi1EEEJSt4plusIiEiEEEvT_T0_DpT1_,comdat
.Lfunc_end14:
	.size	_ZN2at6native12_GLOBAL__N_125multi_tensor_apply_kernelINS1_18TensorListMetadataILi2EEENS1_21BinaryOpScalarFunctorIiLi2ELi1ELi1EEEJSt4plusIiEiEEEvT_T0_DpT1_, .Lfunc_end14-_ZN2at6native12_GLOBAL__N_125multi_tensor_apply_kernelINS1_18TensorListMetadataILi2EEENS1_21BinaryOpScalarFunctorIiLi2ELi1ELi1EEEJSt4plusIiEiEEEvT_T0_DpT1_
                                        ; -- End function
	.set _ZN2at6native12_GLOBAL__N_125multi_tensor_apply_kernelINS1_18TensorListMetadataILi2EEENS1_21BinaryOpScalarFunctorIiLi2ELi1ELi1EEEJSt4plusIiEiEEEvT_T0_DpT1_.num_vgpr, 29
	.set _ZN2at6native12_GLOBAL__N_125multi_tensor_apply_kernelINS1_18TensorListMetadataILi2EEENS1_21BinaryOpScalarFunctorIiLi2ELi1ELi1EEEJSt4plusIiEiEEEvT_T0_DpT1_.num_agpr, 0
	.set _ZN2at6native12_GLOBAL__N_125multi_tensor_apply_kernelINS1_18TensorListMetadataILi2EEENS1_21BinaryOpScalarFunctorIiLi2ELi1ELi1EEEJSt4plusIiEiEEEvT_T0_DpT1_.numbered_sgpr, 25
	.set _ZN2at6native12_GLOBAL__N_125multi_tensor_apply_kernelINS1_18TensorListMetadataILi2EEENS1_21BinaryOpScalarFunctorIiLi2ELi1ELi1EEEJSt4plusIiEiEEEvT_T0_DpT1_.num_named_barrier, 0
	.set _ZN2at6native12_GLOBAL__N_125multi_tensor_apply_kernelINS1_18TensorListMetadataILi2EEENS1_21BinaryOpScalarFunctorIiLi2ELi1ELi1EEEJSt4plusIiEiEEEvT_T0_DpT1_.private_seg_size, 0
	.set _ZN2at6native12_GLOBAL__N_125multi_tensor_apply_kernelINS1_18TensorListMetadataILi2EEENS1_21BinaryOpScalarFunctorIiLi2ELi1ELi1EEEJSt4plusIiEiEEEvT_T0_DpT1_.uses_vcc, 1
	.set _ZN2at6native12_GLOBAL__N_125multi_tensor_apply_kernelINS1_18TensorListMetadataILi2EEENS1_21BinaryOpScalarFunctorIiLi2ELi1ELi1EEEJSt4plusIiEiEEEvT_T0_DpT1_.uses_flat_scratch, 0
	.set _ZN2at6native12_GLOBAL__N_125multi_tensor_apply_kernelINS1_18TensorListMetadataILi2EEENS1_21BinaryOpScalarFunctorIiLi2ELi1ELi1EEEJSt4plusIiEiEEEvT_T0_DpT1_.has_dyn_sized_stack, 0
	.set _ZN2at6native12_GLOBAL__N_125multi_tensor_apply_kernelINS1_18TensorListMetadataILi2EEENS1_21BinaryOpScalarFunctorIiLi2ELi1ELi1EEEJSt4plusIiEiEEEvT_T0_DpT1_.has_recursion, 0
	.set _ZN2at6native12_GLOBAL__N_125multi_tensor_apply_kernelINS1_18TensorListMetadataILi2EEENS1_21BinaryOpScalarFunctorIiLi2ELi1ELi1EEEJSt4plusIiEiEEEvT_T0_DpT1_.has_indirect_call, 0
	.section	.AMDGPU.csdata,"",@progbits
; Kernel info:
; codeLenInByte = 1640
; TotalNumSgprs: 27
; NumVgprs: 29
; ScratchSize: 0
; MemoryBound: 0
; FloatMode: 240
; IeeeMode: 1
; LDSByteSize: 0 bytes/workgroup (compile time only)
; SGPRBlocks: 0
; VGPRBlocks: 3
; NumSGPRsForWavesPerEU: 27
; NumVGPRsForWavesPerEU: 29
; Occupancy: 16
; WaveLimiterHint : 0
; COMPUTE_PGM_RSRC2:SCRATCH_EN: 0
; COMPUTE_PGM_RSRC2:USER_SGPR: 2
; COMPUTE_PGM_RSRC2:TRAP_HANDLER: 0
; COMPUTE_PGM_RSRC2:TGID_X_EN: 1
; COMPUTE_PGM_RSRC2:TGID_Y_EN: 0
; COMPUTE_PGM_RSRC2:TGID_Z_EN: 0
; COMPUTE_PGM_RSRC2:TIDIG_COMP_CNT: 0
	.section	.text._ZN2at6native12_GLOBAL__N_125multi_tensor_apply_kernelINS1_18TensorListMetadataILi2EEENS1_21BinaryOpScalarFunctorIlLi2ELi1ELi1EEEJSt4plusIlElEEEvT_T0_DpT1_,"axG",@progbits,_ZN2at6native12_GLOBAL__N_125multi_tensor_apply_kernelINS1_18TensorListMetadataILi2EEENS1_21BinaryOpScalarFunctorIlLi2ELi1ELi1EEEJSt4plusIlElEEEvT_T0_DpT1_,comdat
	.globl	_ZN2at6native12_GLOBAL__N_125multi_tensor_apply_kernelINS1_18TensorListMetadataILi2EEENS1_21BinaryOpScalarFunctorIlLi2ELi1ELi1EEEJSt4plusIlElEEEvT_T0_DpT1_ ; -- Begin function _ZN2at6native12_GLOBAL__N_125multi_tensor_apply_kernelINS1_18TensorListMetadataILi2EEENS1_21BinaryOpScalarFunctorIlLi2ELi1ELi1EEEJSt4plusIlElEEEvT_T0_DpT1_
	.p2align	8
	.type	_ZN2at6native12_GLOBAL__N_125multi_tensor_apply_kernelINS1_18TensorListMetadataILi2EEENS1_21BinaryOpScalarFunctorIlLi2ELi1ELi1EEEJSt4plusIlElEEEvT_T0_DpT1_,@function
_ZN2at6native12_GLOBAL__N_125multi_tensor_apply_kernelINS1_18TensorListMetadataILi2EEENS1_21BinaryOpScalarFunctorIlLi2ELi1ELi1EEEJSt4plusIlElEEEvT_T0_DpT1_: ; @_ZN2at6native12_GLOBAL__N_125multi_tensor_apply_kernelINS1_18TensorListMetadataILi2EEENS1_21BinaryOpScalarFunctorIlLi2ELi1ELi1EEEJSt4plusIlElEEEvT_T0_DpT1_
; %bb.0:
	s_load_u8 s8, s[0:1], ttmp9 offset:0x600
	s_mov_b32 s2, ttmp9
	s_mov_b32 s3, 0
	s_delay_alu instid0(SALU_CYCLE_1)
	s_mul_u64 s[4:5], s[2:3], 3
	s_add_nc_u64 s[6:7], s[0:1], s[2:3]
	s_mov_b32 s17, s3
	s_add_nc_u64 s[4:5], s[6:7], s[4:5]
	s_mov_b32 s19, s3
	s_load_b32 s4, s[4:5], 0x740
	s_wait_kmcnt 0x0
	s_lshl_b32 s2, s8, 3
	s_clause 0x3
	s_load_b64 s[6:7], s[0:1], s2 offset:0x0
	s_load_b64 s[8:9], s[0:1], s2 offset:0x200
	;; [unrolled: 1-line block ×3, first 2 shown]
	s_load_b64 s[10:11], s[0:1], 0xc50
	s_ashr_i32 s5, s4, 31
	s_delay_alu instid0(SALU_CYCLE_1)
	s_lshl_b64 s[12:13], s[4:5], 19
	s_lshl_b64 s[4:5], s[4:5], 16
	s_wait_kmcnt 0x0
	s_add_nc_u64 s[20:21], s[6:7], s[12:13]
	s_and_b32 s16, s8, 31
	s_and_b32 s18, s14, 3
	;; [unrolled: 1-line block ×3, first 2 shown]
	s_or_b64 s[16:17], s[16:17], s[18:19]
	s_sub_nc_u64 s[14:15], s[14:15], s[4:5]
	s_or_b64 s[2:3], s[16:17], s[2:3]
	s_delay_alu instid0(SALU_CYCLE_1)
	s_cmp_eq_u64 s[2:3], 0
	s_mov_b32 s2, -1
	s_cbranch_scc1 .LBB15_21
; %bb.1:
	v_cmp_lt_i64_e64 s2, s[14:15], 1
	s_and_b32 vcc_lo, exec_lo, s2
	s_cbranch_vccnz .LBB15_20
; %bb.2:
	s_load_b32 s2, s[0:1], 0xc64
	v_cmp_gt_i64_e64 s3, 0x10000, s[14:15]
	v_dual_mov_b32 v2, 0 :: v_dual_lshlrev_b32 v1, 3, v0
	v_cmp_gt_u64_e64 s4, 0x10000, s[14:15]
	s_mov_b32 s17, 0
	s_mov_b64 s[22:23], 0
	s_and_b32 s3, s3, exec_lo
	s_cselect_b32 s19, s15, 0
	s_cselect_b32 s18, s14, 0x10000
	v_add_co_u32 v11, s3, s8, v1
	v_add_co_u32 v9, s5, s6, v1
	v_add_co_ci_u32_e64 v12, null, s9, 0, s3
	v_add_co_ci_u32_e64 v10, null, s7, 0, s5
	s_wait_kmcnt 0x0
	s_and_b32 s2, s2, 0xffff
	s_and_b32 s3, s4, exec_lo
	s_wait_alu 0xfffe
	v_mad_co_u64_u32 v[2:3], null, s2, 24, v[1:2]
	s_cselect_b32 s21, s15, 0
	s_cselect_b32 s20, s14, 0x10000
	s_mul_i32 s4, s2, 3
	s_lshl_b32 s5, s2, 4
	s_wait_alu 0xfffe
	v_add_co_u32 v17, s4, s4, v0
	v_add_co_u32 v13, vcc_lo, s6, v2
	v_add_co_u32 v1, s5, s5, v1
	v_add_co_ci_u32_e64 v14, null, s7, v3, vcc_lo
	v_add_co_u32 v15, vcc_lo, s8, v2
	s_wait_alu 0xf1ff
	v_add_co_ci_u32_e64 v2, null, 0, 0, s5
	v_add_co_ci_u32_e64 v18, null, 0, 0, s4
	v_add_co_u32 v21, s4, v0, s2
	s_wait_alu 0xfffd
	v_add_co_ci_u32_e64 v16, null, s9, v3, vcc_lo
	v_add_co_u32 v19, vcc_lo, s6, v1
	s_wait_alu 0xfffd
	v_add_co_ci_u32_e64 v20, null, s7, v2, vcc_lo
	v_add_co_u32 v22, vcc_lo, s8, v1
	v_lshlrev_b32_e32 v1, 3, v21
	s_lshl_b32 s3, s2, 1
	s_wait_alu 0xfffd
	v_add_co_ci_u32_e64 v23, null, s9, v2, vcc_lo
	s_wait_alu 0xfffe
	v_add_co_u32 v25, s3, s3, v0
	s_wait_alu 0xf1ff
	v_add_co_ci_u32_e64 v26, null, 0, 0, s3
	v_add_co_u32 v27, s3, s6, v1
	s_wait_alu 0xf1ff
	v_add_co_ci_u32_e64 v28, null, s7, 0, s3
	v_add_co_u32 v29, s3, s8, v1
	v_add_co_ci_u32_e64 v24, null, 0, 0, s4
	s_wait_alu 0xf1ff
	v_add_co_ci_u32_e64 v30, null, s9, 0, s3
	s_lshl_b32 s16, s2, 2
	s_lshl_b32 s24, s2, 5
	s_branch .LBB15_4
.LBB15_3:                               ;   in Loop: Header=BB15_4 Depth=1
	s_wait_alu 0xfffe
	s_or_b32 exec_lo, exec_lo, s2
	v_add_co_u32 v9, vcc_lo, v9, s24
	s_wait_alu 0xfffd
	v_add_co_ci_u32_e64 v10, null, 0, v10, vcc_lo
	v_add_co_u32 v11, vcc_lo, v11, s24
	s_wait_alu 0xfffd
	v_add_co_ci_u32_e64 v12, null, 0, v12, vcc_lo
	;; [unrolled: 3-line block ×5, first 2 shown]
	v_add_co_u32 v22, vcc_lo, v22, s24
	s_add_nc_u64 s[22:23], s[22:23], s[16:17]
	s_wait_alu 0xfffd
	v_add_co_ci_u32_e64 v23, null, 0, v23, vcc_lo
	v_add_co_u32 v27, vcc_lo, v27, s24
	s_wait_alu 0xfffe
	v_cmp_lt_i64_e64 s2, s[22:23], s[18:19]
	s_wait_alu 0xfffd
	v_add_co_ci_u32_e64 v28, null, 0, v28, vcc_lo
	v_add_co_u32 v29, vcc_lo, v29, s24
	s_wait_alu 0xfffd
	v_add_co_ci_u32_e64 v30, null, 0, v30, vcc_lo
	s_and_b32 vcc_lo, exec_lo, s2
	s_wait_alu 0xfffe
	s_cbranch_vccz .LBB15_20
.LBB15_4:                               ; =>This Inner Loop Header: Depth=1
	s_wait_loadcnt 0x0
	v_add_co_u32 v3, s2, v0, s22
	s_wait_alu 0xf1ff
	v_add_co_ci_u32_e64 v4, null, 0, s23, s2
	v_mov_b32_e32 v1, 0
	v_dual_mov_b32 v2, 0 :: v_dual_mov_b32 v5, 0
	s_delay_alu instid0(VALU_DEP_3)
	v_cmp_gt_u64_e32 vcc_lo, s[20:21], v[3:4]
	v_mov_b32_e32 v6, 0
	s_and_saveexec_b32 s3, vcc_lo
	s_cbranch_execz .LBB15_6
; %bb.5:                                ;   in Loop: Header=BB15_4 Depth=1
	v_add_co_u32 v3, s2, v9, s12
	s_wait_alu 0xf1ff
	v_add_co_ci_u32_e64 v4, null, s13, v10, s2
	global_load_b64 v[5:6], v[3:4], off
.LBB15_6:                               ;   in Loop: Header=BB15_4 Depth=1
	s_wait_alu 0xfffe
	s_or_b32 exec_lo, exec_lo, s3
	v_add_co_u32 v3, s2, v21, s22
	s_wait_alu 0xf1ff
	v_add_co_ci_u32_e64 v4, null, s23, v24, s2
	s_delay_alu instid0(VALU_DEP_1)
	v_cmp_gt_u64_e64 s2, s[20:21], v[3:4]
	s_and_saveexec_b32 s4, s2
	s_cbranch_execz .LBB15_8
; %bb.7:                                ;   in Loop: Header=BB15_4 Depth=1
	v_add_co_u32 v1, s3, v27, s12
	s_wait_alu 0xf1ff
	v_add_co_ci_u32_e64 v2, null, s13, v28, s3
	global_load_b64 v[1:2], v[1:2], off
.LBB15_8:                               ;   in Loop: Header=BB15_4 Depth=1
	s_wait_alu 0xfffe
	s_or_b32 exec_lo, exec_lo, s4
	v_add_co_u32 v7, s3, v25, s22
	s_wait_alu 0xf1ff
	v_add_co_ci_u32_e64 v8, null, s23, v26, s3
	v_mov_b32_e32 v3, 0
	v_mov_b32_e32 v4, 0
	s_delay_alu instid0(VALU_DEP_3)
	v_cmp_gt_u64_e64 s3, s[20:21], v[7:8]
	v_mov_b32_e32 v7, 0
	v_mov_b32_e32 v8, 0
	s_and_saveexec_b32 s5, s3
	s_cbranch_execz .LBB15_10
; %bb.9:                                ;   in Loop: Header=BB15_4 Depth=1
	v_add_co_u32 v7, s4, v19, s12
	s_wait_alu 0xf1ff
	v_add_co_ci_u32_e64 v8, null, s13, v20, s4
	global_load_b64 v[7:8], v[7:8], off
.LBB15_10:                              ;   in Loop: Header=BB15_4 Depth=1
	s_wait_alu 0xfffe
	s_or_b32 exec_lo, exec_lo, s5
	v_add_co_u32 v31, s4, v17, s22
	s_wait_alu 0xf1ff
	v_add_co_ci_u32_e64 v32, null, s23, v18, s4
	s_delay_alu instid0(VALU_DEP_1)
	v_cmp_gt_u64_e64 s4, s[20:21], v[31:32]
	s_and_saveexec_b32 s25, s4
	s_cbranch_execnz .LBB15_15
; %bb.11:                               ;   in Loop: Header=BB15_4 Depth=1
	s_wait_alu 0xfffe
	s_or_b32 exec_lo, exec_lo, s25
	s_and_saveexec_b32 s5, vcc_lo
	s_cbranch_execnz .LBB15_16
.LBB15_12:                              ;   in Loop: Header=BB15_4 Depth=1
	s_wait_alu 0xfffe
	s_or_b32 exec_lo, exec_lo, s5
	s_and_saveexec_b32 s5, s2
	s_cbranch_execnz .LBB15_17
.LBB15_13:                              ;   in Loop: Header=BB15_4 Depth=1
	s_wait_alu 0xfffe
	s_or_b32 exec_lo, exec_lo, s5
	s_and_saveexec_b32 s2, s3
	s_cbranch_execnz .LBB15_18
.LBB15_14:                              ;   in Loop: Header=BB15_4 Depth=1
	s_wait_alu 0xfffe
	s_or_b32 exec_lo, exec_lo, s2
	s_and_saveexec_b32 s2, s4
	s_cbranch_execz .LBB15_3
	s_branch .LBB15_19
.LBB15_15:                              ;   in Loop: Header=BB15_4 Depth=1
	v_add_co_u32 v3, s5, v13, s12
	s_wait_alu 0xf1ff
	v_add_co_ci_u32_e64 v4, null, s13, v14, s5
	global_load_b64 v[3:4], v[3:4], off
	s_wait_alu 0xfffe
	s_or_b32 exec_lo, exec_lo, s25
	s_and_saveexec_b32 s5, vcc_lo
	s_cbranch_execz .LBB15_12
.LBB15_16:                              ;   in Loop: Header=BB15_4 Depth=1
	s_wait_loadcnt 0x0
	v_add_co_u32 v5, vcc_lo, v5, s10
	s_wait_alu 0xfffd
	v_add_co_ci_u32_e64 v6, null, s11, v6, vcc_lo
	v_add_co_u32 v31, vcc_lo, v11, s12
	s_wait_alu 0xfffd
	v_add_co_ci_u32_e64 v32, null, s13, v12, vcc_lo
	global_store_b64 v[31:32], v[5:6], off
	s_wait_alu 0xfffe
	s_or_b32 exec_lo, exec_lo, s5
	s_and_saveexec_b32 s5, s2
	s_cbranch_execz .LBB15_13
.LBB15_17:                              ;   in Loop: Header=BB15_4 Depth=1
	s_wait_loadcnt 0x0
	v_add_co_u32 v1, vcc_lo, v1, s10
	s_wait_alu 0xfffd
	v_add_co_ci_u32_e64 v2, null, s11, v2, vcc_lo
	v_add_co_u32 v5, vcc_lo, v29, s12
	s_wait_alu 0xfffd
	v_add_co_ci_u32_e64 v6, null, s13, v30, vcc_lo
	global_store_b64 v[5:6], v[1:2], off
	s_wait_alu 0xfffe
	s_or_b32 exec_lo, exec_lo, s5
	s_and_saveexec_b32 s2, s3
	s_cbranch_execz .LBB15_14
.LBB15_18:                              ;   in Loop: Header=BB15_4 Depth=1
	s_wait_loadcnt 0x0
	v_add_co_u32 v1, vcc_lo, v7, s10
	s_wait_alu 0xfffd
	v_add_co_ci_u32_e64 v2, null, s11, v8, vcc_lo
	v_add_co_u32 v5, vcc_lo, v22, s12
	s_wait_alu 0xfffd
	v_add_co_ci_u32_e64 v6, null, s13, v23, vcc_lo
	global_store_b64 v[5:6], v[1:2], off
	s_wait_alu 0xfffe
	s_or_b32 exec_lo, exec_lo, s2
	s_and_saveexec_b32 s2, s4
	s_cbranch_execz .LBB15_3
.LBB15_19:                              ;   in Loop: Header=BB15_4 Depth=1
	s_wait_loadcnt 0x0
	v_add_co_u32 v1, vcc_lo, v3, s10
	s_wait_alu 0xfffd
	v_add_co_ci_u32_e64 v2, null, s11, v4, vcc_lo
	v_add_co_u32 v3, vcc_lo, v15, s12
	s_wait_alu 0xfffd
	v_add_co_ci_u32_e64 v4, null, s13, v16, vcc_lo
	global_store_b64 v[3:4], v[1:2], off
	s_branch .LBB15_3
.LBB15_20:
	s_mov_b32 s2, 0
.LBB15_21:
	s_wait_alu 0xfffe
	s_and_not1_b32 vcc_lo, exec_lo, s2
	s_wait_alu 0xfffe
	s_cbranch_vccnz .LBB15_25
; %bb.22:
	v_cmp_gt_i64_e64 s2, 0x10000, s[14:15]
	s_wait_loadcnt 0x0
	v_dual_mov_b32 v2, 0 :: v_dual_lshlrev_b32 v1, 2, v0
	s_mov_b32 s4, 0
	s_mov_b32 s5, exec_lo
	s_and_b32 s2, s2, exec_lo
	s_cselect_b32 s3, s15, 0
	s_cselect_b32 s2, s14, 0x10000
	s_wait_alu 0xfffe
	v_cmpx_gt_i64_e64 s[2:3], v[1:2]
	s_cbranch_execz .LBB15_25
; %bb.23:
	s_load_b32 s0, s[0:1], 0xc64
	v_lshlrev_b32_e32 v3, 5, v0
	v_mov_b32_e32 v1, v2
	s_delay_alu instid0(VALU_DEP_2) | instskip(NEXT) | instid1(VALU_DEP_1)
	v_add_co_u32 v2, s1, s12, v3
	v_add_co_ci_u32_e64 v3, null, s13, 0, s1
	s_wait_kmcnt 0x0
	s_and_b32 s5, s0, 0xffff
	s_wait_alu 0xfffe
	s_lshl_b32 s12, s5, 5
.LBB15_24:                              ; =>This Inner Loop Header: Depth=1
	v_add_co_u32 v8, vcc_lo, s6, v2
	s_wait_alu 0xfffd
	v_add_co_ci_u32_e64 v9, null, s7, v3, vcc_lo
	v_add_co_u32 v0, vcc_lo, v0, s5
	s_wait_alu 0xfffd
	v_add_co_ci_u32_e64 v1, null, 0, v1, vcc_lo
	s_clause 0x1
	global_load_b128 v[4:7], v[8:9], off
	global_load_b128 v[8:11], v[8:9], off offset:16
	v_add_co_u32 v12, vcc_lo, s8, v2
	v_lshlrev_b64_e32 v[14:15], 2, v[0:1]
	s_wait_alu 0xfffd
	v_add_co_ci_u32_e64 v13, null, s9, v3, vcc_lo
	s_wait_alu 0xfffe
	v_add_co_u32 v2, vcc_lo, v2, s12
	s_wait_alu 0xfffd
	v_add_co_ci_u32_e64 v3, null, 0, v3, vcc_lo
	v_cmp_le_i64_e64 s0, s[2:3], v[14:15]
	s_or_b32 s4, s0, s4
	s_wait_loadcnt 0x1
	v_add_co_u32 v4, s1, v4, s10
	s_wait_alu 0xf1ff
	v_add_co_ci_u32_e64 v5, null, s11, v5, s1
	v_add_co_u32 v6, s1, v6, s10
	s_wait_alu 0xf1ff
	v_add_co_ci_u32_e64 v7, null, s11, v7, s1
	s_wait_loadcnt 0x0
	v_add_co_u32 v8, s1, v8, s10
	s_wait_alu 0xf1ff
	v_add_co_ci_u32_e64 v9, null, s11, v9, s1
	v_add_co_u32 v10, s1, v10, s10
	s_wait_alu 0xf1ff
	v_add_co_ci_u32_e64 v11, null, s11, v11, s1
	s_clause 0x1
	global_store_b128 v[12:13], v[4:7], off
	global_store_b128 v[12:13], v[8:11], off offset:16
	s_wait_alu 0xfffe
	s_and_not1_b32 exec_lo, exec_lo, s4
	s_cbranch_execnz .LBB15_24
.LBB15_25:
	s_endpgm
	.section	.rodata,"a",@progbits
	.p2align	6, 0x0
	.amdhsa_kernel _ZN2at6native12_GLOBAL__N_125multi_tensor_apply_kernelINS1_18TensorListMetadataILi2EEENS1_21BinaryOpScalarFunctorIlLi2ELi1ELi1EEEJSt4plusIlElEEEvT_T0_DpT1_
		.amdhsa_group_segment_fixed_size 0
		.amdhsa_private_segment_fixed_size 0
		.amdhsa_kernarg_size 3416
		.amdhsa_user_sgpr_count 2
		.amdhsa_user_sgpr_dispatch_ptr 0
		.amdhsa_user_sgpr_queue_ptr 0
		.amdhsa_user_sgpr_kernarg_segment_ptr 1
		.amdhsa_user_sgpr_dispatch_id 0
		.amdhsa_user_sgpr_private_segment_size 0
		.amdhsa_wavefront_size32 1
		.amdhsa_uses_dynamic_stack 0
		.amdhsa_enable_private_segment 0
		.amdhsa_system_sgpr_workgroup_id_x 1
		.amdhsa_system_sgpr_workgroup_id_y 0
		.amdhsa_system_sgpr_workgroup_id_z 0
		.amdhsa_system_sgpr_workgroup_info 0
		.amdhsa_system_vgpr_workitem_id 0
		.amdhsa_next_free_vgpr 33
		.amdhsa_next_free_sgpr 26
		.amdhsa_reserve_vcc 1
		.amdhsa_float_round_mode_32 0
		.amdhsa_float_round_mode_16_64 0
		.amdhsa_float_denorm_mode_32 3
		.amdhsa_float_denorm_mode_16_64 3
		.amdhsa_fp16_overflow 0
		.amdhsa_workgroup_processor_mode 1
		.amdhsa_memory_ordered 1
		.amdhsa_forward_progress 1
		.amdhsa_inst_pref_size 15
		.amdhsa_round_robin_scheduling 0
		.amdhsa_exception_fp_ieee_invalid_op 0
		.amdhsa_exception_fp_denorm_src 0
		.amdhsa_exception_fp_ieee_div_zero 0
		.amdhsa_exception_fp_ieee_overflow 0
		.amdhsa_exception_fp_ieee_underflow 0
		.amdhsa_exception_fp_ieee_inexact 0
		.amdhsa_exception_int_div_zero 0
	.end_amdhsa_kernel
	.section	.text._ZN2at6native12_GLOBAL__N_125multi_tensor_apply_kernelINS1_18TensorListMetadataILi2EEENS1_21BinaryOpScalarFunctorIlLi2ELi1ELi1EEEJSt4plusIlElEEEvT_T0_DpT1_,"axG",@progbits,_ZN2at6native12_GLOBAL__N_125multi_tensor_apply_kernelINS1_18TensorListMetadataILi2EEENS1_21BinaryOpScalarFunctorIlLi2ELi1ELi1EEEJSt4plusIlElEEEvT_T0_DpT1_,comdat
.Lfunc_end15:
	.size	_ZN2at6native12_GLOBAL__N_125multi_tensor_apply_kernelINS1_18TensorListMetadataILi2EEENS1_21BinaryOpScalarFunctorIlLi2ELi1ELi1EEEJSt4plusIlElEEEvT_T0_DpT1_, .Lfunc_end15-_ZN2at6native12_GLOBAL__N_125multi_tensor_apply_kernelINS1_18TensorListMetadataILi2EEENS1_21BinaryOpScalarFunctorIlLi2ELi1ELi1EEEJSt4plusIlElEEEvT_T0_DpT1_
                                        ; -- End function
	.set _ZN2at6native12_GLOBAL__N_125multi_tensor_apply_kernelINS1_18TensorListMetadataILi2EEENS1_21BinaryOpScalarFunctorIlLi2ELi1ELi1EEEJSt4plusIlElEEEvT_T0_DpT1_.num_vgpr, 33
	.set _ZN2at6native12_GLOBAL__N_125multi_tensor_apply_kernelINS1_18TensorListMetadataILi2EEENS1_21BinaryOpScalarFunctorIlLi2ELi1ELi1EEEJSt4plusIlElEEEvT_T0_DpT1_.num_agpr, 0
	.set _ZN2at6native12_GLOBAL__N_125multi_tensor_apply_kernelINS1_18TensorListMetadataILi2EEENS1_21BinaryOpScalarFunctorIlLi2ELi1ELi1EEEJSt4plusIlElEEEvT_T0_DpT1_.numbered_sgpr, 26
	.set _ZN2at6native12_GLOBAL__N_125multi_tensor_apply_kernelINS1_18TensorListMetadataILi2EEENS1_21BinaryOpScalarFunctorIlLi2ELi1ELi1EEEJSt4plusIlElEEEvT_T0_DpT1_.num_named_barrier, 0
	.set _ZN2at6native12_GLOBAL__N_125multi_tensor_apply_kernelINS1_18TensorListMetadataILi2EEENS1_21BinaryOpScalarFunctorIlLi2ELi1ELi1EEEJSt4plusIlElEEEvT_T0_DpT1_.private_seg_size, 0
	.set _ZN2at6native12_GLOBAL__N_125multi_tensor_apply_kernelINS1_18TensorListMetadataILi2EEENS1_21BinaryOpScalarFunctorIlLi2ELi1ELi1EEEJSt4plusIlElEEEvT_T0_DpT1_.uses_vcc, 1
	.set _ZN2at6native12_GLOBAL__N_125multi_tensor_apply_kernelINS1_18TensorListMetadataILi2EEENS1_21BinaryOpScalarFunctorIlLi2ELi1ELi1EEEJSt4plusIlElEEEvT_T0_DpT1_.uses_flat_scratch, 0
	.set _ZN2at6native12_GLOBAL__N_125multi_tensor_apply_kernelINS1_18TensorListMetadataILi2EEENS1_21BinaryOpScalarFunctorIlLi2ELi1ELi1EEEJSt4plusIlElEEEvT_T0_DpT1_.has_dyn_sized_stack, 0
	.set _ZN2at6native12_GLOBAL__N_125multi_tensor_apply_kernelINS1_18TensorListMetadataILi2EEENS1_21BinaryOpScalarFunctorIlLi2ELi1ELi1EEEJSt4plusIlElEEEvT_T0_DpT1_.has_recursion, 0
	.set _ZN2at6native12_GLOBAL__N_125multi_tensor_apply_kernelINS1_18TensorListMetadataILi2EEENS1_21BinaryOpScalarFunctorIlLi2ELi1ELi1EEEJSt4plusIlElEEEvT_T0_DpT1_.has_indirect_call, 0
	.section	.AMDGPU.csdata,"",@progbits
; Kernel info:
; codeLenInByte = 1832
; TotalNumSgprs: 28
; NumVgprs: 33
; ScratchSize: 0
; MemoryBound: 0
; FloatMode: 240
; IeeeMode: 1
; LDSByteSize: 0 bytes/workgroup (compile time only)
; SGPRBlocks: 0
; VGPRBlocks: 4
; NumSGPRsForWavesPerEU: 28
; NumVGPRsForWavesPerEU: 33
; Occupancy: 16
; WaveLimiterHint : 0
; COMPUTE_PGM_RSRC2:SCRATCH_EN: 0
; COMPUTE_PGM_RSRC2:USER_SGPR: 2
; COMPUTE_PGM_RSRC2:TRAP_HANDLER: 0
; COMPUTE_PGM_RSRC2:TGID_X_EN: 1
; COMPUTE_PGM_RSRC2:TGID_Y_EN: 0
; COMPUTE_PGM_RSRC2:TGID_Z_EN: 0
; COMPUTE_PGM_RSRC2:TIDIG_COMP_CNT: 0
	.section	.text._ZN2at6native12_GLOBAL__N_125multi_tensor_apply_kernelINS1_18TensorListMetadataILi2EEENS1_21BinaryOpScalarFunctorIsLi2ELi1ELi1EEEJSt4plusIsEsEEEvT_T0_DpT1_,"axG",@progbits,_ZN2at6native12_GLOBAL__N_125multi_tensor_apply_kernelINS1_18TensorListMetadataILi2EEENS1_21BinaryOpScalarFunctorIsLi2ELi1ELi1EEEJSt4plusIsEsEEEvT_T0_DpT1_,comdat
	.globl	_ZN2at6native12_GLOBAL__N_125multi_tensor_apply_kernelINS1_18TensorListMetadataILi2EEENS1_21BinaryOpScalarFunctorIsLi2ELi1ELi1EEEJSt4plusIsEsEEEvT_T0_DpT1_ ; -- Begin function _ZN2at6native12_GLOBAL__N_125multi_tensor_apply_kernelINS1_18TensorListMetadataILi2EEENS1_21BinaryOpScalarFunctorIsLi2ELi1ELi1EEEJSt4plusIsEsEEEvT_T0_DpT1_
	.p2align	8
	.type	_ZN2at6native12_GLOBAL__N_125multi_tensor_apply_kernelINS1_18TensorListMetadataILi2EEENS1_21BinaryOpScalarFunctorIsLi2ELi1ELi1EEEJSt4plusIsEsEEEvT_T0_DpT1_,@function
_ZN2at6native12_GLOBAL__N_125multi_tensor_apply_kernelINS1_18TensorListMetadataILi2EEENS1_21BinaryOpScalarFunctorIsLi2ELi1ELi1EEEJSt4plusIsEsEEEvT_T0_DpT1_: ; @_ZN2at6native12_GLOBAL__N_125multi_tensor_apply_kernelINS1_18TensorListMetadataILi2EEENS1_21BinaryOpScalarFunctorIsLi2ELi1ELi1EEEJSt4plusIsEsEEEvT_T0_DpT1_
; %bb.0:
	s_load_u8 s8, s[0:1], ttmp9 offset:0x600
	s_mov_b32 s2, ttmp9
	s_mov_b32 s3, 0
	s_delay_alu instid0(SALU_CYCLE_1)
	s_mul_u64 s[4:5], s[2:3], 3
	s_add_nc_u64 s[6:7], s[0:1], s[2:3]
	s_mov_b32 s15, s3
	s_add_nc_u64 s[4:5], s[6:7], s[4:5]
	s_mov_b32 s17, s3
	s_load_b32 s4, s[4:5], 0x740
	s_wait_kmcnt 0x0
	s_lshl_b32 s2, s8, 3
	s_clause 0x3
	s_load_b32 s14, s[0:1], 0xc48
	s_load_b64 s[6:7], s[0:1], s2 offset:0x0
	s_load_b64 s[8:9], s[0:1], s2 offset:0x200
	s_load_b64 s[12:13], s[0:1], s2 offset:0x400
	s_ashr_i32 s5, s4, 31
	s_delay_alu instid0(SALU_CYCLE_1)
	s_lshl_b64 s[10:11], s[4:5], 17
	s_lshl_b64 s[4:5], s[4:5], 16
	s_wait_kmcnt 0x0
	s_lshr_b32 s22, s14, 16
	s_add_nc_u64 s[18:19], s[6:7], s[10:11]
	s_and_b32 s14, s8, 7
	s_and_b32 s16, s12, 3
	;; [unrolled: 1-line block ×3, first 2 shown]
	s_or_b64 s[14:15], s[14:15], s[16:17]
	s_sub_nc_u64 s[12:13], s[12:13], s[4:5]
	s_or_b64 s[2:3], s[14:15], s[2:3]
	s_delay_alu instid0(SALU_CYCLE_1)
	s_cmp_eq_u64 s[2:3], 0
	s_mov_b32 s2, -1
	s_cbranch_scc1 .LBB16_21
; %bb.1:
	v_cmp_lt_i64_e64 s2, s[12:13], 1
	s_and_b32 vcc_lo, exec_lo, s2
	s_cbranch_vccnz .LBB16_20
; %bb.2:
	s_load_b32 s2, s[0:1], 0xc5c
	v_cmp_gt_i64_e64 s3, 0x10000, s[12:13]
	v_dual_mov_b32 v10, 0 :: v_dual_lshlrev_b32 v9, 1, v0
	v_cmp_gt_u64_e64 s4, 0x10000, s[12:13]
	s_mov_b32 s19, 0
	s_mov_b64 s[20:21], 0
	s_and_b32 s3, s3, exec_lo
	v_add_co_u32 v1, s5, s6, v9
	s_cselect_b32 s15, s13, 0
	s_cselect_b32 s14, s12, 0x10000
	v_add_co_ci_u32_e64 v2, null, s7, 0, s5
	v_add_co_u32 v3, s5, s8, v9
	s_wait_alu 0xf1ff
	v_add_co_ci_u32_e64 v4, null, s9, 0, s5
	s_wait_kmcnt 0x0
	s_and_b32 s2, s2, 0xffff
	s_and_b32 s3, s4, exec_lo
	s_cselect_b32 s17, s13, 0
	s_cselect_b32 s16, s12, 0x10000
	s_mul_i32 s4, s2, 3
	s_lshl_b32 s18, s2, 2
	v_mad_co_u64_u32 v[7:8], null, s2, 6, v[9:10]
	v_add_co_u32 v14, s5, s18, v9
	s_wait_alu 0xfffe
	v_add_co_u32 v9, s4, s4, v0
	s_wait_alu 0xf1ff
	v_add_co_ci_u32_e64 v10, null, 0, 0, s4
	v_add_co_u32 v13, s4, v0, s2
	s_lshl_b32 s3, s2, 1
	v_add_co_u32 v5, vcc_lo, s6, v7
	v_lshlrev_b32_e32 v21, 1, v13
	v_add_co_ci_u32_e64 v15, null, 0, 0, s5
	v_add_co_ci_u32_e64 v6, null, s7, v8, vcc_lo
	v_add_co_u32 v7, vcc_lo, s8, v7
	s_wait_alu 0xfffe
	v_add_co_u32 v17, s3, s3, v0
	s_wait_alu 0xfffd
	v_add_co_ci_u32_e64 v8, null, s9, v8, vcc_lo
	v_add_co_u32 v11, vcc_lo, s6, v14
	s_wait_alu 0xf1ff
	v_add_co_ci_u32_e64 v18, null, 0, 0, s3
	v_add_co_u32 v19, s3, s6, v21
	s_wait_alu 0xfffd
	v_add_co_ci_u32_e64 v12, null, s7, v15, vcc_lo
	v_add_co_u32 v14, vcc_lo, s8, v14
	s_wait_alu 0xf1ff
	v_add_co_ci_u32_e64 v20, null, s7, 0, s3
	v_add_co_u32 v21, s3, s8, v21
	s_wait_alu 0xfffd
	v_add_co_ci_u32_e64 v15, null, s9, v15, vcc_lo
	v_add_co_ci_u32_e64 v16, null, 0, 0, s4
	s_wait_alu 0xf1ff
	v_add_co_ci_u32_e64 v22, null, s9, 0, s3
	s_lshl_b32 s23, s2, 3
	s_branch .LBB16_4
.LBB16_3:                               ;   in Loop: Header=BB16_4 Depth=1
	s_wait_alu 0xfffe
	s_or_b32 exec_lo, exec_lo, s2
	v_add_co_u32 v1, vcc_lo, v1, s23
	s_wait_alu 0xfffd
	v_add_co_ci_u32_e64 v2, null, 0, v2, vcc_lo
	v_add_co_u32 v3, vcc_lo, v3, s23
	s_wait_alu 0xfffd
	v_add_co_ci_u32_e64 v4, null, 0, v4, vcc_lo
	;; [unrolled: 3-line block ×5, first 2 shown]
	v_add_co_u32 v14, vcc_lo, v14, s23
	s_add_nc_u64 s[20:21], s[20:21], s[18:19]
	s_wait_alu 0xfffd
	v_add_co_ci_u32_e64 v15, null, 0, v15, vcc_lo
	v_add_co_u32 v19, vcc_lo, v19, s23
	s_wait_alu 0xfffe
	v_cmp_lt_i64_e64 s2, s[20:21], s[14:15]
	s_wait_alu 0xfffd
	v_add_co_ci_u32_e64 v20, null, 0, v20, vcc_lo
	v_add_co_u32 v21, vcc_lo, v21, s23
	s_wait_alu 0xfffd
	v_add_co_ci_u32_e64 v22, null, 0, v22, vcc_lo
	s_and_b32 vcc_lo, exec_lo, s2
	s_wait_alu 0xfffe
	s_cbranch_vccz .LBB16_20
.LBB16_4:                               ; =>This Inner Loop Header: Depth=1
	s_wait_loadcnt 0x0
	v_add_co_u32 v23, s2, v0, s20
	s_wait_alu 0xf1ff
	v_add_co_ci_u32_e64 v24, null, 0, s21, s2
	s_delay_alu instid0(VALU_DEP_1)
	v_cmp_gt_u64_e32 vcc_lo, s[16:17], v[23:24]
	v_mov_b32_e32 v24, 0
	s_and_saveexec_b32 s3, vcc_lo
	s_cbranch_execz .LBB16_6
; %bb.5:                                ;   in Loop: Header=BB16_4 Depth=1
	v_add_co_u32 v23, s2, v1, s10
	s_wait_alu 0xf1ff
	v_add_co_ci_u32_e64 v24, null, s11, v2, s2
	global_load_u16 v24, v[23:24], off
.LBB16_6:                               ;   in Loop: Header=BB16_4 Depth=1
	s_wait_alu 0xfffe
	s_or_b32 exec_lo, exec_lo, s3
	v_add_co_u32 v25, s2, v13, s20
	s_wait_alu 0xf1ff
	v_add_co_ci_u32_e64 v26, null, s21, v16, s2
	v_mov_b32_e32 v23, 0
	s_delay_alu instid0(VALU_DEP_2)
	v_cmp_gt_u64_e64 s2, s[16:17], v[25:26]
	v_mov_b32_e32 v25, 0
	s_and_saveexec_b32 s4, s2
	s_cbranch_execz .LBB16_8
; %bb.7:                                ;   in Loop: Header=BB16_4 Depth=1
	v_add_co_u32 v25, s3, v19, s10
	s_wait_alu 0xf1ff
	v_add_co_ci_u32_e64 v26, null, s11, v20, s3
	global_load_u16 v25, v[25:26], off
.LBB16_8:                               ;   in Loop: Header=BB16_4 Depth=1
	s_wait_alu 0xfffe
	s_or_b32 exec_lo, exec_lo, s4
	v_add_co_u32 v26, s3, v17, s20
	s_wait_alu 0xf1ff
	v_add_co_ci_u32_e64 v27, null, s21, v18, s3
	s_delay_alu instid0(VALU_DEP_1)
	v_cmp_gt_u64_e64 s3, s[16:17], v[26:27]
	s_and_saveexec_b32 s5, s3
	s_cbranch_execz .LBB16_10
; %bb.9:                                ;   in Loop: Header=BB16_4 Depth=1
	v_add_co_u32 v26, s4, v11, s10
	s_wait_alu 0xf1ff
	v_add_co_ci_u32_e64 v27, null, s11, v12, s4
	global_load_u16 v23, v[26:27], off
.LBB16_10:                              ;   in Loop: Header=BB16_4 Depth=1
	s_wait_alu 0xfffe
	s_or_b32 exec_lo, exec_lo, s5
	v_add_co_u32 v26, s4, v9, s20
	s_wait_alu 0xf1ff
	v_add_co_ci_u32_e64 v27, null, s21, v10, s4
	s_delay_alu instid0(VALU_DEP_1)
	v_cmp_gt_u64_e64 s4, s[16:17], v[26:27]
	v_mov_b32_e32 v26, 0
	s_and_saveexec_b32 s24, s4
	s_cbranch_execnz .LBB16_15
; %bb.11:                               ;   in Loop: Header=BB16_4 Depth=1
	s_or_b32 exec_lo, exec_lo, s24
	s_and_saveexec_b32 s5, vcc_lo
	s_cbranch_execnz .LBB16_16
.LBB16_12:                              ;   in Loop: Header=BB16_4 Depth=1
	s_wait_alu 0xfffe
	s_or_b32 exec_lo, exec_lo, s5
	s_and_saveexec_b32 s5, s2
	s_cbranch_execnz .LBB16_17
.LBB16_13:                              ;   in Loop: Header=BB16_4 Depth=1
	s_wait_alu 0xfffe
	s_or_b32 exec_lo, exec_lo, s5
	s_and_saveexec_b32 s2, s3
	s_cbranch_execnz .LBB16_18
.LBB16_14:                              ;   in Loop: Header=BB16_4 Depth=1
	s_wait_alu 0xfffe
	s_or_b32 exec_lo, exec_lo, s2
	s_and_saveexec_b32 s2, s4
	s_cbranch_execz .LBB16_3
	s_branch .LBB16_19
.LBB16_15:                              ;   in Loop: Header=BB16_4 Depth=1
	v_add_co_u32 v26, s5, v5, s10
	s_wait_alu 0xf1ff
	v_add_co_ci_u32_e64 v27, null, s11, v6, s5
	global_load_u16 v26, v[26:27], off
	s_or_b32 exec_lo, exec_lo, s24
	s_and_saveexec_b32 s5, vcc_lo
	s_cbranch_execz .LBB16_12
.LBB16_16:                              ;   in Loop: Header=BB16_4 Depth=1
	v_add_co_u32 v27, vcc_lo, v3, s10
	s_wait_loadcnt 0x0
	v_add_nc_u16 v24, v24, s22
	s_wait_alu 0xfffd
	v_add_co_ci_u32_e64 v28, null, s11, v4, vcc_lo
	global_store_b16 v[27:28], v24, off
	s_wait_alu 0xfffe
	s_or_b32 exec_lo, exec_lo, s5
	s_and_saveexec_b32 s5, s2
	s_cbranch_execz .LBB16_13
.LBB16_17:                              ;   in Loop: Header=BB16_4 Depth=1
	s_wait_loadcnt 0x0
	v_add_co_u32 v24, vcc_lo, v21, s10
	v_add_nc_u16 v27, v25, s22
	s_wait_alu 0xfffd
	v_add_co_ci_u32_e64 v25, null, s11, v22, vcc_lo
	global_store_b16 v[24:25], v27, off
	s_wait_alu 0xfffe
	s_or_b32 exec_lo, exec_lo, s5
	s_and_saveexec_b32 s2, s3
	s_cbranch_execz .LBB16_14
.LBB16_18:                              ;   in Loop: Header=BB16_4 Depth=1
	s_wait_loadcnt 0x0
	v_add_nc_u16 v25, v23, s22
	v_add_co_u32 v23, vcc_lo, v14, s10
	s_wait_alu 0xfffd
	v_add_co_ci_u32_e64 v24, null, s11, v15, vcc_lo
	global_store_b16 v[23:24], v25, off
	s_wait_alu 0xfffe
	s_or_b32 exec_lo, exec_lo, s2
	s_and_saveexec_b32 s2, s4
	s_cbranch_execz .LBB16_3
.LBB16_19:                              ;   in Loop: Header=BB16_4 Depth=1
	s_wait_loadcnt 0x0
	v_add_co_u32 v23, vcc_lo, v7, s10
	v_add_nc_u16 v25, v26, s22
	s_wait_alu 0xfffd
	v_add_co_ci_u32_e64 v24, null, s11, v8, vcc_lo
	global_store_b16 v[23:24], v25, off
	s_branch .LBB16_3
.LBB16_20:
	s_mov_b32 s2, 0
.LBB16_21:
	s_wait_alu 0xfffe
	s_and_not1_b32 vcc_lo, exec_lo, s2
	s_wait_alu 0xfffe
	s_cbranch_vccnz .LBB16_25
; %bb.22:
	v_cmp_gt_i64_e64 s2, 0x10000, s[12:13]
	v_dual_mov_b32 v2, 0 :: v_dual_lshlrev_b32 v1, 2, v0
	s_mov_b32 s4, 0
	s_mov_b32 s5, exec_lo
	s_and_b32 s2, s2, exec_lo
	s_cselect_b32 s3, s13, 0
	s_cselect_b32 s2, s12, 0x10000
	s_wait_alu 0xfffe
	v_cmpx_gt_i64_e64 s[2:3], v[1:2]
	s_cbranch_execz .LBB16_25
; %bb.23:
	s_load_b32 s0, s[0:1], 0xc5c
	v_lshlrev_b32_e32 v3, 3, v0
	v_mov_b32_e32 v1, v2
	s_delay_alu instid0(VALU_DEP_2) | instskip(NEXT) | instid1(VALU_DEP_1)
	v_add_co_u32 v2, s1, s10, v3
	v_add_co_ci_u32_e64 v3, null, s11, 0, s1
	s_wait_kmcnt 0x0
	s_and_b32 s1, s0, 0xffff
	s_wait_alu 0xfffe
	s_lshl_b32 s5, s1, 3
.LBB16_24:                              ; =>This Inner Loop Header: Depth=1
	v_add_co_u32 v4, vcc_lo, s6, v2
	s_wait_alu 0xfffd
	v_add_co_ci_u32_e64 v5, null, s7, v3, vcc_lo
	v_add_co_u32 v0, vcc_lo, v0, s1
	s_wait_alu 0xfffd
	v_add_co_ci_u32_e64 v1, null, 0, v1, vcc_lo
	global_load_b64 v[4:5], v[4:5], off
	v_add_co_u32 v6, vcc_lo, s8, v2
	v_lshlrev_b64_e32 v[8:9], 2, v[0:1]
	s_wait_alu 0xfffd
	v_add_co_ci_u32_e64 v7, null, s9, v3, vcc_lo
	s_wait_alu 0xfffe
	v_add_co_u32 v2, vcc_lo, v2, s5
	s_wait_alu 0xfffd
	v_add_co_ci_u32_e64 v3, null, 0, v3, vcc_lo
	v_cmp_le_i64_e64 s0, s[2:3], v[8:9]
	s_or_b32 s4, s0, s4
	s_wait_loadcnt 0x0
	v_lshrrev_b32_e32 v10, 16, v5
	v_lshrrev_b32_e32 v11, 16, v4
	v_add_nc_u16 v4, s22, v4
	v_add_nc_u16 v5, s22, v5
	s_delay_alu instid0(VALU_DEP_4) | instskip(NEXT) | instid1(VALU_DEP_4)
	v_add_nc_u16 v10, s22, v10
	v_add_nc_u16 v11, s22, v11
	s_delay_alu instid0(VALU_DEP_2) | instskip(NEXT) | instid1(VALU_DEP_2)
	v_perm_b32 v5, v10, v5, 0x5040100
	v_perm_b32 v4, v11, v4, 0x5040100
	global_store_b64 v[6:7], v[4:5], off
	s_wait_alu 0xfffe
	s_and_not1_b32 exec_lo, exec_lo, s4
	s_cbranch_execnz .LBB16_24
.LBB16_25:
	s_endpgm
	.section	.rodata,"a",@progbits
	.p2align	6, 0x0
	.amdhsa_kernel _ZN2at6native12_GLOBAL__N_125multi_tensor_apply_kernelINS1_18TensorListMetadataILi2EEENS1_21BinaryOpScalarFunctorIsLi2ELi1ELi1EEEJSt4plusIsEsEEEvT_T0_DpT1_
		.amdhsa_group_segment_fixed_size 0
		.amdhsa_private_segment_fixed_size 0
		.amdhsa_kernarg_size 3408
		.amdhsa_user_sgpr_count 2
		.amdhsa_user_sgpr_dispatch_ptr 0
		.amdhsa_user_sgpr_queue_ptr 0
		.amdhsa_user_sgpr_kernarg_segment_ptr 1
		.amdhsa_user_sgpr_dispatch_id 0
		.amdhsa_user_sgpr_private_segment_size 0
		.amdhsa_wavefront_size32 1
		.amdhsa_uses_dynamic_stack 0
		.amdhsa_enable_private_segment 0
		.amdhsa_system_sgpr_workgroup_id_x 1
		.amdhsa_system_sgpr_workgroup_id_y 0
		.amdhsa_system_sgpr_workgroup_id_z 0
		.amdhsa_system_sgpr_workgroup_info 0
		.amdhsa_system_vgpr_workitem_id 0
		.amdhsa_next_free_vgpr 29
		.amdhsa_next_free_sgpr 25
		.amdhsa_reserve_vcc 1
		.amdhsa_float_round_mode_32 0
		.amdhsa_float_round_mode_16_64 0
		.amdhsa_float_denorm_mode_32 3
		.amdhsa_float_denorm_mode_16_64 3
		.amdhsa_fp16_overflow 0
		.amdhsa_workgroup_processor_mode 1
		.amdhsa_memory_ordered 1
		.amdhsa_forward_progress 1
		.amdhsa_inst_pref_size 14
		.amdhsa_round_robin_scheduling 0
		.amdhsa_exception_fp_ieee_invalid_op 0
		.amdhsa_exception_fp_denorm_src 0
		.amdhsa_exception_fp_ieee_div_zero 0
		.amdhsa_exception_fp_ieee_overflow 0
		.amdhsa_exception_fp_ieee_underflow 0
		.amdhsa_exception_fp_ieee_inexact 0
		.amdhsa_exception_int_div_zero 0
	.end_amdhsa_kernel
	.section	.text._ZN2at6native12_GLOBAL__N_125multi_tensor_apply_kernelINS1_18TensorListMetadataILi2EEENS1_21BinaryOpScalarFunctorIsLi2ELi1ELi1EEEJSt4plusIsEsEEEvT_T0_DpT1_,"axG",@progbits,_ZN2at6native12_GLOBAL__N_125multi_tensor_apply_kernelINS1_18TensorListMetadataILi2EEENS1_21BinaryOpScalarFunctorIsLi2ELi1ELi1EEEJSt4plusIsEsEEEvT_T0_DpT1_,comdat
.Lfunc_end16:
	.size	_ZN2at6native12_GLOBAL__N_125multi_tensor_apply_kernelINS1_18TensorListMetadataILi2EEENS1_21BinaryOpScalarFunctorIsLi2ELi1ELi1EEEJSt4plusIsEsEEEvT_T0_DpT1_, .Lfunc_end16-_ZN2at6native12_GLOBAL__N_125multi_tensor_apply_kernelINS1_18TensorListMetadataILi2EEENS1_21BinaryOpScalarFunctorIsLi2ELi1ELi1EEEJSt4plusIsEsEEEvT_T0_DpT1_
                                        ; -- End function
	.set _ZN2at6native12_GLOBAL__N_125multi_tensor_apply_kernelINS1_18TensorListMetadataILi2EEENS1_21BinaryOpScalarFunctorIsLi2ELi1ELi1EEEJSt4plusIsEsEEEvT_T0_DpT1_.num_vgpr, 29
	.set _ZN2at6native12_GLOBAL__N_125multi_tensor_apply_kernelINS1_18TensorListMetadataILi2EEENS1_21BinaryOpScalarFunctorIsLi2ELi1ELi1EEEJSt4plusIsEsEEEvT_T0_DpT1_.num_agpr, 0
	.set _ZN2at6native12_GLOBAL__N_125multi_tensor_apply_kernelINS1_18TensorListMetadataILi2EEENS1_21BinaryOpScalarFunctorIsLi2ELi1ELi1EEEJSt4plusIsEsEEEvT_T0_DpT1_.numbered_sgpr, 25
	.set _ZN2at6native12_GLOBAL__N_125multi_tensor_apply_kernelINS1_18TensorListMetadataILi2EEENS1_21BinaryOpScalarFunctorIsLi2ELi1ELi1EEEJSt4plusIsEsEEEvT_T0_DpT1_.num_named_barrier, 0
	.set _ZN2at6native12_GLOBAL__N_125multi_tensor_apply_kernelINS1_18TensorListMetadataILi2EEENS1_21BinaryOpScalarFunctorIsLi2ELi1ELi1EEEJSt4plusIsEsEEEvT_T0_DpT1_.private_seg_size, 0
	.set _ZN2at6native12_GLOBAL__N_125multi_tensor_apply_kernelINS1_18TensorListMetadataILi2EEENS1_21BinaryOpScalarFunctorIsLi2ELi1ELi1EEEJSt4plusIsEsEEEvT_T0_DpT1_.uses_vcc, 1
	.set _ZN2at6native12_GLOBAL__N_125multi_tensor_apply_kernelINS1_18TensorListMetadataILi2EEENS1_21BinaryOpScalarFunctorIsLi2ELi1ELi1EEEJSt4plusIsEsEEEvT_T0_DpT1_.uses_flat_scratch, 0
	.set _ZN2at6native12_GLOBAL__N_125multi_tensor_apply_kernelINS1_18TensorListMetadataILi2EEENS1_21BinaryOpScalarFunctorIsLi2ELi1ELi1EEEJSt4plusIsEsEEEvT_T0_DpT1_.has_dyn_sized_stack, 0
	.set _ZN2at6native12_GLOBAL__N_125multi_tensor_apply_kernelINS1_18TensorListMetadataILi2EEENS1_21BinaryOpScalarFunctorIsLi2ELi1ELi1EEEJSt4plusIsEsEEEvT_T0_DpT1_.has_recursion, 0
	.set _ZN2at6native12_GLOBAL__N_125multi_tensor_apply_kernelINS1_18TensorListMetadataILi2EEENS1_21BinaryOpScalarFunctorIsLi2ELi1ELi1EEEJSt4plusIsEsEEEvT_T0_DpT1_.has_indirect_call, 0
	.section	.AMDGPU.csdata,"",@progbits
; Kernel info:
; codeLenInByte = 1712
; TotalNumSgprs: 27
; NumVgprs: 29
; ScratchSize: 0
; MemoryBound: 0
; FloatMode: 240
; IeeeMode: 1
; LDSByteSize: 0 bytes/workgroup (compile time only)
; SGPRBlocks: 0
; VGPRBlocks: 3
; NumSGPRsForWavesPerEU: 27
; NumVGPRsForWavesPerEU: 29
; Occupancy: 16
; WaveLimiterHint : 0
; COMPUTE_PGM_RSRC2:SCRATCH_EN: 0
; COMPUTE_PGM_RSRC2:USER_SGPR: 2
; COMPUTE_PGM_RSRC2:TRAP_HANDLER: 0
; COMPUTE_PGM_RSRC2:TGID_X_EN: 1
; COMPUTE_PGM_RSRC2:TGID_Y_EN: 0
; COMPUTE_PGM_RSRC2:TGID_Z_EN: 0
; COMPUTE_PGM_RSRC2:TIDIG_COMP_CNT: 0
	.section	.text._ZN2at6native12_GLOBAL__N_125multi_tensor_apply_kernelINS1_18TensorListMetadataILi2EEENS1_21BinaryOpScalarFunctorIdLi2ELi1ELi1EEEJSt4plusIdEdEEEvT_T0_DpT1_,"axG",@progbits,_ZN2at6native12_GLOBAL__N_125multi_tensor_apply_kernelINS1_18TensorListMetadataILi2EEENS1_21BinaryOpScalarFunctorIdLi2ELi1ELi1EEEJSt4plusIdEdEEEvT_T0_DpT1_,comdat
	.globl	_ZN2at6native12_GLOBAL__N_125multi_tensor_apply_kernelINS1_18TensorListMetadataILi2EEENS1_21BinaryOpScalarFunctorIdLi2ELi1ELi1EEEJSt4plusIdEdEEEvT_T0_DpT1_ ; -- Begin function _ZN2at6native12_GLOBAL__N_125multi_tensor_apply_kernelINS1_18TensorListMetadataILi2EEENS1_21BinaryOpScalarFunctorIdLi2ELi1ELi1EEEJSt4plusIdEdEEEvT_T0_DpT1_
	.p2align	8
	.type	_ZN2at6native12_GLOBAL__N_125multi_tensor_apply_kernelINS1_18TensorListMetadataILi2EEENS1_21BinaryOpScalarFunctorIdLi2ELi1ELi1EEEJSt4plusIdEdEEEvT_T0_DpT1_,@function
_ZN2at6native12_GLOBAL__N_125multi_tensor_apply_kernelINS1_18TensorListMetadataILi2EEENS1_21BinaryOpScalarFunctorIdLi2ELi1ELi1EEEJSt4plusIdEdEEEvT_T0_DpT1_: ; @_ZN2at6native12_GLOBAL__N_125multi_tensor_apply_kernelINS1_18TensorListMetadataILi2EEENS1_21BinaryOpScalarFunctorIdLi2ELi1ELi1EEEJSt4plusIdEdEEEvT_T0_DpT1_
; %bb.0:
	s_load_u8 s8, s[0:1], ttmp9 offset:0x600
	s_mov_b32 s2, ttmp9
	s_mov_b32 s3, 0
	s_delay_alu instid0(SALU_CYCLE_1)
	s_mul_u64 s[4:5], s[2:3], 3
	s_add_nc_u64 s[6:7], s[0:1], s[2:3]
	s_mov_b32 s17, s3
	s_add_nc_u64 s[4:5], s[6:7], s[4:5]
	s_mov_b32 s19, s3
	s_load_b32 s4, s[4:5], 0x740
	s_wait_kmcnt 0x0
	s_lshl_b32 s2, s8, 3
	s_clause 0x3
	s_load_b64 s[6:7], s[0:1], s2 offset:0x0
	s_load_b64 s[8:9], s[0:1], s2 offset:0x200
	;; [unrolled: 1-line block ×3, first 2 shown]
	s_load_b64 s[10:11], s[0:1], 0xc50
	s_ashr_i32 s5, s4, 31
	s_delay_alu instid0(SALU_CYCLE_1)
	s_lshl_b64 s[12:13], s[4:5], 19
	s_lshl_b64 s[4:5], s[4:5], 16
	s_wait_kmcnt 0x0
	s_add_nc_u64 s[20:21], s[6:7], s[12:13]
	s_and_b32 s16, s8, 31
	s_and_b32 s18, s14, 3
	s_and_b32 s2, s20, 31
	s_or_b64 s[16:17], s[16:17], s[18:19]
	s_sub_nc_u64 s[14:15], s[14:15], s[4:5]
	s_or_b64 s[2:3], s[16:17], s[2:3]
	s_delay_alu instid0(SALU_CYCLE_1)
	s_cmp_eq_u64 s[2:3], 0
	s_mov_b32 s2, -1
	s_cbranch_scc1 .LBB17_21
; %bb.1:
	v_cmp_lt_i64_e64 s2, s[14:15], 1
	s_and_b32 vcc_lo, exec_lo, s2
	s_cbranch_vccnz .LBB17_20
; %bb.2:
	s_load_b32 s2, s[0:1], 0xc64
	v_cmp_gt_i64_e64 s3, 0x10000, s[14:15]
	v_dual_mov_b32 v2, 0 :: v_dual_lshlrev_b32 v1, 3, v0
	v_cmp_gt_u64_e64 s4, 0x10000, s[14:15]
	s_mov_b32 s17, 0
	s_mov_b64 s[22:23], 0
	s_and_b32 s3, s3, exec_lo
	s_cselect_b32 s19, s15, 0
	s_cselect_b32 s18, s14, 0x10000
	v_add_co_u32 v11, s3, s8, v1
	v_add_co_u32 v9, s5, s6, v1
	v_add_co_ci_u32_e64 v12, null, s9, 0, s3
	v_add_co_ci_u32_e64 v10, null, s7, 0, s5
	s_wait_kmcnt 0x0
	s_and_b32 s2, s2, 0xffff
	s_and_b32 s3, s4, exec_lo
	s_wait_alu 0xfffe
	v_mad_co_u64_u32 v[2:3], null, s2, 24, v[1:2]
	s_cselect_b32 s21, s15, 0
	s_cselect_b32 s20, s14, 0x10000
	s_mul_i32 s4, s2, 3
	s_lshl_b32 s5, s2, 4
	s_wait_alu 0xfffe
	v_add_co_u32 v17, s4, s4, v0
	v_add_co_u32 v13, vcc_lo, s6, v2
	v_add_co_u32 v1, s5, s5, v1
	v_add_co_ci_u32_e64 v14, null, s7, v3, vcc_lo
	v_add_co_u32 v15, vcc_lo, s8, v2
	s_wait_alu 0xf1ff
	v_add_co_ci_u32_e64 v2, null, 0, 0, s5
	v_add_co_ci_u32_e64 v18, null, 0, 0, s4
	v_add_co_u32 v21, s4, v0, s2
	s_wait_alu 0xfffd
	v_add_co_ci_u32_e64 v16, null, s9, v3, vcc_lo
	v_add_co_u32 v19, vcc_lo, s6, v1
	s_wait_alu 0xfffd
	v_add_co_ci_u32_e64 v20, null, s7, v2, vcc_lo
	v_add_co_u32 v22, vcc_lo, s8, v1
	v_lshlrev_b32_e32 v1, 3, v21
	s_lshl_b32 s3, s2, 1
	s_wait_alu 0xfffd
	v_add_co_ci_u32_e64 v23, null, s9, v2, vcc_lo
	s_wait_alu 0xfffe
	v_add_co_u32 v25, s3, s3, v0
	s_wait_alu 0xf1ff
	v_add_co_ci_u32_e64 v26, null, 0, 0, s3
	v_add_co_u32 v27, s3, s6, v1
	s_wait_alu 0xf1ff
	v_add_co_ci_u32_e64 v28, null, s7, 0, s3
	v_add_co_u32 v29, s3, s8, v1
	v_add_co_ci_u32_e64 v24, null, 0, 0, s4
	s_wait_alu 0xf1ff
	v_add_co_ci_u32_e64 v30, null, s9, 0, s3
	s_lshl_b32 s16, s2, 2
	s_lshl_b32 s24, s2, 5
	s_branch .LBB17_4
.LBB17_3:                               ;   in Loop: Header=BB17_4 Depth=1
	s_wait_alu 0xfffe
	s_or_b32 exec_lo, exec_lo, s2
	v_add_co_u32 v9, vcc_lo, v9, s24
	s_wait_alu 0xfffd
	v_add_co_ci_u32_e64 v10, null, 0, v10, vcc_lo
	v_add_co_u32 v11, vcc_lo, v11, s24
	s_wait_alu 0xfffd
	v_add_co_ci_u32_e64 v12, null, 0, v12, vcc_lo
	;; [unrolled: 3-line block ×5, first 2 shown]
	v_add_co_u32 v22, vcc_lo, v22, s24
	s_add_nc_u64 s[22:23], s[22:23], s[16:17]
	s_wait_alu 0xfffd
	v_add_co_ci_u32_e64 v23, null, 0, v23, vcc_lo
	v_add_co_u32 v27, vcc_lo, v27, s24
	s_wait_alu 0xfffe
	v_cmp_lt_i64_e64 s2, s[22:23], s[18:19]
	s_wait_alu 0xfffd
	v_add_co_ci_u32_e64 v28, null, 0, v28, vcc_lo
	v_add_co_u32 v29, vcc_lo, v29, s24
	s_wait_alu 0xfffd
	v_add_co_ci_u32_e64 v30, null, 0, v30, vcc_lo
	s_and_b32 vcc_lo, exec_lo, s2
	s_wait_alu 0xfffe
	s_cbranch_vccz .LBB17_20
.LBB17_4:                               ; =>This Inner Loop Header: Depth=1
	s_wait_loadcnt 0x0
	v_add_co_u32 v3, s2, v0, s22
	s_wait_alu 0xf1ff
	v_add_co_ci_u32_e64 v4, null, 0, s23, s2
	v_mov_b32_e32 v1, 0
	v_mov_b32_e32 v2, 0
	s_delay_alu instid0(VALU_DEP_3)
	v_cmp_gt_u64_e32 vcc_lo, s[20:21], v[3:4]
	v_mov_b32_e32 v3, 0
	v_mov_b32_e32 v4, 0
	s_and_saveexec_b32 s3, vcc_lo
	s_cbranch_execz .LBB17_6
; %bb.5:                                ;   in Loop: Header=BB17_4 Depth=1
	v_add_co_u32 v3, s2, v9, s12
	s_wait_alu 0xf1ff
	v_add_co_ci_u32_e64 v4, null, s13, v10, s2
	global_load_b64 v[3:4], v[3:4], off
.LBB17_6:                               ;   in Loop: Header=BB17_4 Depth=1
	s_wait_alu 0xfffe
	s_or_b32 exec_lo, exec_lo, s3
	v_add_co_u32 v5, s2, v21, s22
	s_wait_alu 0xf1ff
	v_add_co_ci_u32_e64 v6, null, s23, v24, s2
	s_delay_alu instid0(VALU_DEP_1)
	v_cmp_gt_u64_e64 s2, s[20:21], v[5:6]
	s_and_saveexec_b32 s4, s2
	s_cbranch_execz .LBB17_8
; %bb.7:                                ;   in Loop: Header=BB17_4 Depth=1
	v_add_co_u32 v1, s3, v27, s12
	s_wait_alu 0xf1ff
	v_add_co_ci_u32_e64 v2, null, s13, v28, s3
	global_load_b64 v[1:2], v[1:2], off
.LBB17_8:                               ;   in Loop: Header=BB17_4 Depth=1
	s_wait_alu 0xfffe
	s_or_b32 exec_lo, exec_lo, s4
	v_add_co_u32 v7, s3, v25, s22
	s_wait_alu 0xf1ff
	v_add_co_ci_u32_e64 v8, null, s23, v26, s3
	v_mov_b32_e32 v5, 0
	v_mov_b32_e32 v6, 0
	s_delay_alu instid0(VALU_DEP_3)
	v_cmp_gt_u64_e64 s3, s[20:21], v[7:8]
	v_mov_b32_e32 v7, 0
	v_mov_b32_e32 v8, 0
	s_and_saveexec_b32 s5, s3
	s_cbranch_execz .LBB17_10
; %bb.9:                                ;   in Loop: Header=BB17_4 Depth=1
	v_add_co_u32 v7, s4, v19, s12
	s_wait_alu 0xf1ff
	v_add_co_ci_u32_e64 v8, null, s13, v20, s4
	global_load_b64 v[7:8], v[7:8], off
.LBB17_10:                              ;   in Loop: Header=BB17_4 Depth=1
	s_wait_alu 0xfffe
	s_or_b32 exec_lo, exec_lo, s5
	v_add_co_u32 v31, s4, v17, s22
	s_wait_alu 0xf1ff
	v_add_co_ci_u32_e64 v32, null, s23, v18, s4
	s_delay_alu instid0(VALU_DEP_1)
	v_cmp_gt_u64_e64 s4, s[20:21], v[31:32]
	s_and_saveexec_b32 s25, s4
	s_cbranch_execnz .LBB17_15
; %bb.11:                               ;   in Loop: Header=BB17_4 Depth=1
	s_wait_alu 0xfffe
	s_or_b32 exec_lo, exec_lo, s25
	s_and_saveexec_b32 s5, vcc_lo
	s_cbranch_execnz .LBB17_16
.LBB17_12:                              ;   in Loop: Header=BB17_4 Depth=1
	s_wait_alu 0xfffe
	s_or_b32 exec_lo, exec_lo, s5
	s_and_saveexec_b32 s5, s2
	s_cbranch_execnz .LBB17_17
.LBB17_13:                              ;   in Loop: Header=BB17_4 Depth=1
	s_wait_alu 0xfffe
	s_or_b32 exec_lo, exec_lo, s5
	s_and_saveexec_b32 s2, s3
	s_cbranch_execnz .LBB17_18
.LBB17_14:                              ;   in Loop: Header=BB17_4 Depth=1
	s_wait_alu 0xfffe
	s_or_b32 exec_lo, exec_lo, s2
	s_and_saveexec_b32 s2, s4
	s_cbranch_execz .LBB17_3
	s_branch .LBB17_19
.LBB17_15:                              ;   in Loop: Header=BB17_4 Depth=1
	v_add_co_u32 v5, s5, v13, s12
	s_wait_alu 0xf1ff
	v_add_co_ci_u32_e64 v6, null, s13, v14, s5
	global_load_b64 v[5:6], v[5:6], off
	s_wait_alu 0xfffe
	s_or_b32 exec_lo, exec_lo, s25
	s_and_saveexec_b32 s5, vcc_lo
	s_cbranch_execz .LBB17_12
.LBB17_16:                              ;   in Loop: Header=BB17_4 Depth=1
	s_wait_loadcnt 0x0
	v_add_f64_e32 v[3:4], s[10:11], v[3:4]
	v_add_co_u32 v31, vcc_lo, v11, s12
	s_wait_alu 0xfffd
	v_add_co_ci_u32_e64 v32, null, s13, v12, vcc_lo
	global_store_b64 v[31:32], v[3:4], off
	s_wait_alu 0xfffe
	s_or_b32 exec_lo, exec_lo, s5
	s_and_saveexec_b32 s5, s2
	s_cbranch_execz .LBB17_13
.LBB17_17:                              ;   in Loop: Header=BB17_4 Depth=1
	s_wait_loadcnt 0x0
	v_add_f64_e32 v[1:2], s[10:11], v[1:2]
	v_add_co_u32 v3, vcc_lo, v29, s12
	s_wait_alu 0xfffd
	v_add_co_ci_u32_e64 v4, null, s13, v30, vcc_lo
	global_store_b64 v[3:4], v[1:2], off
	s_wait_alu 0xfffe
	s_or_b32 exec_lo, exec_lo, s5
	s_and_saveexec_b32 s2, s3
	s_cbranch_execz .LBB17_14
.LBB17_18:                              ;   in Loop: Header=BB17_4 Depth=1
	s_wait_loadcnt 0x0
	v_add_f64_e32 v[1:2], s[10:11], v[7:8]
	v_add_co_u32 v3, vcc_lo, v22, s12
	s_wait_alu 0xfffd
	v_add_co_ci_u32_e64 v4, null, s13, v23, vcc_lo
	global_store_b64 v[3:4], v[1:2], off
	s_wait_alu 0xfffe
	s_or_b32 exec_lo, exec_lo, s2
	s_and_saveexec_b32 s2, s4
	s_cbranch_execz .LBB17_3
.LBB17_19:                              ;   in Loop: Header=BB17_4 Depth=1
	s_wait_loadcnt 0x0
	v_add_f64_e32 v[1:2], s[10:11], v[5:6]
	v_add_co_u32 v3, vcc_lo, v15, s12
	s_wait_alu 0xfffd
	v_add_co_ci_u32_e64 v4, null, s13, v16, vcc_lo
	global_store_b64 v[3:4], v[1:2], off
	s_branch .LBB17_3
.LBB17_20:
	s_mov_b32 s2, 0
.LBB17_21:
	s_wait_alu 0xfffe
	s_and_not1_b32 vcc_lo, exec_lo, s2
	s_wait_alu 0xfffe
	s_cbranch_vccnz .LBB17_25
; %bb.22:
	v_cmp_gt_i64_e64 s2, 0x10000, s[14:15]
	s_wait_loadcnt 0x0
	v_dual_mov_b32 v2, 0 :: v_dual_lshlrev_b32 v1, 2, v0
	s_mov_b32 s4, 0
	s_mov_b32 s5, exec_lo
	s_and_b32 s2, s2, exec_lo
	s_cselect_b32 s3, s15, 0
	s_cselect_b32 s2, s14, 0x10000
	s_wait_alu 0xfffe
	v_cmpx_gt_i64_e64 s[2:3], v[1:2]
	s_cbranch_execz .LBB17_25
; %bb.23:
	s_load_b32 s0, s[0:1], 0xc64
	v_lshlrev_b32_e32 v3, 5, v0
	v_mov_b32_e32 v1, v2
	s_delay_alu instid0(VALU_DEP_2) | instskip(NEXT) | instid1(VALU_DEP_1)
	v_add_co_u32 v2, s1, s12, v3
	v_add_co_ci_u32_e64 v3, null, s13, 0, s1
	s_wait_kmcnt 0x0
	s_and_b32 s1, s0, 0xffff
	s_wait_alu 0xfffe
	s_lshl_b32 s5, s1, 5
.LBB17_24:                              ; =>This Inner Loop Header: Depth=1
	v_add_co_u32 v8, vcc_lo, s6, v2
	s_wait_alu 0xfffd
	v_add_co_ci_u32_e64 v9, null, s7, v3, vcc_lo
	v_add_co_u32 v0, vcc_lo, v0, s1
	s_wait_alu 0xfffd
	v_add_co_ci_u32_e64 v1, null, 0, v1, vcc_lo
	s_clause 0x1
	global_load_b128 v[4:7], v[8:9], off
	global_load_b128 v[8:11], v[8:9], off offset:16
	v_add_co_u32 v14, vcc_lo, s8, v2
	v_lshlrev_b64_e32 v[12:13], 2, v[0:1]
	s_wait_alu 0xfffd
	v_add_co_ci_u32_e64 v15, null, s9, v3, vcc_lo
	s_wait_alu 0xfffe
	v_add_co_u32 v2, s0, v2, s5
	s_wait_alu 0xf1ff
	v_add_co_ci_u32_e64 v3, null, 0, v3, s0
	v_cmp_le_i64_e32 vcc_lo, s[2:3], v[12:13]
	s_or_b32 s4, vcc_lo, s4
	s_wait_loadcnt 0x1
	v_add_f64_e32 v[4:5], s[10:11], v[4:5]
	v_add_f64_e32 v[6:7], s[10:11], v[6:7]
	s_wait_loadcnt 0x0
	v_add_f64_e32 v[8:9], s[10:11], v[8:9]
	v_add_f64_e32 v[10:11], s[10:11], v[10:11]
	s_clause 0x1
	global_store_b128 v[14:15], v[4:7], off
	global_store_b128 v[14:15], v[8:11], off offset:16
	s_wait_alu 0xfffe
	s_and_not1_b32 exec_lo, exec_lo, s4
	s_cbranch_execnz .LBB17_24
.LBB17_25:
	s_endpgm
	.section	.rodata,"a",@progbits
	.p2align	6, 0x0
	.amdhsa_kernel _ZN2at6native12_GLOBAL__N_125multi_tensor_apply_kernelINS1_18TensorListMetadataILi2EEENS1_21BinaryOpScalarFunctorIdLi2ELi1ELi1EEEJSt4plusIdEdEEEvT_T0_DpT1_
		.amdhsa_group_segment_fixed_size 0
		.amdhsa_private_segment_fixed_size 0
		.amdhsa_kernarg_size 3416
		.amdhsa_user_sgpr_count 2
		.amdhsa_user_sgpr_dispatch_ptr 0
		.amdhsa_user_sgpr_queue_ptr 0
		.amdhsa_user_sgpr_kernarg_segment_ptr 1
		.amdhsa_user_sgpr_dispatch_id 0
		.amdhsa_user_sgpr_private_segment_size 0
		.amdhsa_wavefront_size32 1
		.amdhsa_uses_dynamic_stack 0
		.amdhsa_enable_private_segment 0
		.amdhsa_system_sgpr_workgroup_id_x 1
		.amdhsa_system_sgpr_workgroup_id_y 0
		.amdhsa_system_sgpr_workgroup_id_z 0
		.amdhsa_system_sgpr_workgroup_info 0
		.amdhsa_system_vgpr_workitem_id 0
		.amdhsa_next_free_vgpr 33
		.amdhsa_next_free_sgpr 26
		.amdhsa_reserve_vcc 1
		.amdhsa_float_round_mode_32 0
		.amdhsa_float_round_mode_16_64 0
		.amdhsa_float_denorm_mode_32 3
		.amdhsa_float_denorm_mode_16_64 3
		.amdhsa_fp16_overflow 0
		.amdhsa_workgroup_processor_mode 1
		.amdhsa_memory_ordered 1
		.amdhsa_forward_progress 1
		.amdhsa_inst_pref_size 14
		.amdhsa_round_robin_scheduling 0
		.amdhsa_exception_fp_ieee_invalid_op 0
		.amdhsa_exception_fp_denorm_src 0
		.amdhsa_exception_fp_ieee_div_zero 0
		.amdhsa_exception_fp_ieee_overflow 0
		.amdhsa_exception_fp_ieee_underflow 0
		.amdhsa_exception_fp_ieee_inexact 0
		.amdhsa_exception_int_div_zero 0
	.end_amdhsa_kernel
	.section	.text._ZN2at6native12_GLOBAL__N_125multi_tensor_apply_kernelINS1_18TensorListMetadataILi2EEENS1_21BinaryOpScalarFunctorIdLi2ELi1ELi1EEEJSt4plusIdEdEEEvT_T0_DpT1_,"axG",@progbits,_ZN2at6native12_GLOBAL__N_125multi_tensor_apply_kernelINS1_18TensorListMetadataILi2EEENS1_21BinaryOpScalarFunctorIdLi2ELi1ELi1EEEJSt4plusIdEdEEEvT_T0_DpT1_,comdat
.Lfunc_end17:
	.size	_ZN2at6native12_GLOBAL__N_125multi_tensor_apply_kernelINS1_18TensorListMetadataILi2EEENS1_21BinaryOpScalarFunctorIdLi2ELi1ELi1EEEJSt4plusIdEdEEEvT_T0_DpT1_, .Lfunc_end17-_ZN2at6native12_GLOBAL__N_125multi_tensor_apply_kernelINS1_18TensorListMetadataILi2EEENS1_21BinaryOpScalarFunctorIdLi2ELi1ELi1EEEJSt4plusIdEdEEEvT_T0_DpT1_
                                        ; -- End function
	.set _ZN2at6native12_GLOBAL__N_125multi_tensor_apply_kernelINS1_18TensorListMetadataILi2EEENS1_21BinaryOpScalarFunctorIdLi2ELi1ELi1EEEJSt4plusIdEdEEEvT_T0_DpT1_.num_vgpr, 33
	.set _ZN2at6native12_GLOBAL__N_125multi_tensor_apply_kernelINS1_18TensorListMetadataILi2EEENS1_21BinaryOpScalarFunctorIdLi2ELi1ELi1EEEJSt4plusIdEdEEEvT_T0_DpT1_.num_agpr, 0
	.set _ZN2at6native12_GLOBAL__N_125multi_tensor_apply_kernelINS1_18TensorListMetadataILi2EEENS1_21BinaryOpScalarFunctorIdLi2ELi1ELi1EEEJSt4plusIdEdEEEvT_T0_DpT1_.numbered_sgpr, 26
	.set _ZN2at6native12_GLOBAL__N_125multi_tensor_apply_kernelINS1_18TensorListMetadataILi2EEENS1_21BinaryOpScalarFunctorIdLi2ELi1ELi1EEEJSt4plusIdEdEEEvT_T0_DpT1_.num_named_barrier, 0
	.set _ZN2at6native12_GLOBAL__N_125multi_tensor_apply_kernelINS1_18TensorListMetadataILi2EEENS1_21BinaryOpScalarFunctorIdLi2ELi1ELi1EEEJSt4plusIdEdEEEvT_T0_DpT1_.private_seg_size, 0
	.set _ZN2at6native12_GLOBAL__N_125multi_tensor_apply_kernelINS1_18TensorListMetadataILi2EEENS1_21BinaryOpScalarFunctorIdLi2ELi1ELi1EEEJSt4plusIdEdEEEvT_T0_DpT1_.uses_vcc, 1
	.set _ZN2at6native12_GLOBAL__N_125multi_tensor_apply_kernelINS1_18TensorListMetadataILi2EEENS1_21BinaryOpScalarFunctorIdLi2ELi1ELi1EEEJSt4plusIdEdEEEvT_T0_DpT1_.uses_flat_scratch, 0
	.set _ZN2at6native12_GLOBAL__N_125multi_tensor_apply_kernelINS1_18TensorListMetadataILi2EEENS1_21BinaryOpScalarFunctorIdLi2ELi1ELi1EEEJSt4plusIdEdEEEvT_T0_DpT1_.has_dyn_sized_stack, 0
	.set _ZN2at6native12_GLOBAL__N_125multi_tensor_apply_kernelINS1_18TensorListMetadataILi2EEENS1_21BinaryOpScalarFunctorIdLi2ELi1ELi1EEEJSt4plusIdEdEEEvT_T0_DpT1_.has_recursion, 0
	.set _ZN2at6native12_GLOBAL__N_125multi_tensor_apply_kernelINS1_18TensorListMetadataILi2EEENS1_21BinaryOpScalarFunctorIdLi2ELi1ELi1EEEJSt4plusIdEdEEEvT_T0_DpT1_.has_indirect_call, 0
	.section	.AMDGPU.csdata,"",@progbits
; Kernel info:
; codeLenInByte = 1700
; TotalNumSgprs: 28
; NumVgprs: 33
; ScratchSize: 0
; MemoryBound: 0
; FloatMode: 240
; IeeeMode: 1
; LDSByteSize: 0 bytes/workgroup (compile time only)
; SGPRBlocks: 0
; VGPRBlocks: 4
; NumSGPRsForWavesPerEU: 28
; NumVGPRsForWavesPerEU: 33
; Occupancy: 16
; WaveLimiterHint : 0
; COMPUTE_PGM_RSRC2:SCRATCH_EN: 0
; COMPUTE_PGM_RSRC2:USER_SGPR: 2
; COMPUTE_PGM_RSRC2:TRAP_HANDLER: 0
; COMPUTE_PGM_RSRC2:TGID_X_EN: 1
; COMPUTE_PGM_RSRC2:TGID_Y_EN: 0
; COMPUTE_PGM_RSRC2:TGID_Z_EN: 0
; COMPUTE_PGM_RSRC2:TIDIG_COMP_CNT: 0
	.section	.text._ZN2at6native12_GLOBAL__N_125multi_tensor_apply_kernelINS1_18TensorListMetadataILi2EEENS1_21BinaryOpScalarFunctorIfLi2ELi1ELi1EEEJSt4plusIfEfEEEvT_T0_DpT1_,"axG",@progbits,_ZN2at6native12_GLOBAL__N_125multi_tensor_apply_kernelINS1_18TensorListMetadataILi2EEENS1_21BinaryOpScalarFunctorIfLi2ELi1ELi1EEEJSt4plusIfEfEEEvT_T0_DpT1_,comdat
	.globl	_ZN2at6native12_GLOBAL__N_125multi_tensor_apply_kernelINS1_18TensorListMetadataILi2EEENS1_21BinaryOpScalarFunctorIfLi2ELi1ELi1EEEJSt4plusIfEfEEEvT_T0_DpT1_ ; -- Begin function _ZN2at6native12_GLOBAL__N_125multi_tensor_apply_kernelINS1_18TensorListMetadataILi2EEENS1_21BinaryOpScalarFunctorIfLi2ELi1ELi1EEEJSt4plusIfEfEEEvT_T0_DpT1_
	.p2align	8
	.type	_ZN2at6native12_GLOBAL__N_125multi_tensor_apply_kernelINS1_18TensorListMetadataILi2EEENS1_21BinaryOpScalarFunctorIfLi2ELi1ELi1EEEJSt4plusIfEfEEEvT_T0_DpT1_,@function
_ZN2at6native12_GLOBAL__N_125multi_tensor_apply_kernelINS1_18TensorListMetadataILi2EEENS1_21BinaryOpScalarFunctorIfLi2ELi1ELi1EEEJSt4plusIfEfEEEvT_T0_DpT1_: ; @_ZN2at6native12_GLOBAL__N_125multi_tensor_apply_kernelINS1_18TensorListMetadataILi2EEENS1_21BinaryOpScalarFunctorIfLi2ELi1ELi1EEEJSt4plusIfEfEEEvT_T0_DpT1_
; %bb.0:
	s_load_u8 s8, s[0:1], ttmp9 offset:0x600
	s_mov_b32 s2, ttmp9
	s_mov_b32 s3, 0
	s_delay_alu instid0(SALU_CYCLE_1)
	s_mul_u64 s[4:5], s[2:3], 3
	s_add_nc_u64 s[6:7], s[0:1], s[2:3]
	s_mov_b32 s15, s3
	s_add_nc_u64 s[4:5], s[6:7], s[4:5]
	s_mov_b32 s17, s3
	s_load_b32 s4, s[4:5], 0x740
	s_wait_kmcnt 0x0
	s_lshl_b32 s2, s8, 3
	s_clause 0x3
	s_load_b64 s[6:7], s[0:1], s2 offset:0x0
	s_load_b64 s[8:9], s[0:1], s2 offset:0x200
	;; [unrolled: 1-line block ×3, first 2 shown]
	s_load_b32 s22, s[0:1], 0xc4c
	s_ashr_i32 s5, s4, 31
	s_delay_alu instid0(SALU_CYCLE_1)
	s_lshl_b64 s[10:11], s[4:5], 18
	s_lshl_b64 s[4:5], s[4:5], 16
	s_wait_kmcnt 0x0
	s_add_nc_u64 s[18:19], s[6:7], s[10:11]
	s_and_b32 s14, s8, 15
	s_and_b32 s16, s12, 3
	;; [unrolled: 1-line block ×3, first 2 shown]
	s_or_b64 s[14:15], s[14:15], s[16:17]
	s_sub_nc_u64 s[12:13], s[12:13], s[4:5]
	s_or_b64 s[2:3], s[14:15], s[2:3]
	s_delay_alu instid0(SALU_CYCLE_1)
	s_cmp_eq_u64 s[2:3], 0
	s_mov_b32 s2, -1
	s_cbranch_scc1 .LBB18_21
; %bb.1:
	v_cmp_lt_i64_e64 s2, s[12:13], 1
	s_and_b32 vcc_lo, exec_lo, s2
	s_cbranch_vccnz .LBB18_20
; %bb.2:
	s_load_b32 s2, s[0:1], 0xc5c
	v_cmp_gt_i64_e64 s3, 0x10000, s[12:13]
	v_dual_mov_b32 v10, 0 :: v_dual_lshlrev_b32 v9, 2, v0
	v_cmp_gt_u64_e64 s4, 0x10000, s[12:13]
	s_mov_b32 s15, 0
	s_mov_b64 s[20:21], 0
	s_and_b32 s3, s3, exec_lo
	v_add_co_u32 v3, s3, s8, v9
	v_add_co_u32 v1, s5, s6, v9
	s_cselect_b32 s17, s13, 0
	s_cselect_b32 s16, s12, 0x10000
	v_add_co_ci_u32_e64 v4, null, s9, 0, s3
	v_add_co_ci_u32_e64 v2, null, s7, 0, s5
	s_wait_kmcnt 0x0
	s_and_b32 s2, s2, 0xffff
	s_and_b32 s3, s4, exec_lo
	s_cselect_b32 s19, s13, 0
	s_cselect_b32 s18, s12, 0x10000
	s_wait_alu 0xfffe
	s_mul_i32 s4, s2, 3
	s_lshl_b32 s5, s2, 3
	v_mad_co_u64_u32 v[7:8], null, s2, 12, v[9:10]
	s_wait_alu 0xfffe
	v_add_co_u32 v14, s5, s5, v9
	v_add_co_u32 v9, s4, s4, v0
	s_wait_alu 0xf1ff
	v_add_co_ci_u32_e64 v10, null, 0, 0, s4
	v_add_co_u32 v13, s4, v0, s2
	s_lshl_b32 s3, s2, 1
	v_add_co_u32 v5, vcc_lo, s6, v7
	v_lshlrev_b32_e32 v21, 2, v13
	v_add_co_ci_u32_e64 v15, null, 0, 0, s5
	v_add_co_ci_u32_e64 v6, null, s7, v8, vcc_lo
	v_add_co_u32 v7, vcc_lo, s8, v7
	s_wait_alu 0xfffe
	v_add_co_u32 v17, s3, s3, v0
	s_wait_alu 0xfffd
	v_add_co_ci_u32_e64 v8, null, s9, v8, vcc_lo
	v_add_co_u32 v11, vcc_lo, s6, v14
	s_wait_alu 0xf1ff
	v_add_co_ci_u32_e64 v18, null, 0, 0, s3
	v_add_co_u32 v19, s3, s6, v21
	s_wait_alu 0xfffd
	v_add_co_ci_u32_e64 v12, null, s7, v15, vcc_lo
	v_add_co_u32 v14, vcc_lo, s8, v14
	s_wait_alu 0xf1ff
	v_add_co_ci_u32_e64 v20, null, s7, 0, s3
	v_add_co_u32 v21, s3, s8, v21
	s_wait_alu 0xfffd
	v_add_co_ci_u32_e64 v15, null, s9, v15, vcc_lo
	v_add_co_ci_u32_e64 v16, null, 0, 0, s4
	s_wait_alu 0xf1ff
	v_add_co_ci_u32_e64 v22, null, s9, 0, s3
	s_lshl_b32 s14, s2, 2
	s_lshl_b32 s23, s2, 4
	s_branch .LBB18_4
.LBB18_3:                               ;   in Loop: Header=BB18_4 Depth=1
	s_wait_alu 0xfffe
	s_or_b32 exec_lo, exec_lo, s2
	v_add_co_u32 v1, vcc_lo, v1, s23
	s_wait_alu 0xfffd
	v_add_co_ci_u32_e64 v2, null, 0, v2, vcc_lo
	v_add_co_u32 v3, vcc_lo, v3, s23
	s_wait_alu 0xfffd
	v_add_co_ci_u32_e64 v4, null, 0, v4, vcc_lo
	v_add_co_u32 v5, vcc_lo, v5, s23
	s_wait_alu 0xfffd
	v_add_co_ci_u32_e64 v6, null, 0, v6, vcc_lo
	v_add_co_u32 v7, vcc_lo, v7, s23
	s_wait_alu 0xfffd
	v_add_co_ci_u32_e64 v8, null, 0, v8, vcc_lo
	v_add_co_u32 v11, vcc_lo, v11, s23
	s_wait_alu 0xfffd
	v_add_co_ci_u32_e64 v12, null, 0, v12, vcc_lo
	v_add_co_u32 v14, vcc_lo, v14, s23
	s_add_nc_u64 s[20:21], s[20:21], s[14:15]
	s_wait_alu 0xfffd
	v_add_co_ci_u32_e64 v15, null, 0, v15, vcc_lo
	v_add_co_u32 v19, vcc_lo, v19, s23
	s_wait_alu 0xfffe
	v_cmp_lt_i64_e64 s2, s[20:21], s[16:17]
	s_wait_alu 0xfffd
	v_add_co_ci_u32_e64 v20, null, 0, v20, vcc_lo
	v_add_co_u32 v21, vcc_lo, v21, s23
	s_wait_alu 0xfffd
	v_add_co_ci_u32_e64 v22, null, 0, v22, vcc_lo
	s_and_b32 vcc_lo, exec_lo, s2
	s_wait_alu 0xfffe
	s_cbranch_vccz .LBB18_20
.LBB18_4:                               ; =>This Inner Loop Header: Depth=1
	s_wait_loadcnt 0x0
	v_add_co_u32 v23, s2, v0, s20
	s_wait_alu 0xf1ff
	v_add_co_ci_u32_e64 v24, null, 0, s21, s2
	s_delay_alu instid0(VALU_DEP_1)
	v_cmp_gt_u64_e32 vcc_lo, s[18:19], v[23:24]
	v_mov_b32_e32 v24, 0
	s_and_saveexec_b32 s3, vcc_lo
	s_cbranch_execz .LBB18_6
; %bb.5:                                ;   in Loop: Header=BB18_4 Depth=1
	v_add_co_u32 v23, s2, v1, s10
	s_wait_alu 0xf1ff
	v_add_co_ci_u32_e64 v24, null, s11, v2, s2
	global_load_b32 v24, v[23:24], off
.LBB18_6:                               ;   in Loop: Header=BB18_4 Depth=1
	s_wait_alu 0xfffe
	s_or_b32 exec_lo, exec_lo, s3
	v_add_co_u32 v25, s2, v13, s20
	s_wait_alu 0xf1ff
	v_add_co_ci_u32_e64 v26, null, s21, v16, s2
	v_mov_b32_e32 v23, 0
	s_delay_alu instid0(VALU_DEP_2)
	v_cmp_gt_u64_e64 s2, s[18:19], v[25:26]
	v_mov_b32_e32 v25, 0
	s_and_saveexec_b32 s4, s2
	s_cbranch_execz .LBB18_8
; %bb.7:                                ;   in Loop: Header=BB18_4 Depth=1
	v_add_co_u32 v25, s3, v19, s10
	s_wait_alu 0xf1ff
	v_add_co_ci_u32_e64 v26, null, s11, v20, s3
	global_load_b32 v25, v[25:26], off
.LBB18_8:                               ;   in Loop: Header=BB18_4 Depth=1
	s_wait_alu 0xfffe
	s_or_b32 exec_lo, exec_lo, s4
	v_add_co_u32 v26, s3, v17, s20
	s_wait_alu 0xf1ff
	v_add_co_ci_u32_e64 v27, null, s21, v18, s3
	s_delay_alu instid0(VALU_DEP_1)
	v_cmp_gt_u64_e64 s3, s[18:19], v[26:27]
	s_and_saveexec_b32 s5, s3
	s_cbranch_execz .LBB18_10
; %bb.9:                                ;   in Loop: Header=BB18_4 Depth=1
	v_add_co_u32 v26, s4, v11, s10
	s_wait_alu 0xf1ff
	v_add_co_ci_u32_e64 v27, null, s11, v12, s4
	global_load_b32 v23, v[26:27], off
.LBB18_10:                              ;   in Loop: Header=BB18_4 Depth=1
	s_wait_alu 0xfffe
	s_or_b32 exec_lo, exec_lo, s5
	v_add_co_u32 v26, s4, v9, s20
	s_wait_alu 0xf1ff
	v_add_co_ci_u32_e64 v27, null, s21, v10, s4
	s_delay_alu instid0(VALU_DEP_1)
	v_cmp_gt_u64_e64 s4, s[18:19], v[26:27]
	v_mov_b32_e32 v26, 0
	s_and_saveexec_b32 s24, s4
	s_cbranch_execnz .LBB18_15
; %bb.11:                               ;   in Loop: Header=BB18_4 Depth=1
	s_or_b32 exec_lo, exec_lo, s24
	s_and_saveexec_b32 s5, vcc_lo
	s_cbranch_execnz .LBB18_16
.LBB18_12:                              ;   in Loop: Header=BB18_4 Depth=1
	s_wait_alu 0xfffe
	s_or_b32 exec_lo, exec_lo, s5
	s_and_saveexec_b32 s5, s2
	s_cbranch_execnz .LBB18_17
.LBB18_13:                              ;   in Loop: Header=BB18_4 Depth=1
	s_wait_alu 0xfffe
	s_or_b32 exec_lo, exec_lo, s5
	s_and_saveexec_b32 s2, s3
	s_cbranch_execnz .LBB18_18
.LBB18_14:                              ;   in Loop: Header=BB18_4 Depth=1
	s_wait_alu 0xfffe
	s_or_b32 exec_lo, exec_lo, s2
	s_and_saveexec_b32 s2, s4
	s_cbranch_execz .LBB18_3
	s_branch .LBB18_19
.LBB18_15:                              ;   in Loop: Header=BB18_4 Depth=1
	v_add_co_u32 v26, s5, v5, s10
	s_wait_alu 0xf1ff
	v_add_co_ci_u32_e64 v27, null, s11, v6, s5
	global_load_b32 v26, v[26:27], off
	s_or_b32 exec_lo, exec_lo, s24
	s_and_saveexec_b32 s5, vcc_lo
	s_cbranch_execz .LBB18_12
.LBB18_16:                              ;   in Loop: Header=BB18_4 Depth=1
	v_add_co_u32 v27, vcc_lo, v3, s10
	s_wait_loadcnt 0x0
	v_add_f32_e32 v24, s22, v24
	s_wait_alu 0xfffd
	v_add_co_ci_u32_e64 v28, null, s11, v4, vcc_lo
	global_store_b32 v[27:28], v24, off
	s_wait_alu 0xfffe
	s_or_b32 exec_lo, exec_lo, s5
	s_and_saveexec_b32 s5, s2
	s_cbranch_execz .LBB18_13
.LBB18_17:                              ;   in Loop: Header=BB18_4 Depth=1
	s_wait_loadcnt 0x0
	v_add_co_u32 v24, vcc_lo, v21, s10
	v_add_f32_e32 v27, s22, v25
	s_wait_alu 0xfffd
	v_add_co_ci_u32_e64 v25, null, s11, v22, vcc_lo
	global_store_b32 v[24:25], v27, off
	s_wait_alu 0xfffe
	s_or_b32 exec_lo, exec_lo, s5
	s_and_saveexec_b32 s2, s3
	s_cbranch_execz .LBB18_14
.LBB18_18:                              ;   in Loop: Header=BB18_4 Depth=1
	s_wait_loadcnt 0x0
	v_add_f32_e32 v25, s22, v23
	v_add_co_u32 v23, vcc_lo, v14, s10
	s_wait_alu 0xfffd
	v_add_co_ci_u32_e64 v24, null, s11, v15, vcc_lo
	global_store_b32 v[23:24], v25, off
	s_wait_alu 0xfffe
	s_or_b32 exec_lo, exec_lo, s2
	s_and_saveexec_b32 s2, s4
	s_cbranch_execz .LBB18_3
.LBB18_19:                              ;   in Loop: Header=BB18_4 Depth=1
	s_wait_loadcnt 0x0
	v_add_co_u32 v23, vcc_lo, v7, s10
	v_add_f32_e32 v25, s22, v26
	s_wait_alu 0xfffd
	v_add_co_ci_u32_e64 v24, null, s11, v8, vcc_lo
	global_store_b32 v[23:24], v25, off
	s_branch .LBB18_3
.LBB18_20:
	s_mov_b32 s2, 0
.LBB18_21:
	s_wait_alu 0xfffe
	s_and_not1_b32 vcc_lo, exec_lo, s2
	s_wait_alu 0xfffe
	s_cbranch_vccnz .LBB18_25
; %bb.22:
	v_cmp_gt_i64_e64 s2, 0x10000, s[12:13]
	v_dual_mov_b32 v2, 0 :: v_dual_lshlrev_b32 v1, 2, v0
	s_mov_b32 s4, 0
	s_mov_b32 s5, exec_lo
	s_and_b32 s2, s2, exec_lo
	s_cselect_b32 s3, s13, 0
	s_cselect_b32 s2, s12, 0x10000
	s_wait_alu 0xfffe
	v_cmpx_gt_i64_e64 s[2:3], v[1:2]
	s_cbranch_execz .LBB18_25
; %bb.23:
	s_load_b32 s0, s[0:1], 0xc5c
	v_lshlrev_b32_e32 v3, 4, v0
	v_mov_b32_e32 v1, v2
	s_delay_alu instid0(VALU_DEP_2) | instskip(NEXT) | instid1(VALU_DEP_1)
	v_add_co_u32 v2, s1, s10, v3
	v_add_co_ci_u32_e64 v3, null, s11, 0, s1
	s_wait_kmcnt 0x0
	s_and_b32 s1, s0, 0xffff
	s_wait_alu 0xfffe
	s_lshl_b32 s5, s1, 4
.LBB18_24:                              ; =>This Inner Loop Header: Depth=1
	v_add_co_u32 v4, vcc_lo, s6, v2
	s_wait_alu 0xfffd
	v_add_co_ci_u32_e64 v5, null, s7, v3, vcc_lo
	v_add_co_u32 v0, vcc_lo, v0, s1
	s_wait_alu 0xfffd
	v_add_co_ci_u32_e64 v1, null, 0, v1, vcc_lo
	global_load_b128 v[4:7], v[4:5], off
	v_add_co_u32 v8, vcc_lo, s8, v2
	v_lshlrev_b64_e32 v[10:11], 2, v[0:1]
	s_wait_alu 0xfffd
	v_add_co_ci_u32_e64 v9, null, s9, v3, vcc_lo
	s_wait_alu 0xfffe
	v_add_co_u32 v2, vcc_lo, v2, s5
	s_wait_alu 0xfffd
	v_add_co_ci_u32_e64 v3, null, 0, v3, vcc_lo
	v_cmp_le_i64_e64 s0, s[2:3], v[10:11]
	s_or_b32 s4, s0, s4
	s_wait_loadcnt 0x0
	v_dual_add_f32 v4, s22, v4 :: v_dual_add_f32 v5, s22, v5
	v_dual_add_f32 v6, s22, v6 :: v_dual_add_f32 v7, s22, v7
	global_store_b128 v[8:9], v[4:7], off
	s_wait_alu 0xfffe
	s_and_not1_b32 exec_lo, exec_lo, s4
	s_cbranch_execnz .LBB18_24
.LBB18_25:
	s_endpgm
	.section	.rodata,"a",@progbits
	.p2align	6, 0x0
	.amdhsa_kernel _ZN2at6native12_GLOBAL__N_125multi_tensor_apply_kernelINS1_18TensorListMetadataILi2EEENS1_21BinaryOpScalarFunctorIfLi2ELi1ELi1EEEJSt4plusIfEfEEEvT_T0_DpT1_
		.amdhsa_group_segment_fixed_size 0
		.amdhsa_private_segment_fixed_size 0
		.amdhsa_kernarg_size 3408
		.amdhsa_user_sgpr_count 2
		.amdhsa_user_sgpr_dispatch_ptr 0
		.amdhsa_user_sgpr_queue_ptr 0
		.amdhsa_user_sgpr_kernarg_segment_ptr 1
		.amdhsa_user_sgpr_dispatch_id 0
		.amdhsa_user_sgpr_private_segment_size 0
		.amdhsa_wavefront_size32 1
		.amdhsa_uses_dynamic_stack 0
		.amdhsa_enable_private_segment 0
		.amdhsa_system_sgpr_workgroup_id_x 1
		.amdhsa_system_sgpr_workgroup_id_y 0
		.amdhsa_system_sgpr_workgroup_id_z 0
		.amdhsa_system_sgpr_workgroup_info 0
		.amdhsa_system_vgpr_workitem_id 0
		.amdhsa_next_free_vgpr 29
		.amdhsa_next_free_sgpr 25
		.amdhsa_reserve_vcc 1
		.amdhsa_float_round_mode_32 0
		.amdhsa_float_round_mode_16_64 0
		.amdhsa_float_denorm_mode_32 3
		.amdhsa_float_denorm_mode_16_64 3
		.amdhsa_fp16_overflow 0
		.amdhsa_workgroup_processor_mode 1
		.amdhsa_memory_ordered 1
		.amdhsa_forward_progress 1
		.amdhsa_inst_pref_size 13
		.amdhsa_round_robin_scheduling 0
		.amdhsa_exception_fp_ieee_invalid_op 0
		.amdhsa_exception_fp_denorm_src 0
		.amdhsa_exception_fp_ieee_div_zero 0
		.amdhsa_exception_fp_ieee_overflow 0
		.amdhsa_exception_fp_ieee_underflow 0
		.amdhsa_exception_fp_ieee_inexact 0
		.amdhsa_exception_int_div_zero 0
	.end_amdhsa_kernel
	.section	.text._ZN2at6native12_GLOBAL__N_125multi_tensor_apply_kernelINS1_18TensorListMetadataILi2EEENS1_21BinaryOpScalarFunctorIfLi2ELi1ELi1EEEJSt4plusIfEfEEEvT_T0_DpT1_,"axG",@progbits,_ZN2at6native12_GLOBAL__N_125multi_tensor_apply_kernelINS1_18TensorListMetadataILi2EEENS1_21BinaryOpScalarFunctorIfLi2ELi1ELi1EEEJSt4plusIfEfEEEvT_T0_DpT1_,comdat
.Lfunc_end18:
	.size	_ZN2at6native12_GLOBAL__N_125multi_tensor_apply_kernelINS1_18TensorListMetadataILi2EEENS1_21BinaryOpScalarFunctorIfLi2ELi1ELi1EEEJSt4plusIfEfEEEvT_T0_DpT1_, .Lfunc_end18-_ZN2at6native12_GLOBAL__N_125multi_tensor_apply_kernelINS1_18TensorListMetadataILi2EEENS1_21BinaryOpScalarFunctorIfLi2ELi1ELi1EEEJSt4plusIfEfEEEvT_T0_DpT1_
                                        ; -- End function
	.set _ZN2at6native12_GLOBAL__N_125multi_tensor_apply_kernelINS1_18TensorListMetadataILi2EEENS1_21BinaryOpScalarFunctorIfLi2ELi1ELi1EEEJSt4plusIfEfEEEvT_T0_DpT1_.num_vgpr, 29
	.set _ZN2at6native12_GLOBAL__N_125multi_tensor_apply_kernelINS1_18TensorListMetadataILi2EEENS1_21BinaryOpScalarFunctorIfLi2ELi1ELi1EEEJSt4plusIfEfEEEvT_T0_DpT1_.num_agpr, 0
	.set _ZN2at6native12_GLOBAL__N_125multi_tensor_apply_kernelINS1_18TensorListMetadataILi2EEENS1_21BinaryOpScalarFunctorIfLi2ELi1ELi1EEEJSt4plusIfEfEEEvT_T0_DpT1_.numbered_sgpr, 25
	.set _ZN2at6native12_GLOBAL__N_125multi_tensor_apply_kernelINS1_18TensorListMetadataILi2EEENS1_21BinaryOpScalarFunctorIfLi2ELi1ELi1EEEJSt4plusIfEfEEEvT_T0_DpT1_.num_named_barrier, 0
	.set _ZN2at6native12_GLOBAL__N_125multi_tensor_apply_kernelINS1_18TensorListMetadataILi2EEENS1_21BinaryOpScalarFunctorIfLi2ELi1ELi1EEEJSt4plusIfEfEEEvT_T0_DpT1_.private_seg_size, 0
	.set _ZN2at6native12_GLOBAL__N_125multi_tensor_apply_kernelINS1_18TensorListMetadataILi2EEENS1_21BinaryOpScalarFunctorIfLi2ELi1ELi1EEEJSt4plusIfEfEEEvT_T0_DpT1_.uses_vcc, 1
	.set _ZN2at6native12_GLOBAL__N_125multi_tensor_apply_kernelINS1_18TensorListMetadataILi2EEENS1_21BinaryOpScalarFunctorIfLi2ELi1ELi1EEEJSt4plusIfEfEEEvT_T0_DpT1_.uses_flat_scratch, 0
	.set _ZN2at6native12_GLOBAL__N_125multi_tensor_apply_kernelINS1_18TensorListMetadataILi2EEENS1_21BinaryOpScalarFunctorIfLi2ELi1ELi1EEEJSt4plusIfEfEEEvT_T0_DpT1_.has_dyn_sized_stack, 0
	.set _ZN2at6native12_GLOBAL__N_125multi_tensor_apply_kernelINS1_18TensorListMetadataILi2EEENS1_21BinaryOpScalarFunctorIfLi2ELi1ELi1EEEJSt4plusIfEfEEEvT_T0_DpT1_.has_recursion, 0
	.set _ZN2at6native12_GLOBAL__N_125multi_tensor_apply_kernelINS1_18TensorListMetadataILi2EEENS1_21BinaryOpScalarFunctorIfLi2ELi1ELi1EEEJSt4plusIfEfEEEvT_T0_DpT1_.has_indirect_call, 0
	.section	.AMDGPU.csdata,"",@progbits
; Kernel info:
; codeLenInByte = 1640
; TotalNumSgprs: 27
; NumVgprs: 29
; ScratchSize: 0
; MemoryBound: 0
; FloatMode: 240
; IeeeMode: 1
; LDSByteSize: 0 bytes/workgroup (compile time only)
; SGPRBlocks: 0
; VGPRBlocks: 3
; NumSGPRsForWavesPerEU: 27
; NumVGPRsForWavesPerEU: 29
; Occupancy: 16
; WaveLimiterHint : 0
; COMPUTE_PGM_RSRC2:SCRATCH_EN: 0
; COMPUTE_PGM_RSRC2:USER_SGPR: 2
; COMPUTE_PGM_RSRC2:TRAP_HANDLER: 0
; COMPUTE_PGM_RSRC2:TGID_X_EN: 1
; COMPUTE_PGM_RSRC2:TGID_Y_EN: 0
; COMPUTE_PGM_RSRC2:TGID_Z_EN: 0
; COMPUTE_PGM_RSRC2:TIDIG_COMP_CNT: 0
	.section	.text._ZN2at6native12_GLOBAL__N_125multi_tensor_apply_kernelINS1_18TensorListMetadataILi2EEENS1_21BinaryOpScalarFunctorIN3c107complexIdEELi2ELi1ELi1EEEJSt4plusIS8_ES8_EEEvT_T0_DpT1_,"axG",@progbits,_ZN2at6native12_GLOBAL__N_125multi_tensor_apply_kernelINS1_18TensorListMetadataILi2EEENS1_21BinaryOpScalarFunctorIN3c107complexIdEELi2ELi1ELi1EEEJSt4plusIS8_ES8_EEEvT_T0_DpT1_,comdat
	.globl	_ZN2at6native12_GLOBAL__N_125multi_tensor_apply_kernelINS1_18TensorListMetadataILi2EEENS1_21BinaryOpScalarFunctorIN3c107complexIdEELi2ELi1ELi1EEEJSt4plusIS8_ES8_EEEvT_T0_DpT1_ ; -- Begin function _ZN2at6native12_GLOBAL__N_125multi_tensor_apply_kernelINS1_18TensorListMetadataILi2EEENS1_21BinaryOpScalarFunctorIN3c107complexIdEELi2ELi1ELi1EEEJSt4plusIS8_ES8_EEEvT_T0_DpT1_
	.p2align	8
	.type	_ZN2at6native12_GLOBAL__N_125multi_tensor_apply_kernelINS1_18TensorListMetadataILi2EEENS1_21BinaryOpScalarFunctorIN3c107complexIdEELi2ELi1ELi1EEEJSt4plusIS8_ES8_EEEvT_T0_DpT1_,@function
_ZN2at6native12_GLOBAL__N_125multi_tensor_apply_kernelINS1_18TensorListMetadataILi2EEENS1_21BinaryOpScalarFunctorIN3c107complexIdEELi2ELi1ELi1EEEJSt4plusIS8_ES8_EEEvT_T0_DpT1_: ; @_ZN2at6native12_GLOBAL__N_125multi_tensor_apply_kernelINS1_18TensorListMetadataILi2EEENS1_21BinaryOpScalarFunctorIN3c107complexIdEELi2ELi1ELi1EEEJSt4plusIS8_ES8_EEEvT_T0_DpT1_
; %bb.0:
	s_mov_b32 s2, ttmp9
	s_mov_b32 s3, 0
	s_delay_alu instid0(SALU_CYCLE_1)
	s_mul_u64 s[4:5], s[2:3], 3
	s_add_nc_u64 s[6:7], s[0:1], s[2:3]
	s_mov_b32 s19, s3
	s_add_nc_u64 s[4:5], s[6:7], s[4:5]
	s_clause 0x1
	s_load_b32 s4, s[4:5], 0x740
	s_load_u8 s2, s[0:1], ttmp9 offset:0x600
	s_wait_kmcnt 0x0
	s_ashr_i32 s5, s4, 31
	s_lshl_b32 s2, s2, 3
	s_clause 0x3
	s_load_b64 s[6:7], s[0:1], s2 offset:0x0
	s_load_b64 s[12:13], s[0:1], s2 offset:0x200
	;; [unrolled: 1-line block ×3, first 2 shown]
	s_load_b128 s[8:11], s[0:1], 0xc50
	s_lshl_b64 s[16:17], s[4:5], 20
	s_lshl_b64 s[4:5], s[4:5], 16
	s_wait_kmcnt 0x0
	s_add_nc_u64 s[6:7], s[6:7], s[16:17]
	s_add_nc_u64 s[12:13], s[12:13], s[16:17]
	s_and_b32 s16, s14, 3
	s_and_b32 s18, s12, 63
	s_mov_b32 s17, s3
	s_and_b32 s2, s6, 63
	s_or_b64 s[16:17], s[18:19], s[16:17]
	s_sub_nc_u64 s[14:15], s[14:15], s[4:5]
	s_or_b64 s[2:3], s[16:17], s[2:3]
	s_delay_alu instid0(SALU_CYCLE_1)
	s_cmp_eq_u64 s[2:3], 0
	s_mov_b32 s2, -1
	s_cbranch_scc1 .LBB19_21
; %bb.1:
	v_cmp_lt_i64_e64 s2, s[14:15], 1
	s_and_b32 vcc_lo, exec_lo, s2
	s_cbranch_vccnz .LBB19_20
; %bb.2:
	s_load_b32 s2, s[0:1], 0xc6c
	v_cmp_gt_i64_e64 s3, 0x10000, s[14:15]
	v_cmp_gt_u64_e64 s4, 0x10000, s[14:15]
	s_mov_b32 s17, 0
	s_mov_b64 s[22:23], 0
	s_and_b32 s3, s3, exec_lo
	s_cselect_b32 s19, s15, 0
	s_cselect_b32 s18, s14, 0x10000
	s_wait_kmcnt 0x0
	s_and_b32 s24, s2, 0xffff
	s_and_b32 s2, s4, exec_lo
	s_cselect_b32 s21, s15, 0
	s_cselect_b32 s20, s14, 0x10000
	s_lshl_b32 s25, s24, 1
	s_mul_i32 s26, s24, 3
	s_lshl_b32 s16, s24, 2
	s_branch .LBB19_4
.LBB19_3:                               ;   in Loop: Header=BB19_4 Depth=1
	s_wait_alu 0xfffe
	s_or_b32 exec_lo, exec_lo, s2
	s_add_nc_u64 s[22:23], s[22:23], s[16:17]
	s_wait_alu 0xfffe
	v_cmp_lt_i64_e64 s2, s[22:23], s[18:19]
	s_and_b32 vcc_lo, exec_lo, s2
	s_wait_alu 0xfffe
	s_cbranch_vccz .LBB19_20
.LBB19_4:                               ; =>This Inner Loop Header: Depth=1
	v_add_co_u32 v17, s2, s22, v0
	s_wait_alu 0xf1ff
	v_add_co_ci_u32_e64 v18, null, s23, 0, s2
	s_wait_loadcnt 0x0
	v_mov_b32_e32 v3, 0
	v_dual_mov_b32 v4, 0 :: v_dual_mov_b32 v7, 0
	s_delay_alu instid0(VALU_DEP_3)
	v_cmp_gt_u64_e32 vcc_lo, s[20:21], v[17:18]
	v_dual_mov_b32 v5, 0 :: v_dual_mov_b32 v8, 0
	v_mov_b32_e32 v6, 0
	s_and_saveexec_b32 s3, vcc_lo
	s_cbranch_execz .LBB19_6
; %bb.5:                                ;   in Loop: Header=BB19_4 Depth=1
	v_lshlrev_b64_e32 v[1:2], 4, v[17:18]
	s_delay_alu instid0(VALU_DEP_1) | instskip(SKIP_1) | instid1(VALU_DEP_2)
	v_add_co_u32 v1, s2, s6, v1
	s_wait_alu 0xf1ff
	v_add_co_ci_u32_e64 v2, null, s7, v2, s2
	global_load_b128 v[5:8], v[1:2], off
.LBB19_6:                               ;   in Loop: Header=BB19_4 Depth=1
	s_wait_alu 0xfffe
	s_or_b32 exec_lo, exec_lo, s3
	v_add_co_u32 v19, s2, v17, s24
	s_wait_alu 0xf1ff
	v_add_co_ci_u32_e64 v20, null, 0, v18, s2
	v_mov_b32_e32 v1, 0
	v_mov_b32_e32 v2, 0
	s_delay_alu instid0(VALU_DEP_3)
	v_cmp_gt_u64_e64 s2, s[20:21], v[19:20]
	s_and_saveexec_b32 s4, s2
	s_cbranch_execz .LBB19_8
; %bb.7:                                ;   in Loop: Header=BB19_4 Depth=1
	v_lshlrev_b64_e32 v[1:2], 4, v[19:20]
	s_delay_alu instid0(VALU_DEP_1) | instskip(SKIP_1) | instid1(VALU_DEP_2)
	v_add_co_u32 v1, s3, s6, v1
	s_wait_alu 0xf1ff
	v_add_co_ci_u32_e64 v2, null, s7, v2, s3
	global_load_b128 v[1:4], v[1:2], off
.LBB19_8:                               ;   in Loop: Header=BB19_4 Depth=1
	s_wait_alu 0xfffe
	s_or_b32 exec_lo, exec_lo, s4
	v_add_co_u32 v21, s3, v17, s25
	s_wait_alu 0xf1ff
	v_add_co_ci_u32_e64 v22, null, 0, v18, s3
	v_mov_b32_e32 v11, 0
	v_dual_mov_b32 v12, 0 :: v_dual_mov_b32 v15, 0
	s_delay_alu instid0(VALU_DEP_3)
	v_cmp_gt_u64_e64 s3, s[20:21], v[21:22]
	v_dual_mov_b32 v13, 0 :: v_dual_mov_b32 v16, 0
	v_mov_b32_e32 v14, 0
	s_and_saveexec_b32 s5, s3
	s_cbranch_execz .LBB19_10
; %bb.9:                                ;   in Loop: Header=BB19_4 Depth=1
	v_lshlrev_b64_e32 v[9:10], 4, v[21:22]
	s_delay_alu instid0(VALU_DEP_1) | instskip(SKIP_1) | instid1(VALU_DEP_2)
	v_add_co_u32 v9, s4, s6, v9
	s_wait_alu 0xf1ff
	v_add_co_ci_u32_e64 v10, null, s7, v10, s4
	global_load_b128 v[13:16], v[9:10], off
.LBB19_10:                              ;   in Loop: Header=BB19_4 Depth=1
	s_wait_alu 0xfffe
	s_or_b32 exec_lo, exec_lo, s5
	v_add_co_u32 v23, s4, v17, s26
	s_wait_alu 0xf1ff
	v_add_co_ci_u32_e64 v24, null, 0, v18, s4
	v_mov_b32_e32 v9, 0
	v_mov_b32_e32 v10, 0
	s_delay_alu instid0(VALU_DEP_3)
	v_cmp_gt_u64_e64 s4, s[20:21], v[23:24]
	s_and_saveexec_b32 s27, s4
	s_cbranch_execnz .LBB19_15
; %bb.11:                               ;   in Loop: Header=BB19_4 Depth=1
	s_wait_alu 0xfffe
	s_or_b32 exec_lo, exec_lo, s27
	s_and_saveexec_b32 s5, vcc_lo
	s_cbranch_execnz .LBB19_16
.LBB19_12:                              ;   in Loop: Header=BB19_4 Depth=1
	s_wait_alu 0xfffe
	s_or_b32 exec_lo, exec_lo, s5
	s_and_saveexec_b32 s5, s2
	s_cbranch_execnz .LBB19_17
.LBB19_13:                              ;   in Loop: Header=BB19_4 Depth=1
	s_wait_alu 0xfffe
	s_or_b32 exec_lo, exec_lo, s5
	s_and_saveexec_b32 s2, s3
	s_cbranch_execnz .LBB19_18
.LBB19_14:                              ;   in Loop: Header=BB19_4 Depth=1
	s_wait_alu 0xfffe
	s_or_b32 exec_lo, exec_lo, s2
	s_and_saveexec_b32 s2, s4
	s_cbranch_execz .LBB19_3
	s_branch .LBB19_19
.LBB19_15:                              ;   in Loop: Header=BB19_4 Depth=1
	v_lshlrev_b64_e32 v[9:10], 4, v[23:24]
	s_delay_alu instid0(VALU_DEP_1) | instskip(SKIP_1) | instid1(VALU_DEP_2)
	v_add_co_u32 v9, s5, s6, v9
	s_wait_alu 0xf1ff
	v_add_co_ci_u32_e64 v10, null, s7, v10, s5
	global_load_b128 v[9:12], v[9:10], off
	s_wait_alu 0xfffe
	s_or_b32 exec_lo, exec_lo, s27
	s_and_saveexec_b32 s5, vcc_lo
	s_cbranch_execz .LBB19_12
.LBB19_16:                              ;   in Loop: Header=BB19_4 Depth=1
	s_wait_loadcnt 0x0
	v_add_f64_e32 v[7:8], s[10:11], v[7:8]
	v_add_f64_e32 v[5:6], s[8:9], v[5:6]
	v_lshlrev_b64_e32 v[17:18], 4, v[17:18]
	s_delay_alu instid0(VALU_DEP_1) | instskip(SKIP_1) | instid1(VALU_DEP_2)
	v_add_co_u32 v17, vcc_lo, s12, v17
	s_wait_alu 0xfffd
	v_add_co_ci_u32_e64 v18, null, s13, v18, vcc_lo
	global_store_b128 v[17:18], v[5:8], off
	s_wait_alu 0xfffe
	s_or_b32 exec_lo, exec_lo, s5
	s_and_saveexec_b32 s5, s2
	s_cbranch_execz .LBB19_13
.LBB19_17:                              ;   in Loop: Header=BB19_4 Depth=1
	s_wait_loadcnt 0x0
	v_add_f64_e32 v[1:2], s[8:9], v[1:2]
	v_add_f64_e32 v[3:4], s[10:11], v[3:4]
	v_lshlrev_b64_e32 v[5:6], 4, v[19:20]
	s_delay_alu instid0(VALU_DEP_1) | instskip(SKIP_1) | instid1(VALU_DEP_2)
	v_add_co_u32 v5, vcc_lo, s12, v5
	s_wait_alu 0xfffd
	v_add_co_ci_u32_e64 v6, null, s13, v6, vcc_lo
	global_store_b128 v[5:6], v[1:4], off
	s_wait_alu 0xfffe
	s_or_b32 exec_lo, exec_lo, s5
	s_and_saveexec_b32 s2, s3
	s_cbranch_execz .LBB19_14
.LBB19_18:                              ;   in Loop: Header=BB19_4 Depth=1
	s_wait_loadcnt 0x0
	v_add_f64_e32 v[1:2], s[8:9], v[13:14]
	v_add_f64_e32 v[3:4], s[10:11], v[15:16]
	v_lshlrev_b64_e32 v[5:6], 4, v[21:22]
	s_delay_alu instid0(VALU_DEP_1) | instskip(SKIP_1) | instid1(VALU_DEP_2)
	v_add_co_u32 v5, vcc_lo, s12, v5
	s_wait_alu 0xfffd
	v_add_co_ci_u32_e64 v6, null, s13, v6, vcc_lo
	global_store_b128 v[5:6], v[1:4], off
	s_wait_alu 0xfffe
	s_or_b32 exec_lo, exec_lo, s2
	s_and_saveexec_b32 s2, s4
	s_cbranch_execz .LBB19_3
.LBB19_19:                              ;   in Loop: Header=BB19_4 Depth=1
	s_wait_loadcnt 0x0
	v_add_f64_e32 v[1:2], s[8:9], v[9:10]
	v_add_f64_e32 v[3:4], s[10:11], v[11:12]
	v_lshlrev_b64_e32 v[5:6], 4, v[23:24]
	s_delay_alu instid0(VALU_DEP_1) | instskip(SKIP_1) | instid1(VALU_DEP_2)
	v_add_co_u32 v5, vcc_lo, s12, v5
	s_wait_alu 0xfffd
	v_add_co_ci_u32_e64 v6, null, s13, v6, vcc_lo
	global_store_b128 v[5:6], v[1:4], off
	s_branch .LBB19_3
.LBB19_20:
	s_mov_b32 s2, 0
.LBB19_21:
	s_wait_alu 0xfffe
	s_and_not1_b32 vcc_lo, exec_lo, s2
	s_wait_alu 0xfffe
	s_cbranch_vccnz .LBB19_25
; %bb.22:
	v_cmp_gt_i64_e64 s2, 0x10000, s[14:15]
	s_wait_loadcnt 0x0
	v_dual_mov_b32 v2, 0 :: v_dual_lshlrev_b32 v1, 2, v0
	s_mov_b32 s5, 0
	s_mov_b32 s4, exec_lo
	s_and_b32 s2, s2, exec_lo
	s_cselect_b32 s3, s15, 0
	s_cselect_b32 s2, s14, 0x10000
	s_wait_alu 0xfffe
	v_cmpx_gt_i64_e64 s[2:3], v[1:2]
	s_cbranch_execz .LBB19_25
; %bb.23:
	s_load_b32 s0, s[0:1], 0xc6c
	v_dual_mov_b32 v1, v2 :: v_dual_lshlrev_b32 v2, 6, v0
	s_mov_b32 s1, s5
	s_wait_kmcnt 0x0
	s_and_b32 s0, s0, 0xffff
	s_delay_alu instid0(SALU_CYCLE_1)
	s_lshl_b32 s4, s0, 6
.LBB19_24:                              ; =>This Inner Loop Header: Depth=1
	v_add_co_u32 v15, s14, s6, v2
	s_wait_alu 0xf1ff
	v_add_co_ci_u32_e64 v16, null, s7, 0, s14
	v_add_co_u32 v0, vcc_lo, v0, s0
	s_wait_alu 0xfffd
	v_add_co_ci_u32_e64 v1, null, 0, v1, vcc_lo
	s_clause 0x3
	global_load_b128 v[3:6], v[15:16], off
	global_load_b128 v[7:10], v[15:16], off offset:16
	global_load_b128 v[11:14], v[15:16], off offset:32
	;; [unrolled: 1-line block ×3, first 2 shown]
	v_add_co_u32 v21, s14, s12, v2
	v_lshlrev_b64_e32 v[19:20], 2, v[0:1]
	s_wait_alu 0xf1ff
	v_add_co_ci_u32_e64 v22, null, s13, 0, s14
	s_wait_alu 0xfffe
	s_add_nc_u64 s[12:13], s[12:13], s[4:5]
	s_add_nc_u64 s[6:7], s[6:7], s[4:5]
	v_cmp_le_i64_e32 vcc_lo, s[2:3], v[19:20]
	s_or_b32 s1, vcc_lo, s1
	s_wait_loadcnt 0x3
	v_add_f64_e32 v[3:4], s[8:9], v[3:4]
	v_add_f64_e32 v[5:6], s[10:11], v[5:6]
	s_wait_loadcnt 0x2
	v_add_f64_e32 v[7:8], s[8:9], v[7:8]
	v_add_f64_e32 v[9:10], s[10:11], v[9:10]
	;; [unrolled: 3-line block ×4, first 2 shown]
	s_clause 0x3
	global_store_b128 v[21:22], v[3:6], off
	global_store_b128 v[21:22], v[7:10], off offset:16
	global_store_b128 v[21:22], v[11:14], off offset:32
	global_store_b128 v[21:22], v[15:18], off offset:48
	s_wait_alu 0xfffe
	s_and_not1_b32 exec_lo, exec_lo, s1
	s_cbranch_execnz .LBB19_24
.LBB19_25:
	s_endpgm
	.section	.rodata,"a",@progbits
	.p2align	6, 0x0
	.amdhsa_kernel _ZN2at6native12_GLOBAL__N_125multi_tensor_apply_kernelINS1_18TensorListMetadataILi2EEENS1_21BinaryOpScalarFunctorIN3c107complexIdEELi2ELi1ELi1EEEJSt4plusIS8_ES8_EEEvT_T0_DpT1_
		.amdhsa_group_segment_fixed_size 0
		.amdhsa_private_segment_fixed_size 0
		.amdhsa_kernarg_size 3424
		.amdhsa_user_sgpr_count 2
		.amdhsa_user_sgpr_dispatch_ptr 0
		.amdhsa_user_sgpr_queue_ptr 0
		.amdhsa_user_sgpr_kernarg_segment_ptr 1
		.amdhsa_user_sgpr_dispatch_id 0
		.amdhsa_user_sgpr_private_segment_size 0
		.amdhsa_wavefront_size32 1
		.amdhsa_uses_dynamic_stack 0
		.amdhsa_enable_private_segment 0
		.amdhsa_system_sgpr_workgroup_id_x 1
		.amdhsa_system_sgpr_workgroup_id_y 0
		.amdhsa_system_sgpr_workgroup_id_z 0
		.amdhsa_system_sgpr_workgroup_info 0
		.amdhsa_system_vgpr_workitem_id 0
		.amdhsa_next_free_vgpr 25
		.amdhsa_next_free_sgpr 28
		.amdhsa_reserve_vcc 1
		.amdhsa_float_round_mode_32 0
		.amdhsa_float_round_mode_16_64 0
		.amdhsa_float_denorm_mode_32 3
		.amdhsa_float_denorm_mode_16_64 3
		.amdhsa_fp16_overflow 0
		.amdhsa_workgroup_processor_mode 1
		.amdhsa_memory_ordered 1
		.amdhsa_forward_progress 1
		.amdhsa_inst_pref_size 12
		.amdhsa_round_robin_scheduling 0
		.amdhsa_exception_fp_ieee_invalid_op 0
		.amdhsa_exception_fp_denorm_src 0
		.amdhsa_exception_fp_ieee_div_zero 0
		.amdhsa_exception_fp_ieee_overflow 0
		.amdhsa_exception_fp_ieee_underflow 0
		.amdhsa_exception_fp_ieee_inexact 0
		.amdhsa_exception_int_div_zero 0
	.end_amdhsa_kernel
	.section	.text._ZN2at6native12_GLOBAL__N_125multi_tensor_apply_kernelINS1_18TensorListMetadataILi2EEENS1_21BinaryOpScalarFunctorIN3c107complexIdEELi2ELi1ELi1EEEJSt4plusIS8_ES8_EEEvT_T0_DpT1_,"axG",@progbits,_ZN2at6native12_GLOBAL__N_125multi_tensor_apply_kernelINS1_18TensorListMetadataILi2EEENS1_21BinaryOpScalarFunctorIN3c107complexIdEELi2ELi1ELi1EEEJSt4plusIS8_ES8_EEEvT_T0_DpT1_,comdat
.Lfunc_end19:
	.size	_ZN2at6native12_GLOBAL__N_125multi_tensor_apply_kernelINS1_18TensorListMetadataILi2EEENS1_21BinaryOpScalarFunctorIN3c107complexIdEELi2ELi1ELi1EEEJSt4plusIS8_ES8_EEEvT_T0_DpT1_, .Lfunc_end19-_ZN2at6native12_GLOBAL__N_125multi_tensor_apply_kernelINS1_18TensorListMetadataILi2EEENS1_21BinaryOpScalarFunctorIN3c107complexIdEELi2ELi1ELi1EEEJSt4plusIS8_ES8_EEEvT_T0_DpT1_
                                        ; -- End function
	.set _ZN2at6native12_GLOBAL__N_125multi_tensor_apply_kernelINS1_18TensorListMetadataILi2EEENS1_21BinaryOpScalarFunctorIN3c107complexIdEELi2ELi1ELi1EEEJSt4plusIS8_ES8_EEEvT_T0_DpT1_.num_vgpr, 25
	.set _ZN2at6native12_GLOBAL__N_125multi_tensor_apply_kernelINS1_18TensorListMetadataILi2EEENS1_21BinaryOpScalarFunctorIN3c107complexIdEELi2ELi1ELi1EEEJSt4plusIS8_ES8_EEEvT_T0_DpT1_.num_agpr, 0
	.set _ZN2at6native12_GLOBAL__N_125multi_tensor_apply_kernelINS1_18TensorListMetadataILi2EEENS1_21BinaryOpScalarFunctorIN3c107complexIdEELi2ELi1ELi1EEEJSt4plusIS8_ES8_EEEvT_T0_DpT1_.numbered_sgpr, 28
	.set _ZN2at6native12_GLOBAL__N_125multi_tensor_apply_kernelINS1_18TensorListMetadataILi2EEENS1_21BinaryOpScalarFunctorIN3c107complexIdEELi2ELi1ELi1EEEJSt4plusIS8_ES8_EEEvT_T0_DpT1_.num_named_barrier, 0
	.set _ZN2at6native12_GLOBAL__N_125multi_tensor_apply_kernelINS1_18TensorListMetadataILi2EEENS1_21BinaryOpScalarFunctorIN3c107complexIdEELi2ELi1ELi1EEEJSt4plusIS8_ES8_EEEvT_T0_DpT1_.private_seg_size, 0
	.set _ZN2at6native12_GLOBAL__N_125multi_tensor_apply_kernelINS1_18TensorListMetadataILi2EEENS1_21BinaryOpScalarFunctorIN3c107complexIdEELi2ELi1ELi1EEEJSt4plusIS8_ES8_EEEvT_T0_DpT1_.uses_vcc, 1
	.set _ZN2at6native12_GLOBAL__N_125multi_tensor_apply_kernelINS1_18TensorListMetadataILi2EEENS1_21BinaryOpScalarFunctorIN3c107complexIdEELi2ELi1ELi1EEEJSt4plusIS8_ES8_EEEvT_T0_DpT1_.uses_flat_scratch, 0
	.set _ZN2at6native12_GLOBAL__N_125multi_tensor_apply_kernelINS1_18TensorListMetadataILi2EEENS1_21BinaryOpScalarFunctorIN3c107complexIdEELi2ELi1ELi1EEEJSt4plusIS8_ES8_EEEvT_T0_DpT1_.has_dyn_sized_stack, 0
	.set _ZN2at6native12_GLOBAL__N_125multi_tensor_apply_kernelINS1_18TensorListMetadataILi2EEENS1_21BinaryOpScalarFunctorIN3c107complexIdEELi2ELi1ELi1EEEJSt4plusIS8_ES8_EEEvT_T0_DpT1_.has_recursion, 0
	.set _ZN2at6native12_GLOBAL__N_125multi_tensor_apply_kernelINS1_18TensorListMetadataILi2EEENS1_21BinaryOpScalarFunctorIN3c107complexIdEELi2ELi1ELi1EEEJSt4plusIS8_ES8_EEEvT_T0_DpT1_.has_indirect_call, 0
	.section	.AMDGPU.csdata,"",@progbits
; Kernel info:
; codeLenInByte = 1440
; TotalNumSgprs: 30
; NumVgprs: 25
; ScratchSize: 0
; MemoryBound: 1
; FloatMode: 240
; IeeeMode: 1
; LDSByteSize: 0 bytes/workgroup (compile time only)
; SGPRBlocks: 0
; VGPRBlocks: 3
; NumSGPRsForWavesPerEU: 30
; NumVGPRsForWavesPerEU: 25
; Occupancy: 16
; WaveLimiterHint : 0
; COMPUTE_PGM_RSRC2:SCRATCH_EN: 0
; COMPUTE_PGM_RSRC2:USER_SGPR: 2
; COMPUTE_PGM_RSRC2:TRAP_HANDLER: 0
; COMPUTE_PGM_RSRC2:TGID_X_EN: 1
; COMPUTE_PGM_RSRC2:TGID_Y_EN: 0
; COMPUTE_PGM_RSRC2:TGID_Z_EN: 0
; COMPUTE_PGM_RSRC2:TIDIG_COMP_CNT: 0
	.section	.text._ZN2at6native12_GLOBAL__N_125multi_tensor_apply_kernelINS1_18TensorListMetadataILi2EEENS1_21BinaryOpScalarFunctorIN3c107complexIfEELi2ELi1ELi1EEEJSt4plusIS8_ES8_EEEvT_T0_DpT1_,"axG",@progbits,_ZN2at6native12_GLOBAL__N_125multi_tensor_apply_kernelINS1_18TensorListMetadataILi2EEENS1_21BinaryOpScalarFunctorIN3c107complexIfEELi2ELi1ELi1EEEJSt4plusIS8_ES8_EEEvT_T0_DpT1_,comdat
	.globl	_ZN2at6native12_GLOBAL__N_125multi_tensor_apply_kernelINS1_18TensorListMetadataILi2EEENS1_21BinaryOpScalarFunctorIN3c107complexIfEELi2ELi1ELi1EEEJSt4plusIS8_ES8_EEEvT_T0_DpT1_ ; -- Begin function _ZN2at6native12_GLOBAL__N_125multi_tensor_apply_kernelINS1_18TensorListMetadataILi2EEENS1_21BinaryOpScalarFunctorIN3c107complexIfEELi2ELi1ELi1EEEJSt4plusIS8_ES8_EEEvT_T0_DpT1_
	.p2align	8
	.type	_ZN2at6native12_GLOBAL__N_125multi_tensor_apply_kernelINS1_18TensorListMetadataILi2EEENS1_21BinaryOpScalarFunctorIN3c107complexIfEELi2ELi1ELi1EEEJSt4plusIS8_ES8_EEEvT_T0_DpT1_,@function
_ZN2at6native12_GLOBAL__N_125multi_tensor_apply_kernelINS1_18TensorListMetadataILi2EEENS1_21BinaryOpScalarFunctorIN3c107complexIfEELi2ELi1ELi1EEEJSt4plusIS8_ES8_EEEvT_T0_DpT1_: ; @_ZN2at6native12_GLOBAL__N_125multi_tensor_apply_kernelINS1_18TensorListMetadataILi2EEENS1_21BinaryOpScalarFunctorIN3c107complexIfEELi2ELi1ELi1EEEJSt4plusIS8_ES8_EEEvT_T0_DpT1_
; %bb.0:
	s_load_u8 s8, s[0:1], ttmp9 offset:0x600
	s_mov_b32 s2, ttmp9
	s_mov_b32 s3, 0
	s_delay_alu instid0(SALU_CYCLE_1)
	s_mul_u64 s[4:5], s[2:3], 3
	s_add_nc_u64 s[6:7], s[0:1], s[2:3]
	s_mov_b32 s17, s3
	s_add_nc_u64 s[4:5], s[6:7], s[4:5]
	s_load_b32 s4, s[4:5], 0x740
	s_wait_kmcnt 0x0
	s_lshl_b32 s2, s8, 3
	s_clause 0x3
	s_load_b64 s[8:9], s[0:1], s2 offset:0x0
	s_load_b64 s[10:11], s[0:1], s2 offset:0x200
	;; [unrolled: 1-line block ×3, first 2 shown]
	s_load_b64 s[6:7], s[0:1], 0xc50
	s_ashr_i32 s5, s4, 31
	s_delay_alu instid0(SALU_CYCLE_1)
	s_lshl_b64 s[14:15], s[4:5], 19
	s_lshl_b64 s[4:5], s[4:5], 16
	s_wait_kmcnt 0x0
	s_add_nc_u64 s[8:9], s[8:9], s[14:15]
	s_add_nc_u64 s[10:11], s[10:11], s[14:15]
	s_and_b32 s14, s12, 3
	s_and_b32 s16, s10, 31
	s_mov_b32 s15, s3
	s_and_b32 s2, s8, 31
	s_or_b64 s[14:15], s[16:17], s[14:15]
	s_sub_nc_u64 s[12:13], s[12:13], s[4:5]
	s_or_b64 s[2:3], s[14:15], s[2:3]
	s_delay_alu instid0(SALU_CYCLE_1)
	s_cmp_eq_u64 s[2:3], 0
	s_mov_b32 s2, -1
	s_cbranch_scc1 .LBB20_19
; %bb.1:
	v_cmp_lt_i64_e64 s2, s[12:13], 1
	s_and_b32 vcc_lo, exec_lo, s2
	s_cbranch_vccnz .LBB20_18
; %bb.2:
	s_load_b32 s2, s[0:1], 0xc64
	v_cmp_gt_i64_e64 s3, 0x10000, s[12:13]
	s_mov_b64 s[4:5], src_private_base
	v_mov_b32_e32 v1, 0
	v_cmp_gt_u64_e64 s4, 0x10000, s[12:13]
	s_mov_b32 s15, 0
	s_mov_b64 s[20:21], 0
	s_and_b32 s3, s3, exec_lo
	v_mov_b32_e32 v2, v1
	s_cselect_b32 s17, s13, 0
	s_cselect_b32 s16, s12, 0x10000
	s_wait_kmcnt 0x0
	s_and_b32 s22, s2, 0xffff
	s_and_b32 s2, s4, exec_lo
	s_cselect_b32 s19, s13, 0
	s_cselect_b32 s18, s12, 0x10000
	s_lshl_b32 s23, s22, 1
	s_mul_i32 s24, s22, 3
	s_lshl_b32 s14, s22, 2
	s_branch .LBB20_4
.LBB20_3:                               ;   in Loop: Header=BB20_4 Depth=1
	s_wait_alu 0xfffe
	s_or_b32 exec_lo, exec_lo, s2
	s_add_nc_u64 s[20:21], s[20:21], s[14:15]
	s_wait_alu 0xfffe
	v_cmp_lt_i64_e64 s2, s[20:21], s[16:17]
	s_and_b32 vcc_lo, exec_lo, s2
	s_wait_alu 0xfffe
	s_cbranch_vccz .LBB20_18
.LBB20_4:                               ; =>This Inner Loop Header: Depth=1
	v_add_co_u32 v3, s2, s20, v0
	s_wait_alu 0xf1ff
	v_add_co_ci_u32_e64 v4, null, s21, 0, s2
	v_dual_mov_b32 v6, 0 :: v_dual_mov_b32 v5, 0
	s_delay_alu instid0(VALU_DEP_2)
	v_cmp_gt_u64_e32 vcc_lo, s[18:19], v[3:4]
	s_and_saveexec_b32 s3, vcc_lo
	s_cbranch_execz .LBB20_6
; %bb.5:                                ;   in Loop: Header=BB20_4 Depth=1
	v_lshlrev_b64_e32 v[5:6], 3, v[3:4]
	s_delay_alu instid0(VALU_DEP_1) | instskip(SKIP_1) | instid1(VALU_DEP_2)
	v_add_co_u32 v5, s2, s8, v5
	s_wait_alu 0xf1ff
	v_add_co_ci_u32_e64 v6, null, s9, v6, s2
	global_load_b64 v[5:6], v[5:6], off
.LBB20_6:                               ;   in Loop: Header=BB20_4 Depth=1
	s_wait_alu 0xfffe
	s_or_b32 exec_lo, exec_lo, s3
	v_add_co_u32 v7, s2, v3, s22
	s_wait_alu 0xf1ff
	v_add_co_ci_u32_e64 v8, null, 0, v4, s2
	v_dual_mov_b32 v12, 0 :: v_dual_mov_b32 v11, 0
	s_delay_alu instid0(VALU_DEP_2)
	v_cmp_gt_u64_e64 s2, s[18:19], v[7:8]
	s_and_saveexec_b32 s4, s2
	s_cbranch_execz .LBB20_8
; %bb.7:                                ;   in Loop: Header=BB20_4 Depth=1
	v_lshlrev_b64_e32 v[9:10], 3, v[7:8]
	s_delay_alu instid0(VALU_DEP_1) | instskip(SKIP_1) | instid1(VALU_DEP_2)
	v_add_co_u32 v9, s3, s8, v9
	s_wait_alu 0xf1ff
	v_add_co_ci_u32_e64 v10, null, s9, v10, s3
	global_load_b64 v[11:12], v[9:10], off
.LBB20_8:                               ;   in Loop: Header=BB20_4 Depth=1
	s_wait_alu 0xfffe
	s_or_b32 exec_lo, exec_lo, s4
	v_add_co_u32 v9, s3, v3, s23
	s_wait_alu 0xf1ff
	v_add_co_ci_u32_e64 v10, null, 0, v4, s3
	v_mov_b32_e32 v15, 0
	v_mov_b32_e32 v16, 0
	s_delay_alu instid0(VALU_DEP_3)
	v_cmp_gt_u64_e64 s3, s[18:19], v[9:10]
	s_and_saveexec_b32 s25, s3
	s_cbranch_execz .LBB20_10
; %bb.9:                                ;   in Loop: Header=BB20_4 Depth=1
	v_lshlrev_b64_e32 v[13:14], 3, v[9:10]
	s_delay_alu instid0(VALU_DEP_1) | instskip(SKIP_1) | instid1(VALU_DEP_2)
	v_add_co_u32 v13, s4, s8, v13
	s_wait_alu 0xf1ff
	v_add_co_ci_u32_e64 v14, null, s9, v14, s4
	global_load_b64 v[15:16], v[13:14], off
.LBB20_10:                              ;   in Loop: Header=BB20_4 Depth=1
	s_wait_alu 0xfffe
	s_or_b32 exec_lo, exec_lo, s25
	v_add_co_u32 v17, s4, v3, s24
	s_wait_alu 0xf1ff
	v_add_co_ci_u32_e64 v18, null, 0, v4, s4
	scratch_store_b64 off, v[1:2], off
	v_lshlrev_b64_e32 v[13:14], 3, v[17:18]
	s_delay_alu instid0(VALU_DEP_1) | instskip(SKIP_1) | instid1(VALU_DEP_2)
	v_add_co_u32 v19, s4, s8, v13
	s_wait_alu 0xf1ff
	v_add_co_ci_u32_e64 v20, null, s9, v14, s4
	v_cmp_gt_u64_e64 s4, s[18:19], v[17:18]
	s_wait_alu 0xf1ff
	s_delay_alu instid0(VALU_DEP_1)
	v_cndmask_b32_e64 v18, s5, v20, s4
	v_cndmask_b32_e64 v17, 0, v19, s4
	flat_load_b64 v[17:18], v[17:18]
	s_wait_loadcnt_dscnt 0x0
	v_dual_add_f32 v17, s6, v17 :: v_dual_add_f32 v18, s7, v18
	scratch_store_b64 off, v[17:18], off
	s_and_saveexec_b32 s25, vcc_lo
	s_cbranch_execnz .LBB20_14
; %bb.11:                               ;   in Loop: Header=BB20_4 Depth=1
	s_wait_alu 0xfffe
	s_or_b32 exec_lo, exec_lo, s25
	s_and_saveexec_b32 s25, s2
	s_cbranch_execnz .LBB20_15
.LBB20_12:                              ;   in Loop: Header=BB20_4 Depth=1
	s_wait_alu 0xfffe
	s_or_b32 exec_lo, exec_lo, s25
	s_and_saveexec_b32 s2, s3
	s_cbranch_execnz .LBB20_16
.LBB20_13:                              ;   in Loop: Header=BB20_4 Depth=1
	s_wait_alu 0xfffe
	s_or_b32 exec_lo, exec_lo, s2
	s_and_saveexec_b32 s2, s4
	s_cbranch_execz .LBB20_3
	s_branch .LBB20_17
.LBB20_14:                              ;   in Loop: Header=BB20_4 Depth=1
	v_lshlrev_b64_e32 v[3:4], 3, v[3:4]
	v_dual_add_f32 v5, s6, v5 :: v_dual_add_f32 v6, s7, v6
	s_delay_alu instid0(VALU_DEP_2) | instskip(SKIP_1) | instid1(VALU_DEP_3)
	v_add_co_u32 v3, vcc_lo, s10, v3
	s_wait_alu 0xfffd
	v_add_co_ci_u32_e64 v4, null, s11, v4, vcc_lo
	global_store_b64 v[3:4], v[5:6], off
	s_wait_alu 0xfffe
	s_or_b32 exec_lo, exec_lo, s25
	s_and_saveexec_b32 s25, s2
	s_cbranch_execz .LBB20_12
.LBB20_15:                              ;   in Loop: Header=BB20_4 Depth=1
	v_lshlrev_b64_e32 v[3:4], 3, v[7:8]
	v_dual_add_f32 v5, s6, v11 :: v_dual_add_f32 v6, s7, v12
	s_delay_alu instid0(VALU_DEP_2) | instskip(SKIP_1) | instid1(VALU_DEP_3)
	v_add_co_u32 v3, vcc_lo, s10, v3
	s_wait_alu 0xfffd
	v_add_co_ci_u32_e64 v4, null, s11, v4, vcc_lo
	global_store_b64 v[3:4], v[5:6], off
	s_wait_alu 0xfffe
	s_or_b32 exec_lo, exec_lo, s25
	s_and_saveexec_b32 s2, s3
	s_cbranch_execz .LBB20_13
.LBB20_16:                              ;   in Loop: Header=BB20_4 Depth=1
	v_lshlrev_b64_e32 v[3:4], 3, v[9:10]
	v_dual_add_f32 v5, s6, v15 :: v_dual_add_f32 v6, s7, v16
	s_delay_alu instid0(VALU_DEP_2) | instskip(SKIP_1) | instid1(VALU_DEP_3)
	v_add_co_u32 v3, vcc_lo, s10, v3
	s_wait_alu 0xfffd
	v_add_co_ci_u32_e64 v4, null, s11, v4, vcc_lo
	global_store_b64 v[3:4], v[5:6], off
	s_wait_alu 0xfffe
	s_or_b32 exec_lo, exec_lo, s2
	s_and_saveexec_b32 s2, s4
	s_cbranch_execz .LBB20_3
.LBB20_17:                              ;   in Loop: Header=BB20_4 Depth=1
	scratch_load_b64 v[3:4], off, off
	v_add_co_u32 v5, vcc_lo, s10, v13
	s_wait_alu 0xfffd
	v_add_co_ci_u32_e64 v6, null, s11, v14, vcc_lo
	s_wait_loadcnt 0x0
	global_store_b64 v[5:6], v[3:4], off
	s_branch .LBB20_3
.LBB20_18:
	s_mov_b32 s2, 0
.LBB20_19:
	s_wait_alu 0xfffe
	s_and_not1_b32 vcc_lo, exec_lo, s2
	s_wait_alu 0xfffe
	s_cbranch_vccnz .LBB20_23
; %bb.20:
	v_cmp_gt_i64_e64 s2, 0x10000, s[12:13]
	v_dual_mov_b32 v2, 0 :: v_dual_lshlrev_b32 v1, 2, v0
	s_mov_b32 s5, 0
	s_mov_b32 s4, exec_lo
	s_and_b32 s2, s2, exec_lo
	s_cselect_b32 s3, s13, 0
	s_cselect_b32 s2, s12, 0x10000
	s_wait_alu 0xfffe
	v_cmpx_gt_i64_e64 s[2:3], v[1:2]
	s_cbranch_execz .LBB20_23
; %bb.21:
	s_load_b32 s0, s[0:1], 0xc64
	v_dual_mov_b32 v1, v2 :: v_dual_lshlrev_b32 v2, 5, v0
	s_mov_b32 s1, s5
	s_wait_kmcnt 0x0
	s_and_b32 s0, s0, 0xffff
	s_delay_alu instid0(SALU_CYCLE_1)
	s_lshl_b32 s4, s0, 5
.LBB20_22:                              ; =>This Inner Loop Header: Depth=1
	v_add_co_u32 v7, s12, s8, v2
	s_wait_alu 0xf1ff
	v_add_co_ci_u32_e64 v8, null, s9, 0, s12
	v_add_co_u32 v0, vcc_lo, v0, s0
	s_wait_alu 0xfffd
	v_add_co_ci_u32_e64 v1, null, 0, v1, vcc_lo
	s_clause 0x1
	global_load_b128 v[3:6], v[7:8], off
	global_load_b128 v[7:10], v[7:8], off offset:16
	v_add_co_u32 v11, s12, s10, v2
	v_lshlrev_b64_e32 v[13:14], 2, v[0:1]
	s_wait_alu 0xf1ff
	v_add_co_ci_u32_e64 v12, null, s11, 0, s12
	s_wait_alu 0xfffe
	s_add_nc_u64 s[10:11], s[10:11], s[4:5]
	s_add_nc_u64 s[8:9], s[8:9], s[4:5]
	v_cmp_le_i64_e32 vcc_lo, s[2:3], v[13:14]
	s_or_b32 s1, vcc_lo, s1
	s_wait_loadcnt 0x1
	v_dual_add_f32 v3, s6, v3 :: v_dual_add_f32 v4, s7, v4
	s_wait_loadcnt 0x0
	v_dual_add_f32 v9, s6, v9 :: v_dual_add_f32 v10, s7, v10
	v_dual_add_f32 v7, s6, v7 :: v_dual_add_f32 v8, s7, v8
	;; [unrolled: 1-line block ×3, first 2 shown]
	scratch_store_b64 off, v[9:10], off
	s_clause 0x1
	global_store_b128 v[11:12], v[3:6], off
	global_store_b128 v[11:12], v[7:10], off offset:16
	s_wait_alu 0xfffe
	s_and_not1_b32 exec_lo, exec_lo, s1
	s_cbranch_execnz .LBB20_22
.LBB20_23:
	s_endpgm
	.section	.rodata,"a",@progbits
	.p2align	6, 0x0
	.amdhsa_kernel _ZN2at6native12_GLOBAL__N_125multi_tensor_apply_kernelINS1_18TensorListMetadataILi2EEENS1_21BinaryOpScalarFunctorIN3c107complexIfEELi2ELi1ELi1EEEJSt4plusIS8_ES8_EEEvT_T0_DpT1_
		.amdhsa_group_segment_fixed_size 0
		.amdhsa_private_segment_fixed_size 16
		.amdhsa_kernarg_size 3416
		.amdhsa_user_sgpr_count 2
		.amdhsa_user_sgpr_dispatch_ptr 0
		.amdhsa_user_sgpr_queue_ptr 0
		.amdhsa_user_sgpr_kernarg_segment_ptr 1
		.amdhsa_user_sgpr_dispatch_id 0
		.amdhsa_user_sgpr_private_segment_size 0
		.amdhsa_wavefront_size32 1
		.amdhsa_uses_dynamic_stack 0
		.amdhsa_enable_private_segment 1
		.amdhsa_system_sgpr_workgroup_id_x 1
		.amdhsa_system_sgpr_workgroup_id_y 0
		.amdhsa_system_sgpr_workgroup_id_z 0
		.amdhsa_system_sgpr_workgroup_info 0
		.amdhsa_system_vgpr_workitem_id 0
		.amdhsa_next_free_vgpr 21
		.amdhsa_next_free_sgpr 26
		.amdhsa_reserve_vcc 1
		.amdhsa_float_round_mode_32 0
		.amdhsa_float_round_mode_16_64 0
		.amdhsa_float_denorm_mode_32 3
		.amdhsa_float_denorm_mode_16_64 3
		.amdhsa_fp16_overflow 0
		.amdhsa_workgroup_processor_mode 1
		.amdhsa_memory_ordered 1
		.amdhsa_forward_progress 1
		.amdhsa_inst_pref_size 11
		.amdhsa_round_robin_scheduling 0
		.amdhsa_exception_fp_ieee_invalid_op 0
		.amdhsa_exception_fp_denorm_src 0
		.amdhsa_exception_fp_ieee_div_zero 0
		.amdhsa_exception_fp_ieee_overflow 0
		.amdhsa_exception_fp_ieee_underflow 0
		.amdhsa_exception_fp_ieee_inexact 0
		.amdhsa_exception_int_div_zero 0
	.end_amdhsa_kernel
	.section	.text._ZN2at6native12_GLOBAL__N_125multi_tensor_apply_kernelINS1_18TensorListMetadataILi2EEENS1_21BinaryOpScalarFunctorIN3c107complexIfEELi2ELi1ELi1EEEJSt4plusIS8_ES8_EEEvT_T0_DpT1_,"axG",@progbits,_ZN2at6native12_GLOBAL__N_125multi_tensor_apply_kernelINS1_18TensorListMetadataILi2EEENS1_21BinaryOpScalarFunctorIN3c107complexIfEELi2ELi1ELi1EEEJSt4plusIS8_ES8_EEEvT_T0_DpT1_,comdat
.Lfunc_end20:
	.size	_ZN2at6native12_GLOBAL__N_125multi_tensor_apply_kernelINS1_18TensorListMetadataILi2EEENS1_21BinaryOpScalarFunctorIN3c107complexIfEELi2ELi1ELi1EEEJSt4plusIS8_ES8_EEEvT_T0_DpT1_, .Lfunc_end20-_ZN2at6native12_GLOBAL__N_125multi_tensor_apply_kernelINS1_18TensorListMetadataILi2EEENS1_21BinaryOpScalarFunctorIN3c107complexIfEELi2ELi1ELi1EEEJSt4plusIS8_ES8_EEEvT_T0_DpT1_
                                        ; -- End function
	.set _ZN2at6native12_GLOBAL__N_125multi_tensor_apply_kernelINS1_18TensorListMetadataILi2EEENS1_21BinaryOpScalarFunctorIN3c107complexIfEELi2ELi1ELi1EEEJSt4plusIS8_ES8_EEEvT_T0_DpT1_.num_vgpr, 21
	.set _ZN2at6native12_GLOBAL__N_125multi_tensor_apply_kernelINS1_18TensorListMetadataILi2EEENS1_21BinaryOpScalarFunctorIN3c107complexIfEELi2ELi1ELi1EEEJSt4plusIS8_ES8_EEEvT_T0_DpT1_.num_agpr, 0
	.set _ZN2at6native12_GLOBAL__N_125multi_tensor_apply_kernelINS1_18TensorListMetadataILi2EEENS1_21BinaryOpScalarFunctorIN3c107complexIfEELi2ELi1ELi1EEEJSt4plusIS8_ES8_EEEvT_T0_DpT1_.numbered_sgpr, 26
	.set _ZN2at6native12_GLOBAL__N_125multi_tensor_apply_kernelINS1_18TensorListMetadataILi2EEENS1_21BinaryOpScalarFunctorIN3c107complexIfEELi2ELi1ELi1EEEJSt4plusIS8_ES8_EEEvT_T0_DpT1_.num_named_barrier, 0
	.set _ZN2at6native12_GLOBAL__N_125multi_tensor_apply_kernelINS1_18TensorListMetadataILi2EEENS1_21BinaryOpScalarFunctorIN3c107complexIfEELi2ELi1ELi1EEEJSt4plusIS8_ES8_EEEvT_T0_DpT1_.private_seg_size, 16
	.set _ZN2at6native12_GLOBAL__N_125multi_tensor_apply_kernelINS1_18TensorListMetadataILi2EEENS1_21BinaryOpScalarFunctorIN3c107complexIfEELi2ELi1ELi1EEEJSt4plusIS8_ES8_EEEvT_T0_DpT1_.uses_vcc, 1
	.set _ZN2at6native12_GLOBAL__N_125multi_tensor_apply_kernelINS1_18TensorListMetadataILi2EEENS1_21BinaryOpScalarFunctorIN3c107complexIfEELi2ELi1ELi1EEEJSt4plusIS8_ES8_EEEvT_T0_DpT1_.uses_flat_scratch, 0
	.set _ZN2at6native12_GLOBAL__N_125multi_tensor_apply_kernelINS1_18TensorListMetadataILi2EEENS1_21BinaryOpScalarFunctorIN3c107complexIfEELi2ELi1ELi1EEEJSt4plusIS8_ES8_EEEvT_T0_DpT1_.has_dyn_sized_stack, 0
	.set _ZN2at6native12_GLOBAL__N_125multi_tensor_apply_kernelINS1_18TensorListMetadataILi2EEENS1_21BinaryOpScalarFunctorIN3c107complexIfEELi2ELi1ELi1EEEJSt4plusIS8_ES8_EEEvT_T0_DpT1_.has_recursion, 0
	.set _ZN2at6native12_GLOBAL__N_125multi_tensor_apply_kernelINS1_18TensorListMetadataILi2EEENS1_21BinaryOpScalarFunctorIN3c107complexIfEELi2ELi1ELi1EEEJSt4plusIS8_ES8_EEEvT_T0_DpT1_.has_indirect_call, 0
	.section	.AMDGPU.csdata,"",@progbits
; Kernel info:
; codeLenInByte = 1368
; TotalNumSgprs: 28
; NumVgprs: 21
; ScratchSize: 16
; MemoryBound: 0
; FloatMode: 240
; IeeeMode: 1
; LDSByteSize: 0 bytes/workgroup (compile time only)
; SGPRBlocks: 0
; VGPRBlocks: 2
; NumSGPRsForWavesPerEU: 28
; NumVGPRsForWavesPerEU: 21
; Occupancy: 16
; WaveLimiterHint : 0
; COMPUTE_PGM_RSRC2:SCRATCH_EN: 1
; COMPUTE_PGM_RSRC2:USER_SGPR: 2
; COMPUTE_PGM_RSRC2:TRAP_HANDLER: 0
; COMPUTE_PGM_RSRC2:TGID_X_EN: 1
; COMPUTE_PGM_RSRC2:TGID_Y_EN: 0
; COMPUTE_PGM_RSRC2:TGID_Z_EN: 0
; COMPUTE_PGM_RSRC2:TIDIG_COMP_CNT: 0
	.section	.text._ZN2at6native12_GLOBAL__N_125multi_tensor_apply_kernelINS1_18TensorListMetadataILi2EEENS1_21BinaryOpScalarFunctorIbLi2ELi1ELi1EEEJSt4plusIbEbEEEvT_T0_DpT1_,"axG",@progbits,_ZN2at6native12_GLOBAL__N_125multi_tensor_apply_kernelINS1_18TensorListMetadataILi2EEENS1_21BinaryOpScalarFunctorIbLi2ELi1ELi1EEEJSt4plusIbEbEEEvT_T0_DpT1_,comdat
	.globl	_ZN2at6native12_GLOBAL__N_125multi_tensor_apply_kernelINS1_18TensorListMetadataILi2EEENS1_21BinaryOpScalarFunctorIbLi2ELi1ELi1EEEJSt4plusIbEbEEEvT_T0_DpT1_ ; -- Begin function _ZN2at6native12_GLOBAL__N_125multi_tensor_apply_kernelINS1_18TensorListMetadataILi2EEENS1_21BinaryOpScalarFunctorIbLi2ELi1ELi1EEEJSt4plusIbEbEEEvT_T0_DpT1_
	.p2align	8
	.type	_ZN2at6native12_GLOBAL__N_125multi_tensor_apply_kernelINS1_18TensorListMetadataILi2EEENS1_21BinaryOpScalarFunctorIbLi2ELi1ELi1EEEJSt4plusIbEbEEEvT_T0_DpT1_,@function
_ZN2at6native12_GLOBAL__N_125multi_tensor_apply_kernelINS1_18TensorListMetadataILi2EEENS1_21BinaryOpScalarFunctorIbLi2ELi1ELi1EEEJSt4plusIbEbEEEvT_T0_DpT1_: ; @_ZN2at6native12_GLOBAL__N_125multi_tensor_apply_kernelINS1_18TensorListMetadataILi2EEENS1_21BinaryOpScalarFunctorIbLi2ELi1ELi1EEEJSt4plusIbEbEEEvT_T0_DpT1_
; %bb.0:
	s_load_u8 s6, s[0:1], ttmp9 offset:0x600
	s_mov_b32 s2, ttmp9
	s_mov_b32 s3, 0
	s_delay_alu instid0(SALU_CYCLE_1) | instskip(SKIP_1) | instid1(SALU_CYCLE_1)
	s_mul_u64 s[4:5], s[2:3], 3
	s_add_nc_u64 s[2:3], s[0:1], s[2:3]
	s_add_nc_u64 s[2:3], s[2:3], s[4:5]
	s_load_b32 s2, s[2:3], 0x740
	s_wait_kmcnt 0x0
	s_lshl_b32 s3, s6, 3
	s_clause 0x3
	s_load_b64 s[4:5], s[0:1], s3 offset:0x400
	s_load_b64 s[6:7], s[0:1], s3 offset:0x0
	;; [unrolled: 1-line block ×3, first 2 shown]
	s_load_b32 s14, s[0:1], 0xc48
	s_ashr_i32 s3, s2, 31
	s_delay_alu instid0(SALU_CYCLE_1)
	s_lshl_b64 s[10:11], s[2:3], 16
	s_wait_kmcnt 0x0
	s_sub_nc_u64 s[12:13], s[4:5], s[10:11]
	s_add_nc_u64 s[2:3], s[6:7], s[10:11]
	s_or_b32 s3, s4, s8
	s_bfe_u32 s22, s14, 0x10010
	s_or_b32 s2, s3, s2
	s_delay_alu instid0(SALU_CYCLE_1) | instskip(NEXT) | instid1(SALU_CYCLE_1)
	s_and_b32 s2, s2, 3
	s_cmp_eq_u32 s2, 0
	s_mov_b32 s2, -1
	s_cbranch_scc1 .LBB21_21
; %bb.1:
	v_cmp_lt_i64_e64 s2, s[12:13], 1
	s_and_b32 vcc_lo, exec_lo, s2
	s_cbranch_vccnz .LBB21_20
; %bb.2:
	s_load_b32 s2, s[0:1], 0xc5c
	v_cmp_gt_i64_e64 s4, 0x10000, s[12:13]
	v_cmp_gt_u64_e64 s5, 0x10000, s[12:13]
	s_mov_b32 s19, 0
	v_add_co_u32 v15, s3, s10, v0
	s_delay_alu instid0(VALU_DEP_1)
	v_add_co_ci_u32_e64 v16, null, s11, 0, s3
	s_and_b32 s4, s4, exec_lo
	s_cselect_b32 s15, s13, 0
	s_cselect_b32 s14, s12, 0x10000
	s_mov_b32 s3, s19
	v_add_co_u32 v1, vcc_lo, s6, v15
	s_delay_alu instid0(VALU_DEP_1)
	v_add_co_ci_u32_e64 v2, null, s7, v16, vcc_lo
	v_add_co_u32 v3, vcc_lo, s8, v15
	s_wait_alu 0xfffd
	v_add_co_ci_u32_e64 v4, null, s9, v16, vcc_lo
	s_wait_kmcnt 0x0
	s_and_b32 s20, s2, 0xffff
	s_and_b32 s2, s5, exec_lo
	s_mul_i32 s2, s20, 3
	s_cselect_b32 s17, s13, 0
	s_wait_alu 0xfffe
	s_add_nc_u64 s[4:5], s[10:11], s[2:3]
	s_cselect_b32 s16, s12, 0x10000
	s_lshl_b32 s18, s20, 1
	v_add_co_u32 v7, s3, s4, v0
	s_wait_alu 0xf1ff
	v_add_co_ci_u32_e64 v8, null, s5, 0, s3
	s_add_nc_u64 s[4:5], s[10:11], s[18:19]
	v_add_co_u32 v5, vcc_lo, s6, v7
	s_wait_alu 0xfffe
	v_add_co_u32 v13, s3, s4, v0
	s_wait_alu 0xf1ff
	v_add_co_ci_u32_e64 v14, null, s5, 0, s3
	s_wait_alu 0xfffd
	v_add_co_ci_u32_e64 v6, null, s7, v8, vcc_lo
	v_add_co_u32 v7, vcc_lo, s8, v7
	s_wait_alu 0xfffd
	v_add_co_ci_u32_e64 v8, null, s9, v8, vcc_lo
	v_add_co_u32 v11, vcc_lo, s6, v13
	;; [unrolled: 3-line block ×4, first 2 shown]
	s_wait_alu 0xfffd
	v_add_co_ci_u32_e64 v20, null, 0, v16, vcc_lo
	v_add_co_u32 v9, s2, s2, v0
	s_wait_alu 0xf1ff
	v_add_co_ci_u32_e64 v10, null, 0, 0, s2
	v_add_co_u32 v15, s2, s18, v0
	v_add_co_u32 v17, vcc_lo, s6, v19
	s_wait_alu 0xf1ff
	v_add_co_ci_u32_e64 v16, null, 0, 0, s2
	s_wait_alu 0xfffd
	v_add_co_ci_u32_e64 v18, null, s7, v20, vcc_lo
	v_add_co_u32 v19, vcc_lo, s8, v19
	v_add_co_u32 v21, s2, v0, s20
	s_wait_alu 0xfffd
	v_add_co_ci_u32_e64 v20, null, s9, v20, vcc_lo
	s_wait_alu 0xf1ff
	v_add_co_ci_u32_e64 v22, null, 0, 0, s2
	s_lshl_b32 s18, s20, 2
	s_mov_b64 s[20:21], 0
	s_branch .LBB21_4
.LBB21_3:                               ;   in Loop: Header=BB21_4 Depth=1
	s_wait_alu 0xfffe
	s_or_b32 exec_lo, exec_lo, s2
	s_add_nc_u64 s[20:21], s[20:21], s[18:19]
	s_wait_alu 0xfffe
	v_cmp_lt_i64_e64 s2, s[20:21], s[14:15]
	s_and_b32 vcc_lo, exec_lo, s2
	s_wait_alu 0xfffe
	s_cbranch_vccz .LBB21_20
.LBB21_4:                               ; =>This Inner Loop Header: Depth=1
	s_wait_loadcnt 0x0
	s_wait_alu 0xfffe
	v_add_co_u32 v23, s2, v0, s20
	s_wait_alu 0xf1ff
	v_add_co_ci_u32_e64 v24, null, 0, s21, s2
	s_delay_alu instid0(VALU_DEP_1)
	v_cmp_gt_u64_e32 vcc_lo, s[16:17], v[23:24]
	v_mov_b32_e32 v24, 0
	s_and_saveexec_b32 s3, vcc_lo
	s_cbranch_execz .LBB21_6
; %bb.5:                                ;   in Loop: Header=BB21_4 Depth=1
	v_add_co_u32 v23, s2, v1, s20
	s_wait_alu 0xf1ff
	v_add_co_ci_u32_e64 v24, null, s21, v2, s2
	global_load_u8 v24, v[23:24], off
.LBB21_6:                               ;   in Loop: Header=BB21_4 Depth=1
	s_wait_alu 0xfffe
	s_or_b32 exec_lo, exec_lo, s3
	v_add_co_u32 v25, s2, v21, s20
	s_wait_alu 0xf1ff
	v_add_co_ci_u32_e64 v26, null, s21, v22, s2
	v_mov_b32_e32 v23, 0
	s_delay_alu instid0(VALU_DEP_2)
	v_cmp_gt_u64_e64 s2, s[16:17], v[25:26]
	v_mov_b32_e32 v25, 0
	s_and_saveexec_b32 s4, s2
	s_cbranch_execz .LBB21_8
; %bb.7:                                ;   in Loop: Header=BB21_4 Depth=1
	v_add_co_u32 v25, s3, v17, s20
	s_wait_alu 0xf1ff
	v_add_co_ci_u32_e64 v26, null, s21, v18, s3
	global_load_u8 v25, v[25:26], off
.LBB21_8:                               ;   in Loop: Header=BB21_4 Depth=1
	s_wait_alu 0xfffe
	s_or_b32 exec_lo, exec_lo, s4
	v_add_co_u32 v26, s3, v15, s20
	s_wait_alu 0xf1ff
	v_add_co_ci_u32_e64 v27, null, s21, v16, s3
	s_delay_alu instid0(VALU_DEP_1)
	v_cmp_gt_u64_e64 s3, s[16:17], v[26:27]
	s_and_saveexec_b32 s5, s3
	s_cbranch_execz .LBB21_10
; %bb.9:                                ;   in Loop: Header=BB21_4 Depth=1
	v_add_co_u32 v26, s4, v11, s20
	s_wait_alu 0xf1ff
	v_add_co_ci_u32_e64 v27, null, s21, v12, s4
	global_load_u8 v23, v[26:27], off
.LBB21_10:                              ;   in Loop: Header=BB21_4 Depth=1
	s_wait_alu 0xfffe
	s_or_b32 exec_lo, exec_lo, s5
	v_add_co_u32 v26, s4, v9, s20
	s_wait_alu 0xf1ff
	v_add_co_ci_u32_e64 v27, null, s21, v10, s4
	s_delay_alu instid0(VALU_DEP_1)
	v_cmp_gt_u64_e64 s4, s[16:17], v[26:27]
	v_mov_b32_e32 v26, 0
	s_and_saveexec_b32 s23, s4
	s_cbranch_execnz .LBB21_15
; %bb.11:                               ;   in Loop: Header=BB21_4 Depth=1
	s_wait_alu 0xfffe
	s_or_b32 exec_lo, exec_lo, s23
	s_and_saveexec_b32 s5, vcc_lo
	s_cbranch_execnz .LBB21_16
.LBB21_12:                              ;   in Loop: Header=BB21_4 Depth=1
	s_wait_alu 0xfffe
	s_or_b32 exec_lo, exec_lo, s5
	s_and_saveexec_b32 s5, s2
	s_cbranch_execnz .LBB21_17
.LBB21_13:                              ;   in Loop: Header=BB21_4 Depth=1
	s_wait_alu 0xfffe
	s_or_b32 exec_lo, exec_lo, s5
	s_and_saveexec_b32 s2, s3
	s_cbranch_execnz .LBB21_18
.LBB21_14:                              ;   in Loop: Header=BB21_4 Depth=1
	s_wait_alu 0xfffe
	s_or_b32 exec_lo, exec_lo, s2
	s_and_saveexec_b32 s2, s4
	s_cbranch_execz .LBB21_3
	s_branch .LBB21_19
.LBB21_15:                              ;   in Loop: Header=BB21_4 Depth=1
	v_add_co_u32 v26, s5, v5, s20
	s_wait_alu 0xf1ff
	v_add_co_ci_u32_e64 v27, null, s21, v6, s5
	global_load_u8 v26, v[26:27], off
	s_wait_alu 0xfffe
	s_or_b32 exec_lo, exec_lo, s23
	s_and_saveexec_b32 s5, vcc_lo
	s_cbranch_execz .LBB21_12
.LBB21_16:                              ;   in Loop: Header=BB21_4 Depth=1
	v_add_co_u32 v27, vcc_lo, v3, s20
	s_wait_loadcnt 0x0
	v_or_b32_e32 v24, s22, v24
	s_wait_alu 0xfffd
	v_add_co_ci_u32_e64 v28, null, s21, v4, vcc_lo
	global_store_b8 v[27:28], v24, off
	s_wait_alu 0xfffe
	s_or_b32 exec_lo, exec_lo, s5
	s_and_saveexec_b32 s5, s2
	s_cbranch_execz .LBB21_13
.LBB21_17:                              ;   in Loop: Header=BB21_4 Depth=1
	s_wait_loadcnt 0x0
	v_add_co_u32 v24, vcc_lo, v19, s20
	v_or_b32_e32 v27, s22, v25
	s_wait_alu 0xfffd
	v_add_co_ci_u32_e64 v25, null, s21, v20, vcc_lo
	global_store_b8 v[24:25], v27, off
	s_wait_alu 0xfffe
	s_or_b32 exec_lo, exec_lo, s5
	s_and_saveexec_b32 s2, s3
	s_cbranch_execz .LBB21_14
.LBB21_18:                              ;   in Loop: Header=BB21_4 Depth=1
	s_wait_loadcnt 0x0
	v_or_b32_e32 v25, s22, v23
	v_add_co_u32 v23, vcc_lo, v13, s20
	s_wait_alu 0xfffd
	v_add_co_ci_u32_e64 v24, null, s21, v14, vcc_lo
	global_store_b8 v[23:24], v25, off
	s_wait_alu 0xfffe
	s_or_b32 exec_lo, exec_lo, s2
	s_and_saveexec_b32 s2, s4
	s_cbranch_execz .LBB21_3
.LBB21_19:                              ;   in Loop: Header=BB21_4 Depth=1
	s_wait_loadcnt 0x0
	v_add_co_u32 v23, vcc_lo, v7, s20
	v_or_b32_e32 v25, s22, v26
	s_wait_alu 0xfffd
	v_add_co_ci_u32_e64 v24, null, s21, v8, vcc_lo
	global_store_b8 v[23:24], v25, off
	s_branch .LBB21_3
.LBB21_20:
	s_mov_b32 s2, 0
.LBB21_21:
	s_wait_alu 0xfffe
	s_and_not1_b32 vcc_lo, exec_lo, s2
	s_wait_alu 0xfffe
	s_cbranch_vccnz .LBB21_25
; %bb.22:
	v_cmp_gt_i64_e64 s2, 0x10000, s[12:13]
	v_dual_mov_b32 v3, 0 :: v_dual_lshlrev_b32 v2, 2, v0
	s_mov_b32 s4, 0
	s_mov_b32 s5, exec_lo
	s_and_b32 s2, s2, exec_lo
	s_cselect_b32 s3, s13, 0
	s_cselect_b32 s2, s12, 0x10000
	s_wait_alu 0xfffe
	v_cmpx_gt_i64_e64 s[2:3], v[2:3]
	s_cbranch_execz .LBB21_25
; %bb.23:
	s_load_b32 s0, s[0:1], 0xc5c
	v_add_co_u32 v2, s1, s10, v2
	v_mov_b32_e32 v1, v3
	v_add_co_ci_u32_e64 v3, null, s11, 0, s1
	s_wait_kmcnt 0x0
	s_and_b32 s1, s0, 0xffff
	s_wait_alu 0xfffe
	s_lshl_b32 s5, s1, 2
.LBB21_24:                              ; =>This Inner Loop Header: Depth=1
	v_add_co_u32 v4, vcc_lo, s6, v2
	s_wait_alu 0xfffd
	v_add_co_ci_u32_e64 v5, null, s7, v3, vcc_lo
	v_add_co_u32 v0, vcc_lo, v0, s1
	s_wait_alu 0xfffd
	v_add_co_ci_u32_e64 v1, null, 0, v1, vcc_lo
	global_load_b32 v4, v[4:5], off
	s_wait_loadcnt 0x0
	v_lshrrev_b32_e32 v5, 8, v4
	v_lshrrev_b32_e32 v6, 24, v4
	v_lshrrev_b32_e32 v7, 16, v4
	v_or_b32_e32 v4, s22, v4
	s_delay_alu instid0(VALU_DEP_4) | instskip(NEXT) | instid1(VALU_DEP_4)
	v_or_b32_e32 v5, s22, v5
	v_or_b32_e32 v6, s22, v6
	s_delay_alu instid0(VALU_DEP_4) | instskip(NEXT) | instid1(VALU_DEP_4)
	v_or_b32_e32 v7, s22, v7
	v_and_b32_e32 v8, 0xff, v4
	v_add_co_u32 v4, vcc_lo, s8, v2
	v_lshlrev_b16 v5, 8, v5
	v_lshlrev_b16 v9, 8, v6
	v_and_b32_e32 v10, 0xff, v7
	v_lshlrev_b64_e32 v[6:7], 2, v[0:1]
	s_wait_alu 0xfffe
	v_add_co_u32 v2, s0, v2, s5
	v_or_b32_e32 v8, v8, v5
	v_or_b32_e32 v9, v10, v9
	s_wait_alu 0xfffd
	v_add_co_ci_u32_e64 v5, null, s9, v3, vcc_lo
	v_cmp_le_i64_e32 vcc_lo, s[2:3], v[6:7]
	v_and_b32_e32 v8, 0xffff, v8
	v_lshlrev_b32_e32 v9, 16, v9
	s_wait_alu 0xf1ff
	v_add_co_ci_u32_e64 v3, null, 0, v3, s0
	s_or_b32 s4, vcc_lo, s4
	v_or_b32_e32 v6, v8, v9
	global_store_b32 v[4:5], v6, off
	s_wait_alu 0xfffe
	s_and_not1_b32 exec_lo, exec_lo, s4
	s_cbranch_execnz .LBB21_24
.LBB21_25:
	s_endpgm
	.section	.rodata,"a",@progbits
	.p2align	6, 0x0
	.amdhsa_kernel _ZN2at6native12_GLOBAL__N_125multi_tensor_apply_kernelINS1_18TensorListMetadataILi2EEENS1_21BinaryOpScalarFunctorIbLi2ELi1ELi1EEEJSt4plusIbEbEEEvT_T0_DpT1_
		.amdhsa_group_segment_fixed_size 0
		.amdhsa_private_segment_fixed_size 0
		.amdhsa_kernarg_size 3408
		.amdhsa_user_sgpr_count 2
		.amdhsa_user_sgpr_dispatch_ptr 0
		.amdhsa_user_sgpr_queue_ptr 0
		.amdhsa_user_sgpr_kernarg_segment_ptr 1
		.amdhsa_user_sgpr_dispatch_id 0
		.amdhsa_user_sgpr_private_segment_size 0
		.amdhsa_wavefront_size32 1
		.amdhsa_uses_dynamic_stack 0
		.amdhsa_enable_private_segment 0
		.amdhsa_system_sgpr_workgroup_id_x 1
		.amdhsa_system_sgpr_workgroup_id_y 0
		.amdhsa_system_sgpr_workgroup_id_z 0
		.amdhsa_system_sgpr_workgroup_info 0
		.amdhsa_system_vgpr_workitem_id 0
		.amdhsa_next_free_vgpr 29
		.amdhsa_next_free_sgpr 24
		.amdhsa_reserve_vcc 1
		.amdhsa_float_round_mode_32 0
		.amdhsa_float_round_mode_16_64 0
		.amdhsa_float_denorm_mode_32 3
		.amdhsa_float_denorm_mode_16_64 3
		.amdhsa_fp16_overflow 0
		.amdhsa_workgroup_processor_mode 1
		.amdhsa_memory_ordered 1
		.amdhsa_forward_progress 1
		.amdhsa_inst_pref_size 13
		.amdhsa_round_robin_scheduling 0
		.amdhsa_exception_fp_ieee_invalid_op 0
		.amdhsa_exception_fp_denorm_src 0
		.amdhsa_exception_fp_ieee_div_zero 0
		.amdhsa_exception_fp_ieee_overflow 0
		.amdhsa_exception_fp_ieee_underflow 0
		.amdhsa_exception_fp_ieee_inexact 0
		.amdhsa_exception_int_div_zero 0
	.end_amdhsa_kernel
	.section	.text._ZN2at6native12_GLOBAL__N_125multi_tensor_apply_kernelINS1_18TensorListMetadataILi2EEENS1_21BinaryOpScalarFunctorIbLi2ELi1ELi1EEEJSt4plusIbEbEEEvT_T0_DpT1_,"axG",@progbits,_ZN2at6native12_GLOBAL__N_125multi_tensor_apply_kernelINS1_18TensorListMetadataILi2EEENS1_21BinaryOpScalarFunctorIbLi2ELi1ELi1EEEJSt4plusIbEbEEEvT_T0_DpT1_,comdat
.Lfunc_end21:
	.size	_ZN2at6native12_GLOBAL__N_125multi_tensor_apply_kernelINS1_18TensorListMetadataILi2EEENS1_21BinaryOpScalarFunctorIbLi2ELi1ELi1EEEJSt4plusIbEbEEEvT_T0_DpT1_, .Lfunc_end21-_ZN2at6native12_GLOBAL__N_125multi_tensor_apply_kernelINS1_18TensorListMetadataILi2EEENS1_21BinaryOpScalarFunctorIbLi2ELi1ELi1EEEJSt4plusIbEbEEEvT_T0_DpT1_
                                        ; -- End function
	.set _ZN2at6native12_GLOBAL__N_125multi_tensor_apply_kernelINS1_18TensorListMetadataILi2EEENS1_21BinaryOpScalarFunctorIbLi2ELi1ELi1EEEJSt4plusIbEbEEEvT_T0_DpT1_.num_vgpr, 29
	.set _ZN2at6native12_GLOBAL__N_125multi_tensor_apply_kernelINS1_18TensorListMetadataILi2EEENS1_21BinaryOpScalarFunctorIbLi2ELi1ELi1EEEJSt4plusIbEbEEEvT_T0_DpT1_.num_agpr, 0
	.set _ZN2at6native12_GLOBAL__N_125multi_tensor_apply_kernelINS1_18TensorListMetadataILi2EEENS1_21BinaryOpScalarFunctorIbLi2ELi1ELi1EEEJSt4plusIbEbEEEvT_T0_DpT1_.numbered_sgpr, 24
	.set _ZN2at6native12_GLOBAL__N_125multi_tensor_apply_kernelINS1_18TensorListMetadataILi2EEENS1_21BinaryOpScalarFunctorIbLi2ELi1ELi1EEEJSt4plusIbEbEEEvT_T0_DpT1_.num_named_barrier, 0
	.set _ZN2at6native12_GLOBAL__N_125multi_tensor_apply_kernelINS1_18TensorListMetadataILi2EEENS1_21BinaryOpScalarFunctorIbLi2ELi1ELi1EEEJSt4plusIbEbEEEvT_T0_DpT1_.private_seg_size, 0
	.set _ZN2at6native12_GLOBAL__N_125multi_tensor_apply_kernelINS1_18TensorListMetadataILi2EEENS1_21BinaryOpScalarFunctorIbLi2ELi1ELi1EEEJSt4plusIbEbEEEvT_T0_DpT1_.uses_vcc, 1
	.set _ZN2at6native12_GLOBAL__N_125multi_tensor_apply_kernelINS1_18TensorListMetadataILi2EEENS1_21BinaryOpScalarFunctorIbLi2ELi1ELi1EEEJSt4plusIbEbEEEvT_T0_DpT1_.uses_flat_scratch, 0
	.set _ZN2at6native12_GLOBAL__N_125multi_tensor_apply_kernelINS1_18TensorListMetadataILi2EEENS1_21BinaryOpScalarFunctorIbLi2ELi1ELi1EEEJSt4plusIbEbEEEvT_T0_DpT1_.has_dyn_sized_stack, 0
	.set _ZN2at6native12_GLOBAL__N_125multi_tensor_apply_kernelINS1_18TensorListMetadataILi2EEENS1_21BinaryOpScalarFunctorIbLi2ELi1ELi1EEEJSt4plusIbEbEEEvT_T0_DpT1_.has_recursion, 0
	.set _ZN2at6native12_GLOBAL__N_125multi_tensor_apply_kernelINS1_18TensorListMetadataILi2EEENS1_21BinaryOpScalarFunctorIbLi2ELi1ELi1EEEJSt4plusIbEbEEEvT_T0_DpT1_.has_indirect_call, 0
	.section	.AMDGPU.csdata,"",@progbits
; Kernel info:
; codeLenInByte = 1604
; TotalNumSgprs: 26
; NumVgprs: 29
; ScratchSize: 0
; MemoryBound: 0
; FloatMode: 240
; IeeeMode: 1
; LDSByteSize: 0 bytes/workgroup (compile time only)
; SGPRBlocks: 0
; VGPRBlocks: 3
; NumSGPRsForWavesPerEU: 26
; NumVGPRsForWavesPerEU: 29
; Occupancy: 16
; WaveLimiterHint : 0
; COMPUTE_PGM_RSRC2:SCRATCH_EN: 0
; COMPUTE_PGM_RSRC2:USER_SGPR: 2
; COMPUTE_PGM_RSRC2:TRAP_HANDLER: 0
; COMPUTE_PGM_RSRC2:TGID_X_EN: 1
; COMPUTE_PGM_RSRC2:TGID_Y_EN: 0
; COMPUTE_PGM_RSRC2:TGID_Z_EN: 0
; COMPUTE_PGM_RSRC2:TIDIG_COMP_CNT: 0
	.section	.text._ZN2at6native12_GLOBAL__N_125multi_tensor_apply_kernelINS1_18TensorListMetadataILi2EEENS1_21BinaryOpScalarFunctorIN3c104HalfELi2ELi1ELi1EEEJSt4plusIfEfEEEvT_T0_DpT1_,"axG",@progbits,_ZN2at6native12_GLOBAL__N_125multi_tensor_apply_kernelINS1_18TensorListMetadataILi2EEENS1_21BinaryOpScalarFunctorIN3c104HalfELi2ELi1ELi1EEEJSt4plusIfEfEEEvT_T0_DpT1_,comdat
	.globl	_ZN2at6native12_GLOBAL__N_125multi_tensor_apply_kernelINS1_18TensorListMetadataILi2EEENS1_21BinaryOpScalarFunctorIN3c104HalfELi2ELi1ELi1EEEJSt4plusIfEfEEEvT_T0_DpT1_ ; -- Begin function _ZN2at6native12_GLOBAL__N_125multi_tensor_apply_kernelINS1_18TensorListMetadataILi2EEENS1_21BinaryOpScalarFunctorIN3c104HalfELi2ELi1ELi1EEEJSt4plusIfEfEEEvT_T0_DpT1_
	.p2align	8
	.type	_ZN2at6native12_GLOBAL__N_125multi_tensor_apply_kernelINS1_18TensorListMetadataILi2EEENS1_21BinaryOpScalarFunctorIN3c104HalfELi2ELi1ELi1EEEJSt4plusIfEfEEEvT_T0_DpT1_,@function
_ZN2at6native12_GLOBAL__N_125multi_tensor_apply_kernelINS1_18TensorListMetadataILi2EEENS1_21BinaryOpScalarFunctorIN3c104HalfELi2ELi1ELi1EEEJSt4plusIfEfEEEvT_T0_DpT1_: ; @_ZN2at6native12_GLOBAL__N_125multi_tensor_apply_kernelINS1_18TensorListMetadataILi2EEENS1_21BinaryOpScalarFunctorIN3c104HalfELi2ELi1ELi1EEEJSt4plusIfEfEEEvT_T0_DpT1_
; %bb.0:
	s_load_u8 s8, s[0:1], ttmp9 offset:0x600
	s_mov_b32 s2, ttmp9
	s_mov_b32 s3, 0
	s_delay_alu instid0(SALU_CYCLE_1)
	s_mul_u64 s[4:5], s[2:3], 3
	s_add_nc_u64 s[6:7], s[0:1], s[2:3]
	s_mov_b32 s15, s3
	s_add_nc_u64 s[4:5], s[6:7], s[4:5]
	s_mov_b32 s17, s3
	s_load_b32 s4, s[4:5], 0x740
	s_wait_kmcnt 0x0
	s_lshl_b32 s2, s8, 3
	s_clause 0x3
	s_load_b64 s[6:7], s[0:1], s2 offset:0x0
	s_load_b64 s[8:9], s[0:1], s2 offset:0x200
	;; [unrolled: 1-line block ×3, first 2 shown]
	s_load_b32 s22, s[0:1], 0xc4c
	s_ashr_i32 s5, s4, 31
	s_delay_alu instid0(SALU_CYCLE_1)
	s_lshl_b64 s[10:11], s[4:5], 17
	s_lshl_b64 s[4:5], s[4:5], 16
	s_wait_kmcnt 0x0
	s_add_nc_u64 s[18:19], s[6:7], s[10:11]
	s_and_b32 s14, s8, 7
	s_and_b32 s16, s12, 3
	;; [unrolled: 1-line block ×3, first 2 shown]
	s_or_b64 s[14:15], s[14:15], s[16:17]
	s_sub_nc_u64 s[12:13], s[12:13], s[4:5]
	s_or_b64 s[2:3], s[14:15], s[2:3]
	s_delay_alu instid0(SALU_CYCLE_1)
	s_cmp_eq_u64 s[2:3], 0
	s_mov_b32 s2, -1
	s_cbranch_scc1 .LBB22_21
; %bb.1:
	v_cmp_lt_i64_e64 s2, s[12:13], 1
	s_and_b32 vcc_lo, exec_lo, s2
	s_cbranch_vccnz .LBB22_20
; %bb.2:
	s_load_b32 s2, s[0:1], 0xc5c
	v_cmp_gt_i64_e64 s3, 0x10000, s[12:13]
	v_dual_mov_b32 v10, 0 :: v_dual_lshlrev_b32 v9, 1, v0
	v_cmp_gt_u64_e64 s4, 0x10000, s[12:13]
	s_mov_b32 s19, 0
	s_mov_b64 s[20:21], 0
	s_and_b32 s3, s3, exec_lo
	v_add_co_u32 v1, s5, s6, v9
	s_cselect_b32 s15, s13, 0
	s_cselect_b32 s14, s12, 0x10000
	v_add_co_ci_u32_e64 v2, null, s7, 0, s5
	v_add_co_u32 v3, s5, s8, v9
	s_wait_alu 0xf1ff
	v_add_co_ci_u32_e64 v4, null, s9, 0, s5
	s_wait_kmcnt 0x0
	s_and_b32 s2, s2, 0xffff
	s_and_b32 s3, s4, exec_lo
	s_cselect_b32 s17, s13, 0
	s_cselect_b32 s16, s12, 0x10000
	s_mul_i32 s4, s2, 3
	s_lshl_b32 s18, s2, 2
	v_mad_co_u64_u32 v[7:8], null, s2, 6, v[9:10]
	v_add_co_u32 v14, s5, s18, v9
	s_wait_alu 0xfffe
	v_add_co_u32 v9, s4, s4, v0
	s_wait_alu 0xf1ff
	v_add_co_ci_u32_e64 v10, null, 0, 0, s4
	v_add_co_u32 v13, s4, v0, s2
	s_lshl_b32 s3, s2, 1
	v_add_co_u32 v5, vcc_lo, s6, v7
	v_lshlrev_b32_e32 v21, 1, v13
	v_add_co_ci_u32_e64 v15, null, 0, 0, s5
	v_add_co_ci_u32_e64 v6, null, s7, v8, vcc_lo
	v_add_co_u32 v7, vcc_lo, s8, v7
	s_wait_alu 0xfffe
	v_add_co_u32 v17, s3, s3, v0
	s_wait_alu 0xfffd
	v_add_co_ci_u32_e64 v8, null, s9, v8, vcc_lo
	v_add_co_u32 v11, vcc_lo, s6, v14
	s_wait_alu 0xf1ff
	v_add_co_ci_u32_e64 v18, null, 0, 0, s3
	v_add_co_u32 v19, s3, s6, v21
	s_wait_alu 0xfffd
	v_add_co_ci_u32_e64 v12, null, s7, v15, vcc_lo
	v_add_co_u32 v14, vcc_lo, s8, v14
	s_wait_alu 0xf1ff
	v_add_co_ci_u32_e64 v20, null, s7, 0, s3
	v_add_co_u32 v21, s3, s8, v21
	s_wait_alu 0xfffd
	v_add_co_ci_u32_e64 v15, null, s9, v15, vcc_lo
	v_add_co_ci_u32_e64 v16, null, 0, 0, s4
	s_wait_alu 0xf1ff
	v_add_co_ci_u32_e64 v22, null, s9, 0, s3
	s_lshl_b32 s23, s2, 3
	s_branch .LBB22_4
.LBB22_3:                               ;   in Loop: Header=BB22_4 Depth=1
	s_wait_alu 0xfffe
	s_or_b32 exec_lo, exec_lo, s2
	v_add_co_u32 v1, vcc_lo, v1, s23
	s_wait_alu 0xfffd
	v_add_co_ci_u32_e64 v2, null, 0, v2, vcc_lo
	v_add_co_u32 v3, vcc_lo, v3, s23
	s_wait_alu 0xfffd
	v_add_co_ci_u32_e64 v4, null, 0, v4, vcc_lo
	;; [unrolled: 3-line block ×5, first 2 shown]
	v_add_co_u32 v14, vcc_lo, v14, s23
	s_add_nc_u64 s[20:21], s[20:21], s[18:19]
	s_wait_alu 0xfffd
	v_add_co_ci_u32_e64 v15, null, 0, v15, vcc_lo
	v_add_co_u32 v19, vcc_lo, v19, s23
	s_wait_alu 0xfffe
	v_cmp_lt_i64_e64 s2, s[20:21], s[14:15]
	s_wait_alu 0xfffd
	v_add_co_ci_u32_e64 v20, null, 0, v20, vcc_lo
	v_add_co_u32 v21, vcc_lo, v21, s23
	s_wait_alu 0xfffd
	v_add_co_ci_u32_e64 v22, null, 0, v22, vcc_lo
	s_and_b32 vcc_lo, exec_lo, s2
	s_wait_alu 0xfffe
	s_cbranch_vccz .LBB22_20
.LBB22_4:                               ; =>This Inner Loop Header: Depth=1
	v_add_co_u32 v23, s2, v0, s20
	s_wait_alu 0xf1ff
	v_add_co_ci_u32_e64 v24, null, 0, s21, s2
	s_delay_alu instid0(VALU_DEP_1)
	v_cmp_gt_u64_e32 vcc_lo, s[16:17], v[23:24]
	v_mov_b32_e32 v24, 0
	s_and_saveexec_b32 s3, vcc_lo
	s_cbranch_execz .LBB22_6
; %bb.5:                                ;   in Loop: Header=BB22_4 Depth=1
	v_add_co_u32 v23, s2, v1, s10
	s_wait_alu 0xf1ff
	v_add_co_ci_u32_e64 v24, null, s11, v2, s2
	global_load_u16 v23, v[23:24], off
	s_wait_loadcnt 0x0
	v_cvt_f32_f16_e32 v24, v23
.LBB22_6:                               ;   in Loop: Header=BB22_4 Depth=1
	s_wait_alu 0xfffe
	s_or_b32 exec_lo, exec_lo, s3
	v_add_co_u32 v25, s2, v13, s20
	s_wait_alu 0xf1ff
	v_add_co_ci_u32_e64 v26, null, s21, v16, s2
	v_mov_b32_e32 v23, 0
	s_delay_alu instid0(VALU_DEP_2)
	v_cmp_gt_u64_e64 s2, s[16:17], v[25:26]
	v_mov_b32_e32 v25, 0
	s_and_saveexec_b32 s4, s2
	s_cbranch_execz .LBB22_8
; %bb.7:                                ;   in Loop: Header=BB22_4 Depth=1
	v_add_co_u32 v25, s3, v19, s10
	s_wait_alu 0xf1ff
	v_add_co_ci_u32_e64 v26, null, s11, v20, s3
	global_load_u16 v25, v[25:26], off
	s_wait_loadcnt 0x0
	v_cvt_f32_f16_e32 v25, v25
.LBB22_8:                               ;   in Loop: Header=BB22_4 Depth=1
	s_wait_alu 0xfffe
	s_or_b32 exec_lo, exec_lo, s4
	v_add_co_u32 v26, s3, v17, s20
	s_wait_alu 0xf1ff
	v_add_co_ci_u32_e64 v27, null, s21, v18, s3
	s_delay_alu instid0(VALU_DEP_1)
	v_cmp_gt_u64_e64 s3, s[16:17], v[26:27]
	s_and_saveexec_b32 s5, s3
	s_cbranch_execz .LBB22_10
; %bb.9:                                ;   in Loop: Header=BB22_4 Depth=1
	v_add_co_u32 v26, s4, v11, s10
	s_wait_alu 0xf1ff
	v_add_co_ci_u32_e64 v27, null, s11, v12, s4
	global_load_u16 v23, v[26:27], off
	s_wait_loadcnt 0x0
	v_cvt_f32_f16_e32 v23, v23
.LBB22_10:                              ;   in Loop: Header=BB22_4 Depth=1
	s_wait_alu 0xfffe
	s_or_b32 exec_lo, exec_lo, s5
	v_add_co_u32 v26, s4, v9, s20
	s_wait_alu 0xf1ff
	v_add_co_ci_u32_e64 v27, null, s21, v10, s4
	s_delay_alu instid0(VALU_DEP_1)
	v_cmp_gt_u64_e64 s4, s[16:17], v[26:27]
	v_mov_b32_e32 v26, 0
	s_and_saveexec_b32 s24, s4
	s_cbranch_execnz .LBB22_15
; %bb.11:                               ;   in Loop: Header=BB22_4 Depth=1
	s_or_b32 exec_lo, exec_lo, s24
	s_and_saveexec_b32 s5, vcc_lo
	s_cbranch_execnz .LBB22_16
.LBB22_12:                              ;   in Loop: Header=BB22_4 Depth=1
	s_wait_alu 0xfffe
	s_or_b32 exec_lo, exec_lo, s5
	s_and_saveexec_b32 s5, s2
	s_cbranch_execnz .LBB22_17
.LBB22_13:                              ;   in Loop: Header=BB22_4 Depth=1
	s_wait_alu 0xfffe
	s_or_b32 exec_lo, exec_lo, s5
	s_and_saveexec_b32 s2, s3
	s_cbranch_execnz .LBB22_18
.LBB22_14:                              ;   in Loop: Header=BB22_4 Depth=1
	s_wait_alu 0xfffe
	s_or_b32 exec_lo, exec_lo, s2
	s_and_saveexec_b32 s2, s4
	s_cbranch_execz .LBB22_3
	s_branch .LBB22_19
.LBB22_15:                              ;   in Loop: Header=BB22_4 Depth=1
	v_add_co_u32 v26, s5, v5, s10
	s_wait_alu 0xf1ff
	v_add_co_ci_u32_e64 v27, null, s11, v6, s5
	global_load_u16 v26, v[26:27], off
	s_wait_loadcnt 0x0
	v_cvt_f32_f16_e32 v26, v26
	s_or_b32 exec_lo, exec_lo, s24
	s_and_saveexec_b32 s5, vcc_lo
	s_cbranch_execz .LBB22_12
.LBB22_16:                              ;   in Loop: Header=BB22_4 Depth=1
	v_add_f32_e32 v24, s22, v24
	v_add_co_u32 v27, vcc_lo, v3, s10
	s_wait_alu 0xfffd
	v_add_co_ci_u32_e64 v28, null, s11, v4, vcc_lo
	s_delay_alu instid0(VALU_DEP_3)
	v_cvt_f16_f32_e32 v24, v24
	global_store_b16 v[27:28], v24, off
	s_wait_alu 0xfffe
	s_or_b32 exec_lo, exec_lo, s5
	s_and_saveexec_b32 s5, s2
	s_cbranch_execz .LBB22_13
.LBB22_17:                              ;   in Loop: Header=BB22_4 Depth=1
	v_add_f32_e32 v24, s22, v25
	s_delay_alu instid0(VALU_DEP_1)
	v_cvt_f16_f32_e32 v27, v24
	v_add_co_u32 v24, vcc_lo, v21, s10
	s_wait_alu 0xfffd
	v_add_co_ci_u32_e64 v25, null, s11, v22, vcc_lo
	global_store_b16 v[24:25], v27, off
	s_wait_alu 0xfffe
	s_or_b32 exec_lo, exec_lo, s5
	s_and_saveexec_b32 s2, s3
	s_cbranch_execz .LBB22_14
.LBB22_18:                              ;   in Loop: Header=BB22_4 Depth=1
	v_add_f32_e32 v23, s22, v23
	s_delay_alu instid0(VALU_DEP_1)
	v_cvt_f16_f32_e32 v25, v23
	v_add_co_u32 v23, vcc_lo, v14, s10
	s_wait_alu 0xfffd
	v_add_co_ci_u32_e64 v24, null, s11, v15, vcc_lo
	global_store_b16 v[23:24], v25, off
	s_wait_alu 0xfffe
	s_or_b32 exec_lo, exec_lo, s2
	s_and_saveexec_b32 s2, s4
	s_cbranch_execz .LBB22_3
.LBB22_19:                              ;   in Loop: Header=BB22_4 Depth=1
	v_add_f32_e32 v23, s22, v26
	s_delay_alu instid0(VALU_DEP_1)
	v_cvt_f16_f32_e32 v25, v23
	v_add_co_u32 v23, vcc_lo, v7, s10
	s_wait_alu 0xfffd
	v_add_co_ci_u32_e64 v24, null, s11, v8, vcc_lo
	global_store_b16 v[23:24], v25, off
	s_branch .LBB22_3
.LBB22_20:
	s_mov_b32 s2, 0
.LBB22_21:
	s_wait_alu 0xfffe
	s_and_not1_b32 vcc_lo, exec_lo, s2
	s_wait_alu 0xfffe
	s_cbranch_vccnz .LBB22_25
; %bb.22:
	v_cmp_gt_i64_e64 s2, 0x10000, s[12:13]
	v_dual_mov_b32 v2, 0 :: v_dual_lshlrev_b32 v1, 2, v0
	s_mov_b32 s4, 0
	s_mov_b32 s5, exec_lo
	s_and_b32 s2, s2, exec_lo
	s_cselect_b32 s3, s13, 0
	s_cselect_b32 s2, s12, 0x10000
	s_wait_alu 0xfffe
	v_cmpx_gt_i64_e64 s[2:3], v[1:2]
	s_cbranch_execz .LBB22_25
; %bb.23:
	s_load_b32 s0, s[0:1], 0xc5c
	v_lshlrev_b32_e32 v3, 3, v0
	v_mov_b32_e32 v1, v2
	s_mov_b32 s5, s22
	s_delay_alu instid0(VALU_DEP_2) | instskip(NEXT) | instid1(VALU_DEP_1)
	v_add_co_u32 v2, s1, s10, v3
	v_add_co_ci_u32_e64 v3, null, s11, 0, s1
	s_wait_kmcnt 0x0
	s_and_b32 s1, s0, 0xffff
	s_wait_alu 0xfffe
	s_lshl_b32 s10, s1, 3
.LBB22_24:                              ; =>This Inner Loop Header: Depth=1
	v_add_co_u32 v4, vcc_lo, s6, v2
	s_wait_alu 0xfffd
	v_add_co_ci_u32_e64 v5, null, s7, v3, vcc_lo
	v_add_co_u32 v0, vcc_lo, v0, s1
	s_wait_alu 0xfffd
	v_add_co_ci_u32_e64 v1, null, 0, v1, vcc_lo
	global_load_b64 v[4:5], v[4:5], off
	v_add_co_u32 v6, vcc_lo, s8, v2
	v_lshlrev_b64_e32 v[8:9], 2, v[0:1]
	s_wait_alu 0xfffd
	v_add_co_ci_u32_e64 v7, null, s9, v3, vcc_lo
	s_wait_alu 0xfffe
	v_add_co_u32 v2, vcc_lo, v2, s10
	s_wait_alu 0xfffd
	v_add_co_ci_u32_e64 v3, null, 0, v3, vcc_lo
	v_cmp_le_i64_e64 s0, s[2:3], v[8:9]
	s_or_b32 s4, s0, s4
	s_wait_loadcnt 0x0
	v_lshrrev_b32_e32 v10, 16, v5
	v_lshrrev_b32_e32 v11, 16, v4
	v_cvt_f32_f16_e32 v4, v4
	v_cvt_f32_f16_e32 v5, v5
	s_delay_alu instid0(VALU_DEP_4) | instskip(NEXT) | instid1(VALU_DEP_4)
	v_cvt_f32_f16_e32 v10, v10
	v_cvt_f32_f16_e32 v11, v11
	s_delay_alu instid0(VALU_DEP_3) | instskip(NEXT) | instid1(VALU_DEP_2)
	v_dual_add_f32 v4, s22, v4 :: v_dual_add_f32 v5, s5, v5
	v_dual_add_f32 v10, s22, v10 :: v_dual_add_f32 v11, s22, v11
	s_delay_alu instid0(VALU_DEP_2) | instskip(NEXT) | instid1(VALU_DEP_3)
	v_cvt_f16_f32_e32 v4, v4
	v_cvt_f16_f32_e32 v5, v5
	s_delay_alu instid0(VALU_DEP_3) | instskip(NEXT) | instid1(VALU_DEP_4)
	v_cvt_f16_f32_e32 v10, v10
	v_cvt_f16_f32_e32 v11, v11
	s_delay_alu instid0(VALU_DEP_2) | instskip(NEXT) | instid1(VALU_DEP_2)
	v_pack_b32_f16 v5, v5, v10
	v_pack_b32_f16 v4, v4, v11
	global_store_b64 v[6:7], v[4:5], off
	s_wait_alu 0xfffe
	s_and_not1_b32 exec_lo, exec_lo, s4
	s_cbranch_execnz .LBB22_24
.LBB22_25:
	s_endpgm
	.section	.rodata,"a",@progbits
	.p2align	6, 0x0
	.amdhsa_kernel _ZN2at6native12_GLOBAL__N_125multi_tensor_apply_kernelINS1_18TensorListMetadataILi2EEENS1_21BinaryOpScalarFunctorIN3c104HalfELi2ELi1ELi1EEEJSt4plusIfEfEEEvT_T0_DpT1_
		.amdhsa_group_segment_fixed_size 0
		.amdhsa_private_segment_fixed_size 0
		.amdhsa_kernarg_size 3408
		.amdhsa_user_sgpr_count 2
		.amdhsa_user_sgpr_dispatch_ptr 0
		.amdhsa_user_sgpr_queue_ptr 0
		.amdhsa_user_sgpr_kernarg_segment_ptr 1
		.amdhsa_user_sgpr_dispatch_id 0
		.amdhsa_user_sgpr_private_segment_size 0
		.amdhsa_wavefront_size32 1
		.amdhsa_uses_dynamic_stack 0
		.amdhsa_enable_private_segment 0
		.amdhsa_system_sgpr_workgroup_id_x 1
		.amdhsa_system_sgpr_workgroup_id_y 0
		.amdhsa_system_sgpr_workgroup_id_z 0
		.amdhsa_system_sgpr_workgroup_info 0
		.amdhsa_system_vgpr_workitem_id 0
		.amdhsa_next_free_vgpr 29
		.amdhsa_next_free_sgpr 25
		.amdhsa_reserve_vcc 1
		.amdhsa_float_round_mode_32 0
		.amdhsa_float_round_mode_16_64 0
		.amdhsa_float_denorm_mode_32 3
		.amdhsa_float_denorm_mode_16_64 3
		.amdhsa_fp16_overflow 0
		.amdhsa_workgroup_processor_mode 1
		.amdhsa_memory_ordered 1
		.amdhsa_forward_progress 1
		.amdhsa_inst_pref_size 14
		.amdhsa_round_robin_scheduling 0
		.amdhsa_exception_fp_ieee_invalid_op 0
		.amdhsa_exception_fp_denorm_src 0
		.amdhsa_exception_fp_ieee_div_zero 0
		.amdhsa_exception_fp_ieee_overflow 0
		.amdhsa_exception_fp_ieee_underflow 0
		.amdhsa_exception_fp_ieee_inexact 0
		.amdhsa_exception_int_div_zero 0
	.end_amdhsa_kernel
	.section	.text._ZN2at6native12_GLOBAL__N_125multi_tensor_apply_kernelINS1_18TensorListMetadataILi2EEENS1_21BinaryOpScalarFunctorIN3c104HalfELi2ELi1ELi1EEEJSt4plusIfEfEEEvT_T0_DpT1_,"axG",@progbits,_ZN2at6native12_GLOBAL__N_125multi_tensor_apply_kernelINS1_18TensorListMetadataILi2EEENS1_21BinaryOpScalarFunctorIN3c104HalfELi2ELi1ELi1EEEJSt4plusIfEfEEEvT_T0_DpT1_,comdat
.Lfunc_end22:
	.size	_ZN2at6native12_GLOBAL__N_125multi_tensor_apply_kernelINS1_18TensorListMetadataILi2EEENS1_21BinaryOpScalarFunctorIN3c104HalfELi2ELi1ELi1EEEJSt4plusIfEfEEEvT_T0_DpT1_, .Lfunc_end22-_ZN2at6native12_GLOBAL__N_125multi_tensor_apply_kernelINS1_18TensorListMetadataILi2EEENS1_21BinaryOpScalarFunctorIN3c104HalfELi2ELi1ELi1EEEJSt4plusIfEfEEEvT_T0_DpT1_
                                        ; -- End function
	.set _ZN2at6native12_GLOBAL__N_125multi_tensor_apply_kernelINS1_18TensorListMetadataILi2EEENS1_21BinaryOpScalarFunctorIN3c104HalfELi2ELi1ELi1EEEJSt4plusIfEfEEEvT_T0_DpT1_.num_vgpr, 29
	.set _ZN2at6native12_GLOBAL__N_125multi_tensor_apply_kernelINS1_18TensorListMetadataILi2EEENS1_21BinaryOpScalarFunctorIN3c104HalfELi2ELi1ELi1EEEJSt4plusIfEfEEEvT_T0_DpT1_.num_agpr, 0
	.set _ZN2at6native12_GLOBAL__N_125multi_tensor_apply_kernelINS1_18TensorListMetadataILi2EEENS1_21BinaryOpScalarFunctorIN3c104HalfELi2ELi1ELi1EEEJSt4plusIfEfEEEvT_T0_DpT1_.numbered_sgpr, 25
	.set _ZN2at6native12_GLOBAL__N_125multi_tensor_apply_kernelINS1_18TensorListMetadataILi2EEENS1_21BinaryOpScalarFunctorIN3c104HalfELi2ELi1ELi1EEEJSt4plusIfEfEEEvT_T0_DpT1_.num_named_barrier, 0
	.set _ZN2at6native12_GLOBAL__N_125multi_tensor_apply_kernelINS1_18TensorListMetadataILi2EEENS1_21BinaryOpScalarFunctorIN3c104HalfELi2ELi1ELi1EEEJSt4plusIfEfEEEvT_T0_DpT1_.private_seg_size, 0
	.set _ZN2at6native12_GLOBAL__N_125multi_tensor_apply_kernelINS1_18TensorListMetadataILi2EEENS1_21BinaryOpScalarFunctorIN3c104HalfELi2ELi1ELi1EEEJSt4plusIfEfEEEvT_T0_DpT1_.uses_vcc, 1
	.set _ZN2at6native12_GLOBAL__N_125multi_tensor_apply_kernelINS1_18TensorListMetadataILi2EEENS1_21BinaryOpScalarFunctorIN3c104HalfELi2ELi1ELi1EEEJSt4plusIfEfEEEvT_T0_DpT1_.uses_flat_scratch, 0
	.set _ZN2at6native12_GLOBAL__N_125multi_tensor_apply_kernelINS1_18TensorListMetadataILi2EEENS1_21BinaryOpScalarFunctorIN3c104HalfELi2ELi1ELi1EEEJSt4plusIfEfEEEvT_T0_DpT1_.has_dyn_sized_stack, 0
	.set _ZN2at6native12_GLOBAL__N_125multi_tensor_apply_kernelINS1_18TensorListMetadataILi2EEENS1_21BinaryOpScalarFunctorIN3c104HalfELi2ELi1ELi1EEEJSt4plusIfEfEEEvT_T0_DpT1_.has_recursion, 0
	.set _ZN2at6native12_GLOBAL__N_125multi_tensor_apply_kernelINS1_18TensorListMetadataILi2EEENS1_21BinaryOpScalarFunctorIN3c104HalfELi2ELi1ELi1EEEJSt4plusIfEfEEEvT_T0_DpT1_.has_indirect_call, 0
	.section	.AMDGPU.csdata,"",@progbits
; Kernel info:
; codeLenInByte = 1760
; TotalNumSgprs: 27
; NumVgprs: 29
; ScratchSize: 0
; MemoryBound: 0
; FloatMode: 240
; IeeeMode: 1
; LDSByteSize: 0 bytes/workgroup (compile time only)
; SGPRBlocks: 0
; VGPRBlocks: 3
; NumSGPRsForWavesPerEU: 27
; NumVGPRsForWavesPerEU: 29
; Occupancy: 16
; WaveLimiterHint : 0
; COMPUTE_PGM_RSRC2:SCRATCH_EN: 0
; COMPUTE_PGM_RSRC2:USER_SGPR: 2
; COMPUTE_PGM_RSRC2:TRAP_HANDLER: 0
; COMPUTE_PGM_RSRC2:TGID_X_EN: 1
; COMPUTE_PGM_RSRC2:TGID_Y_EN: 0
; COMPUTE_PGM_RSRC2:TGID_Z_EN: 0
; COMPUTE_PGM_RSRC2:TIDIG_COMP_CNT: 0
	.section	.text._ZN2at6native12_GLOBAL__N_125multi_tensor_apply_kernelINS1_18TensorListMetadataILi2EEENS1_21BinaryOpScalarFunctorIN3c108BFloat16ELi2ELi1ELi1EEEJSt4plusIfEfEEEvT_T0_DpT1_,"axG",@progbits,_ZN2at6native12_GLOBAL__N_125multi_tensor_apply_kernelINS1_18TensorListMetadataILi2EEENS1_21BinaryOpScalarFunctorIN3c108BFloat16ELi2ELi1ELi1EEEJSt4plusIfEfEEEvT_T0_DpT1_,comdat
	.globl	_ZN2at6native12_GLOBAL__N_125multi_tensor_apply_kernelINS1_18TensorListMetadataILi2EEENS1_21BinaryOpScalarFunctorIN3c108BFloat16ELi2ELi1ELi1EEEJSt4plusIfEfEEEvT_T0_DpT1_ ; -- Begin function _ZN2at6native12_GLOBAL__N_125multi_tensor_apply_kernelINS1_18TensorListMetadataILi2EEENS1_21BinaryOpScalarFunctorIN3c108BFloat16ELi2ELi1ELi1EEEJSt4plusIfEfEEEvT_T0_DpT1_
	.p2align	8
	.type	_ZN2at6native12_GLOBAL__N_125multi_tensor_apply_kernelINS1_18TensorListMetadataILi2EEENS1_21BinaryOpScalarFunctorIN3c108BFloat16ELi2ELi1ELi1EEEJSt4plusIfEfEEEvT_T0_DpT1_,@function
_ZN2at6native12_GLOBAL__N_125multi_tensor_apply_kernelINS1_18TensorListMetadataILi2EEENS1_21BinaryOpScalarFunctorIN3c108BFloat16ELi2ELi1ELi1EEEJSt4plusIfEfEEEvT_T0_DpT1_: ; @_ZN2at6native12_GLOBAL__N_125multi_tensor_apply_kernelINS1_18TensorListMetadataILi2EEENS1_21BinaryOpScalarFunctorIN3c108BFloat16ELi2ELi1ELi1EEEJSt4plusIfEfEEEvT_T0_DpT1_
; %bb.0:
	s_load_u8 s8, s[0:1], ttmp9 offset:0x600
	s_mov_b32 s2, ttmp9
	s_mov_b32 s3, 0
	s_delay_alu instid0(SALU_CYCLE_1)
	s_mul_u64 s[4:5], s[2:3], 3
	s_add_nc_u64 s[6:7], s[0:1], s[2:3]
	s_mov_b32 s15, s3
	s_add_nc_u64 s[4:5], s[6:7], s[4:5]
	s_mov_b32 s17, s3
	s_load_b32 s4, s[4:5], 0x740
	s_wait_kmcnt 0x0
	s_lshl_b32 s2, s8, 3
	s_clause 0x3
	s_load_b64 s[6:7], s[0:1], s2 offset:0x0
	s_load_b64 s[8:9], s[0:1], s2 offset:0x200
	;; [unrolled: 1-line block ×3, first 2 shown]
	s_load_b32 s22, s[0:1], 0xc4c
	s_ashr_i32 s5, s4, 31
	s_delay_alu instid0(SALU_CYCLE_1)
	s_lshl_b64 s[10:11], s[4:5], 17
	s_lshl_b64 s[4:5], s[4:5], 16
	s_wait_kmcnt 0x0
	s_add_nc_u64 s[18:19], s[6:7], s[10:11]
	s_and_b32 s14, s8, 7
	s_and_b32 s16, s12, 3
	;; [unrolled: 1-line block ×3, first 2 shown]
	s_or_b64 s[14:15], s[14:15], s[16:17]
	s_sub_nc_u64 s[12:13], s[12:13], s[4:5]
	s_or_b64 s[2:3], s[14:15], s[2:3]
	s_delay_alu instid0(SALU_CYCLE_1)
	s_cmp_eq_u64 s[2:3], 0
	s_mov_b32 s2, -1
	s_cbranch_scc1 .LBB23_21
; %bb.1:
	v_cmp_lt_i64_e64 s2, s[12:13], 1
	s_and_b32 vcc_lo, exec_lo, s2
	s_cbranch_vccnz .LBB23_20
; %bb.2:
	s_load_b32 s2, s[0:1], 0xc5c
	v_cmp_gt_i64_e64 s3, 0x10000, s[12:13]
	v_dual_mov_b32 v10, 0 :: v_dual_lshlrev_b32 v9, 1, v0
	v_cmp_gt_u64_e64 s4, 0x10000, s[12:13]
	s_mov_b32 s19, 0
	s_mov_b64 s[20:21], 0
	s_and_b32 s3, s3, exec_lo
	v_add_co_u32 v1, s5, s6, v9
	s_cselect_b32 s15, s13, 0
	s_cselect_b32 s14, s12, 0x10000
	v_add_co_ci_u32_e64 v2, null, s7, 0, s5
	v_add_co_u32 v3, s5, s8, v9
	s_wait_alu 0xf1ff
	v_add_co_ci_u32_e64 v4, null, s9, 0, s5
	s_wait_kmcnt 0x0
	s_and_b32 s2, s2, 0xffff
	s_and_b32 s3, s4, exec_lo
	s_cselect_b32 s17, s13, 0
	s_cselect_b32 s16, s12, 0x10000
	s_mul_i32 s4, s2, 3
	s_lshl_b32 s18, s2, 2
	v_mad_co_u64_u32 v[7:8], null, s2, 6, v[9:10]
	v_add_co_u32 v14, s5, s18, v9
	s_wait_alu 0xfffe
	v_add_co_u32 v9, s4, s4, v0
	s_wait_alu 0xf1ff
	v_add_co_ci_u32_e64 v10, null, 0, 0, s4
	v_add_co_u32 v13, s4, v0, s2
	s_lshl_b32 s3, s2, 1
	v_add_co_u32 v5, vcc_lo, s6, v7
	v_lshlrev_b32_e32 v21, 1, v13
	v_add_co_ci_u32_e64 v15, null, 0, 0, s5
	v_add_co_ci_u32_e64 v6, null, s7, v8, vcc_lo
	v_add_co_u32 v7, vcc_lo, s8, v7
	s_wait_alu 0xfffe
	v_add_co_u32 v17, s3, s3, v0
	s_wait_alu 0xfffd
	v_add_co_ci_u32_e64 v8, null, s9, v8, vcc_lo
	v_add_co_u32 v11, vcc_lo, s6, v14
	s_wait_alu 0xf1ff
	v_add_co_ci_u32_e64 v18, null, 0, 0, s3
	v_add_co_u32 v19, s3, s6, v21
	s_wait_alu 0xfffd
	v_add_co_ci_u32_e64 v12, null, s7, v15, vcc_lo
	v_add_co_u32 v14, vcc_lo, s8, v14
	s_wait_alu 0xf1ff
	v_add_co_ci_u32_e64 v20, null, s7, 0, s3
	v_add_co_u32 v21, s3, s8, v21
	s_wait_alu 0xfffd
	v_add_co_ci_u32_e64 v15, null, s9, v15, vcc_lo
	v_add_co_ci_u32_e64 v16, null, 0, 0, s4
	s_wait_alu 0xf1ff
	v_add_co_ci_u32_e64 v22, null, s9, 0, s3
	s_lshl_b32 s23, s2, 3
	s_branch .LBB23_4
.LBB23_3:                               ;   in Loop: Header=BB23_4 Depth=1
	s_wait_alu 0xfffe
	s_or_b32 exec_lo, exec_lo, s2
	v_add_co_u32 v1, vcc_lo, v1, s23
	s_wait_alu 0xfffd
	v_add_co_ci_u32_e64 v2, null, 0, v2, vcc_lo
	v_add_co_u32 v3, vcc_lo, v3, s23
	s_wait_alu 0xfffd
	v_add_co_ci_u32_e64 v4, null, 0, v4, vcc_lo
	;; [unrolled: 3-line block ×5, first 2 shown]
	v_add_co_u32 v14, vcc_lo, v14, s23
	s_add_nc_u64 s[20:21], s[20:21], s[18:19]
	s_wait_alu 0xfffd
	v_add_co_ci_u32_e64 v15, null, 0, v15, vcc_lo
	v_add_co_u32 v19, vcc_lo, v19, s23
	s_wait_alu 0xfffe
	v_cmp_lt_i64_e64 s2, s[20:21], s[14:15]
	s_wait_alu 0xfffd
	v_add_co_ci_u32_e64 v20, null, 0, v20, vcc_lo
	v_add_co_u32 v21, vcc_lo, v21, s23
	s_wait_alu 0xfffd
	v_add_co_ci_u32_e64 v22, null, 0, v22, vcc_lo
	s_and_b32 vcc_lo, exec_lo, s2
	s_wait_alu 0xfffe
	s_cbranch_vccz .LBB23_20
.LBB23_4:                               ; =>This Inner Loop Header: Depth=1
	v_add_co_u32 v23, s2, v0, s20
	s_wait_alu 0xf1ff
	v_add_co_ci_u32_e64 v24, null, 0, s21, s2
	s_delay_alu instid0(VALU_DEP_1)
	v_cmp_gt_u64_e32 vcc_lo, s[16:17], v[23:24]
	v_mov_b32_e32 v24, 0
	s_and_saveexec_b32 s3, vcc_lo
	s_cbranch_execz .LBB23_6
; %bb.5:                                ;   in Loop: Header=BB23_4 Depth=1
	v_add_co_u32 v23, s2, v1, s10
	s_wait_alu 0xf1ff
	v_add_co_ci_u32_e64 v24, null, s11, v2, s2
	global_load_u16 v23, v[23:24], off
	s_wait_loadcnt 0x0
	v_lshlrev_b32_e32 v24, 16, v23
.LBB23_6:                               ;   in Loop: Header=BB23_4 Depth=1
	s_wait_alu 0xfffe
	s_or_b32 exec_lo, exec_lo, s3
	v_add_co_u32 v25, s2, v13, s20
	s_wait_alu 0xf1ff
	v_add_co_ci_u32_e64 v26, null, s21, v16, s2
	v_mov_b32_e32 v23, 0
	s_delay_alu instid0(VALU_DEP_2)
	v_cmp_gt_u64_e64 s2, s[16:17], v[25:26]
	v_mov_b32_e32 v25, 0
	s_and_saveexec_b32 s4, s2
	s_cbranch_execz .LBB23_8
; %bb.7:                                ;   in Loop: Header=BB23_4 Depth=1
	v_add_co_u32 v25, s3, v19, s10
	s_wait_alu 0xf1ff
	v_add_co_ci_u32_e64 v26, null, s11, v20, s3
	global_load_u16 v25, v[25:26], off
	s_wait_loadcnt 0x0
	v_lshlrev_b32_e32 v25, 16, v25
.LBB23_8:                               ;   in Loop: Header=BB23_4 Depth=1
	s_wait_alu 0xfffe
	s_or_b32 exec_lo, exec_lo, s4
	v_add_co_u32 v26, s3, v17, s20
	s_wait_alu 0xf1ff
	v_add_co_ci_u32_e64 v27, null, s21, v18, s3
	s_delay_alu instid0(VALU_DEP_1)
	v_cmp_gt_u64_e64 s3, s[16:17], v[26:27]
	s_and_saveexec_b32 s5, s3
	s_cbranch_execz .LBB23_10
; %bb.9:                                ;   in Loop: Header=BB23_4 Depth=1
	v_add_co_u32 v26, s4, v11, s10
	s_wait_alu 0xf1ff
	v_add_co_ci_u32_e64 v27, null, s11, v12, s4
	global_load_u16 v23, v[26:27], off
	s_wait_loadcnt 0x0
	v_lshlrev_b32_e32 v23, 16, v23
.LBB23_10:                              ;   in Loop: Header=BB23_4 Depth=1
	s_wait_alu 0xfffe
	s_or_b32 exec_lo, exec_lo, s5
	v_add_co_u32 v26, s4, v9, s20
	s_wait_alu 0xf1ff
	v_add_co_ci_u32_e64 v27, null, s21, v10, s4
	s_delay_alu instid0(VALU_DEP_1)
	v_cmp_gt_u64_e64 s4, s[16:17], v[26:27]
	v_mov_b32_e32 v26, 0
	s_and_saveexec_b32 s24, s4
	s_cbranch_execnz .LBB23_15
; %bb.11:                               ;   in Loop: Header=BB23_4 Depth=1
	s_or_b32 exec_lo, exec_lo, s24
	s_and_saveexec_b32 s5, vcc_lo
	s_cbranch_execnz .LBB23_16
.LBB23_12:                              ;   in Loop: Header=BB23_4 Depth=1
	s_wait_alu 0xfffe
	s_or_b32 exec_lo, exec_lo, s5
	s_and_saveexec_b32 s5, s2
	s_cbranch_execnz .LBB23_17
.LBB23_13:                              ;   in Loop: Header=BB23_4 Depth=1
	s_wait_alu 0xfffe
	s_or_b32 exec_lo, exec_lo, s5
	s_and_saveexec_b32 s2, s3
	s_cbranch_execnz .LBB23_18
.LBB23_14:                              ;   in Loop: Header=BB23_4 Depth=1
	s_wait_alu 0xfffe
	s_or_b32 exec_lo, exec_lo, s2
	s_and_saveexec_b32 s2, s4
	s_cbranch_execz .LBB23_3
	s_branch .LBB23_19
.LBB23_15:                              ;   in Loop: Header=BB23_4 Depth=1
	v_add_co_u32 v26, s5, v5, s10
	s_wait_alu 0xf1ff
	v_add_co_ci_u32_e64 v27, null, s11, v6, s5
	global_load_u16 v26, v[26:27], off
	s_wait_loadcnt 0x0
	v_lshlrev_b32_e32 v26, 16, v26
	s_or_b32 exec_lo, exec_lo, s24
	s_and_saveexec_b32 s5, vcc_lo
	s_cbranch_execz .LBB23_12
.LBB23_16:                              ;   in Loop: Header=BB23_4 Depth=1
	v_add_f32_e32 v24, s22, v24
	s_delay_alu instid0(VALU_DEP_1) | instskip(NEXT) | instid1(VALU_DEP_1)
	v_bfe_u32 v27, v24, 16, 1
	v_add3_u32 v27, v24, v27, 0x7fff
	s_delay_alu instid0(VALU_DEP_1)
	v_lshrrev_b32_e32 v29, 16, v27
	v_add_co_u32 v27, vcc_lo, v3, s10
	s_wait_alu 0xfffd
	v_add_co_ci_u32_e64 v28, null, s11, v4, vcc_lo
	v_cmp_o_f32_e32 vcc_lo, v24, v24
	s_wait_alu 0xfffd
	v_cndmask_b32_e32 v24, 0x7fc0, v29, vcc_lo
	global_store_b16 v[27:28], v24, off
	s_wait_alu 0xfffe
	s_or_b32 exec_lo, exec_lo, s5
	s_and_saveexec_b32 s5, s2
	s_cbranch_execz .LBB23_13
.LBB23_17:                              ;   in Loop: Header=BB23_4 Depth=1
	v_add_f32_e32 v24, s22, v25
	s_delay_alu instid0(VALU_DEP_1) | instskip(SKIP_1) | instid1(VALU_DEP_2)
	v_bfe_u32 v25, v24, 16, 1
	v_cmp_o_f32_e32 vcc_lo, v24, v24
	v_add3_u32 v25, v24, v25, 0x7fff
	s_delay_alu instid0(VALU_DEP_1) | instskip(SKIP_1) | instid1(VALU_DEP_1)
	v_lshrrev_b32_e32 v25, 16, v25
	s_wait_alu 0xfffd
	v_cndmask_b32_e32 v27, 0x7fc0, v25, vcc_lo
	v_add_co_u32 v24, vcc_lo, v21, s10
	s_wait_alu 0xfffd
	v_add_co_ci_u32_e64 v25, null, s11, v22, vcc_lo
	global_store_b16 v[24:25], v27, off
	s_wait_alu 0xfffe
	s_or_b32 exec_lo, exec_lo, s5
	s_and_saveexec_b32 s2, s3
	s_cbranch_execz .LBB23_14
.LBB23_18:                              ;   in Loop: Header=BB23_4 Depth=1
	v_add_f32_e32 v23, s22, v23
	s_delay_alu instid0(VALU_DEP_1) | instskip(SKIP_1) | instid1(VALU_DEP_2)
	v_bfe_u32 v24, v23, 16, 1
	v_cmp_o_f32_e32 vcc_lo, v23, v23
	v_add3_u32 v24, v23, v24, 0x7fff
	s_delay_alu instid0(VALU_DEP_1) | instskip(SKIP_1) | instid1(VALU_DEP_1)
	v_lshrrev_b32_e32 v24, 16, v24
	s_wait_alu 0xfffd
	v_cndmask_b32_e32 v25, 0x7fc0, v24, vcc_lo
	v_add_co_u32 v23, vcc_lo, v14, s10
	s_wait_alu 0xfffd
	v_add_co_ci_u32_e64 v24, null, s11, v15, vcc_lo
	global_store_b16 v[23:24], v25, off
	s_wait_alu 0xfffe
	s_or_b32 exec_lo, exec_lo, s2
	s_and_saveexec_b32 s2, s4
	s_cbranch_execz .LBB23_3
.LBB23_19:                              ;   in Loop: Header=BB23_4 Depth=1
	v_add_f32_e32 v23, s22, v26
	s_delay_alu instid0(VALU_DEP_1) | instskip(SKIP_1) | instid1(VALU_DEP_2)
	v_bfe_u32 v24, v23, 16, 1
	v_cmp_o_f32_e32 vcc_lo, v23, v23
	v_add3_u32 v24, v23, v24, 0x7fff
	s_delay_alu instid0(VALU_DEP_1) | instskip(SKIP_1) | instid1(VALU_DEP_1)
	v_lshrrev_b32_e32 v24, 16, v24
	s_wait_alu 0xfffd
	v_cndmask_b32_e32 v25, 0x7fc0, v24, vcc_lo
	v_add_co_u32 v23, vcc_lo, v7, s10
	s_wait_alu 0xfffd
	v_add_co_ci_u32_e64 v24, null, s11, v8, vcc_lo
	global_store_b16 v[23:24], v25, off
	s_branch .LBB23_3
.LBB23_20:
	s_mov_b32 s2, 0
.LBB23_21:
	s_wait_alu 0xfffe
	s_and_not1_b32 vcc_lo, exec_lo, s2
	s_wait_alu 0xfffe
	s_cbranch_vccnz .LBB23_25
; %bb.22:
	v_cmp_gt_i64_e64 s2, 0x10000, s[12:13]
	v_dual_mov_b32 v2, 0 :: v_dual_lshlrev_b32 v1, 2, v0
	s_mov_b32 s4, 0
	s_mov_b32 s5, exec_lo
	s_and_b32 s2, s2, exec_lo
	s_cselect_b32 s3, s13, 0
	s_cselect_b32 s2, s12, 0x10000
	s_wait_alu 0xfffe
	v_cmpx_gt_i64_e64 s[2:3], v[1:2]
	s_cbranch_execz .LBB23_25
; %bb.23:
	s_load_b32 s0, s[0:1], 0xc5c
	v_lshlrev_b32_e32 v3, 3, v0
	v_mov_b32_e32 v1, v2
	s_delay_alu instid0(VALU_DEP_2) | instskip(NEXT) | instid1(VALU_DEP_1)
	v_add_co_u32 v2, s1, s10, v3
	v_add_co_ci_u32_e64 v3, null, s11, 0, s1
	s_wait_kmcnt 0x0
	s_and_b32 s5, s0, 0xffff
	s_wait_alu 0xfffe
	s_lshl_b32 s10, s5, 3
.LBB23_24:                              ; =>This Inner Loop Header: Depth=1
	v_add_co_u32 v4, vcc_lo, s6, v2
	s_wait_alu 0xfffd
	v_add_co_ci_u32_e64 v5, null, s7, v3, vcc_lo
	v_add_co_u32 v0, vcc_lo, v0, s5
	s_wait_alu 0xfffd
	v_add_co_ci_u32_e64 v1, null, 0, v1, vcc_lo
	global_load_b64 v[4:5], v[4:5], off
	v_add_co_u32 v6, vcc_lo, s8, v2
	s_wait_alu 0xfffd
	v_add_co_ci_u32_e64 v7, null, s9, v3, vcc_lo
	v_lshlrev_b64_e32 v[8:9], 2, v[0:1]
	s_wait_loadcnt 0x0
	v_and_b32_e32 v11, 0xffff0000, v4
	v_lshlrev_b32_e32 v10, 16, v4
	v_alignbit_b32 v4, v5, v4, 16
	s_delay_alu instid0(VALU_DEP_2) | instskip(NEXT) | instid1(VALU_DEP_2)
	v_dual_add_f32 v11, s22, v11 :: v_dual_add_f32 v10, s22, v10
	v_and_b32_e32 v4, 0xffff0000, v4
	v_and_b32_e32 v5, 0xffff0000, v5
	s_delay_alu instid0(VALU_DEP_3) | instskip(NEXT) | instid1(VALU_DEP_4)
	v_bfe_u32 v13, v11, 16, 1
	v_bfe_u32 v12, v10, 16, 1
	s_delay_alu instid0(VALU_DEP_3) | instskip(SKIP_1) | instid1(VALU_DEP_4)
	v_dual_add_f32 v4, s22, v4 :: v_dual_add_f32 v5, s22, v5
	v_cmp_o_f32_e64 s0, v11, v11
	v_add3_u32 v13, v11, v13, 0x7fff
	s_delay_alu instid0(VALU_DEP_4) | instskip(NEXT) | instid1(VALU_DEP_4)
	v_add3_u32 v12, v10, v12, 0x7fff
	v_bfe_u32 v15, v4, 16, 1
	v_bfe_u32 v14, v5, 16, 1
	v_cmp_o_f32_e32 vcc_lo, v5, v5
	v_and_b32_e32 v13, 0xffff0000, v13
	v_lshrrev_b32_e32 v12, 16, v12
	v_add3_u32 v15, v4, v15, 0x7fff
	v_add3_u32 v14, v5, v14, 0x7fff
	v_cmp_o_f32_e64 s1, v10, v10
	s_wait_alu 0xf1ff
	v_cndmask_b32_e64 v10, 0x7fc00000, v13, s0
	v_cmp_le_i64_e64 s0, s[2:3], v[8:9]
	v_lshrrev_b32_e32 v5, 16, v15
	v_and_b32_e32 v14, 0xffff0000, v14
	v_cndmask_b32_e64 v11, 0x7fc0, v12, s1
	s_or_b32 s4, s0, s4
	s_wait_alu 0xfffd
	s_delay_alu instid0(VALU_DEP_2)
	v_cndmask_b32_e32 v12, 0x7fc00000, v14, vcc_lo
	v_cmp_o_f32_e32 vcc_lo, v4, v4
	v_or_b32_e32 v10, v11, v10
	s_wait_alu 0xfffd
	v_cndmask_b32_e32 v4, 0x7fc0, v5, vcc_lo
	s_wait_alu 0xfffe
	v_add_co_u32 v2, vcc_lo, v2, s10
	s_wait_alu 0xfffd
	v_add_co_ci_u32_e64 v3, null, 0, v3, vcc_lo
	v_or3_b32 v5, 0, v4, v12
	v_or3_b32 v4, v10, 0, 0
	global_store_b64 v[6:7], v[4:5], off
	s_and_not1_b32 exec_lo, exec_lo, s4
	s_cbranch_execnz .LBB23_24
.LBB23_25:
	s_endpgm
	.section	.rodata,"a",@progbits
	.p2align	6, 0x0
	.amdhsa_kernel _ZN2at6native12_GLOBAL__N_125multi_tensor_apply_kernelINS1_18TensorListMetadataILi2EEENS1_21BinaryOpScalarFunctorIN3c108BFloat16ELi2ELi1ELi1EEEJSt4plusIfEfEEEvT_T0_DpT1_
		.amdhsa_group_segment_fixed_size 0
		.amdhsa_private_segment_fixed_size 0
		.amdhsa_kernarg_size 3408
		.amdhsa_user_sgpr_count 2
		.amdhsa_user_sgpr_dispatch_ptr 0
		.amdhsa_user_sgpr_queue_ptr 0
		.amdhsa_user_sgpr_kernarg_segment_ptr 1
		.amdhsa_user_sgpr_dispatch_id 0
		.amdhsa_user_sgpr_private_segment_size 0
		.amdhsa_wavefront_size32 1
		.amdhsa_uses_dynamic_stack 0
		.amdhsa_enable_private_segment 0
		.amdhsa_system_sgpr_workgroup_id_x 1
		.amdhsa_system_sgpr_workgroup_id_y 0
		.amdhsa_system_sgpr_workgroup_id_z 0
		.amdhsa_system_sgpr_workgroup_info 0
		.amdhsa_system_vgpr_workitem_id 0
		.amdhsa_next_free_vgpr 30
		.amdhsa_next_free_sgpr 25
		.amdhsa_reserve_vcc 1
		.amdhsa_float_round_mode_32 0
		.amdhsa_float_round_mode_16_64 0
		.amdhsa_float_denorm_mode_32 3
		.amdhsa_float_denorm_mode_16_64 3
		.amdhsa_fp16_overflow 0
		.amdhsa_workgroup_processor_mode 1
		.amdhsa_memory_ordered 1
		.amdhsa_forward_progress 1
		.amdhsa_inst_pref_size 17
		.amdhsa_round_robin_scheduling 0
		.amdhsa_exception_fp_ieee_invalid_op 0
		.amdhsa_exception_fp_denorm_src 0
		.amdhsa_exception_fp_ieee_div_zero 0
		.amdhsa_exception_fp_ieee_overflow 0
		.amdhsa_exception_fp_ieee_underflow 0
		.amdhsa_exception_fp_ieee_inexact 0
		.amdhsa_exception_int_div_zero 0
	.end_amdhsa_kernel
	.section	.text._ZN2at6native12_GLOBAL__N_125multi_tensor_apply_kernelINS1_18TensorListMetadataILi2EEENS1_21BinaryOpScalarFunctorIN3c108BFloat16ELi2ELi1ELi1EEEJSt4plusIfEfEEEvT_T0_DpT1_,"axG",@progbits,_ZN2at6native12_GLOBAL__N_125multi_tensor_apply_kernelINS1_18TensorListMetadataILi2EEENS1_21BinaryOpScalarFunctorIN3c108BFloat16ELi2ELi1ELi1EEEJSt4plusIfEfEEEvT_T0_DpT1_,comdat
.Lfunc_end23:
	.size	_ZN2at6native12_GLOBAL__N_125multi_tensor_apply_kernelINS1_18TensorListMetadataILi2EEENS1_21BinaryOpScalarFunctorIN3c108BFloat16ELi2ELi1ELi1EEEJSt4plusIfEfEEEvT_T0_DpT1_, .Lfunc_end23-_ZN2at6native12_GLOBAL__N_125multi_tensor_apply_kernelINS1_18TensorListMetadataILi2EEENS1_21BinaryOpScalarFunctorIN3c108BFloat16ELi2ELi1ELi1EEEJSt4plusIfEfEEEvT_T0_DpT1_
                                        ; -- End function
	.set _ZN2at6native12_GLOBAL__N_125multi_tensor_apply_kernelINS1_18TensorListMetadataILi2EEENS1_21BinaryOpScalarFunctorIN3c108BFloat16ELi2ELi1ELi1EEEJSt4plusIfEfEEEvT_T0_DpT1_.num_vgpr, 30
	.set _ZN2at6native12_GLOBAL__N_125multi_tensor_apply_kernelINS1_18TensorListMetadataILi2EEENS1_21BinaryOpScalarFunctorIN3c108BFloat16ELi2ELi1ELi1EEEJSt4plusIfEfEEEvT_T0_DpT1_.num_agpr, 0
	.set _ZN2at6native12_GLOBAL__N_125multi_tensor_apply_kernelINS1_18TensorListMetadataILi2EEENS1_21BinaryOpScalarFunctorIN3c108BFloat16ELi2ELi1ELi1EEEJSt4plusIfEfEEEvT_T0_DpT1_.numbered_sgpr, 25
	.set _ZN2at6native12_GLOBAL__N_125multi_tensor_apply_kernelINS1_18TensorListMetadataILi2EEENS1_21BinaryOpScalarFunctorIN3c108BFloat16ELi2ELi1ELi1EEEJSt4plusIfEfEEEvT_T0_DpT1_.num_named_barrier, 0
	.set _ZN2at6native12_GLOBAL__N_125multi_tensor_apply_kernelINS1_18TensorListMetadataILi2EEENS1_21BinaryOpScalarFunctorIN3c108BFloat16ELi2ELi1ELi1EEEJSt4plusIfEfEEEvT_T0_DpT1_.private_seg_size, 0
	.set _ZN2at6native12_GLOBAL__N_125multi_tensor_apply_kernelINS1_18TensorListMetadataILi2EEENS1_21BinaryOpScalarFunctorIN3c108BFloat16ELi2ELi1ELi1EEEJSt4plusIfEfEEEvT_T0_DpT1_.uses_vcc, 1
	.set _ZN2at6native12_GLOBAL__N_125multi_tensor_apply_kernelINS1_18TensorListMetadataILi2EEENS1_21BinaryOpScalarFunctorIN3c108BFloat16ELi2ELi1ELi1EEEJSt4plusIfEfEEEvT_T0_DpT1_.uses_flat_scratch, 0
	.set _ZN2at6native12_GLOBAL__N_125multi_tensor_apply_kernelINS1_18TensorListMetadataILi2EEENS1_21BinaryOpScalarFunctorIN3c108BFloat16ELi2ELi1ELi1EEEJSt4plusIfEfEEEvT_T0_DpT1_.has_dyn_sized_stack, 0
	.set _ZN2at6native12_GLOBAL__N_125multi_tensor_apply_kernelINS1_18TensorListMetadataILi2EEENS1_21BinaryOpScalarFunctorIN3c108BFloat16ELi2ELi1ELi1EEEJSt4plusIfEfEEEvT_T0_DpT1_.has_recursion, 0
	.set _ZN2at6native12_GLOBAL__N_125multi_tensor_apply_kernelINS1_18TensorListMetadataILi2EEENS1_21BinaryOpScalarFunctorIN3c108BFloat16ELi2ELi1ELi1EEEJSt4plusIfEfEEEvT_T0_DpT1_.has_indirect_call, 0
	.section	.AMDGPU.csdata,"",@progbits
; Kernel info:
; codeLenInByte = 2092
; TotalNumSgprs: 27
; NumVgprs: 30
; ScratchSize: 0
; MemoryBound: 0
; FloatMode: 240
; IeeeMode: 1
; LDSByteSize: 0 bytes/workgroup (compile time only)
; SGPRBlocks: 0
; VGPRBlocks: 3
; NumSGPRsForWavesPerEU: 27
; NumVGPRsForWavesPerEU: 30
; Occupancy: 16
; WaveLimiterHint : 0
; COMPUTE_PGM_RSRC2:SCRATCH_EN: 0
; COMPUTE_PGM_RSRC2:USER_SGPR: 2
; COMPUTE_PGM_RSRC2:TRAP_HANDLER: 0
; COMPUTE_PGM_RSRC2:TGID_X_EN: 1
; COMPUTE_PGM_RSRC2:TGID_Y_EN: 0
; COMPUTE_PGM_RSRC2:TGID_Z_EN: 0
; COMPUTE_PGM_RSRC2:TIDIG_COMP_CNT: 0
	.section	.text._ZN2at6native12_GLOBAL__N_125multi_tensor_apply_kernelINS1_18TensorListMetadataILi1EEENS1_21BinaryOpScalarFunctorIhLi1ELi1ELi0EEEJSt10multipliesIhEhEEEvT_T0_DpT1_,"axG",@progbits,_ZN2at6native12_GLOBAL__N_125multi_tensor_apply_kernelINS1_18TensorListMetadataILi1EEENS1_21BinaryOpScalarFunctorIhLi1ELi1ELi0EEEJSt10multipliesIhEhEEEvT_T0_DpT1_,comdat
	.globl	_ZN2at6native12_GLOBAL__N_125multi_tensor_apply_kernelINS1_18TensorListMetadataILi1EEENS1_21BinaryOpScalarFunctorIhLi1ELi1ELi0EEEJSt10multipliesIhEhEEEvT_T0_DpT1_ ; -- Begin function _ZN2at6native12_GLOBAL__N_125multi_tensor_apply_kernelINS1_18TensorListMetadataILi1EEENS1_21BinaryOpScalarFunctorIhLi1ELi1ELi0EEEJSt10multipliesIhEhEEEvT_T0_DpT1_
	.p2align	8
	.type	_ZN2at6native12_GLOBAL__N_125multi_tensor_apply_kernelINS1_18TensorListMetadataILi1EEENS1_21BinaryOpScalarFunctorIhLi1ELi1ELi0EEEJSt10multipliesIhEhEEEvT_T0_DpT1_,@function
_ZN2at6native12_GLOBAL__N_125multi_tensor_apply_kernelINS1_18TensorListMetadataILi1EEENS1_21BinaryOpScalarFunctorIhLi1ELi1ELi0EEEJSt10multipliesIhEhEEEvT_T0_DpT1_: ; @_ZN2at6native12_GLOBAL__N_125multi_tensor_apply_kernelINS1_18TensorListMetadataILi1EEENS1_21BinaryOpScalarFunctorIhLi1ELi1ELi0EEEJSt10multipliesIhEhEEEvT_T0_DpT1_
; %bb.0:
	s_load_u8 s6, s[0:1], ttmp9 offset:0x6e0
	s_mov_b32 s2, ttmp9
	s_mov_b32 s3, 0
	s_delay_alu instid0(SALU_CYCLE_1) | instskip(SKIP_1) | instid1(SALU_CYCLE_1)
	s_mul_u64 s[4:5], s[2:3], 3
	s_add_nc_u64 s[2:3], s[0:1], s[2:3]
	s_add_nc_u64 s[2:3], s[2:3], s[4:5]
	s_load_b32 s2, s[2:3], 0x820
	s_wait_kmcnt 0x0
	s_lshl_b32 s3, s6, 3
	s_clause 0x2
	s_load_b64 s[4:5], s[0:1], s3 offset:0x370
	s_load_b64 s[6:7], s[0:1], s3 offset:0x0
	s_load_b32 s20, s[0:1], 0xd28
	s_ashr_i32 s3, s2, 31
	s_wait_kmcnt 0x0
	s_or_b32 s8, s4, s6
	s_delay_alu instid0(SALU_CYCLE_1)
	s_and_b32 s10, s8, 3
	s_lshl_b64 s[8:9], s[2:3], 16
	s_cmp_eq_u32 s10, 0
	s_sub_nc_u64 s[10:11], s[4:5], s[8:9]
	s_cbranch_scc1 .LBB24_21
; %bb.1:
	v_cmp_lt_i64_e64 s2, s[10:11], 1
	s_and_b32 vcc_lo, exec_lo, s2
	s_cbranch_vccnz .LBB24_20
; %bb.2:
	s_load_b32 s2, s[0:1], 0xd3c
	v_cmp_gt_i64_e64 s4, 0x10000, s[10:11]
	s_mov_b32 s3, 0
	v_cmp_gt_u64_e64 s14, 0x10000, s[10:11]
	s_mov_b32 s19, s3
	v_add_co_u32 v11, s5, s8, v0
	s_and_b32 s4, s4, exec_lo
	s_cselect_b32 s13, s11, 0
	s_cselect_b32 s12, s10, 0x10000
	v_add_co_ci_u32_e64 v12, null, s9, 0, s5
	s_mov_b32 s5, s3
	v_add_co_u32 v1, vcc_lo, s6, v11
	s_delay_alu instid0(VALU_DEP_1)
	v_add_co_ci_u32_e64 v2, null, s7, v12, vcc_lo
	s_wait_kmcnt 0x0
	s_and_b32 s2, s2, 0xffff
	s_and_b32 s4, s14, exec_lo
	s_mul_i32 s18, s2, 3
	s_cselect_b32 s15, s11, 0
	s_add_nc_u64 s[22:23], s[8:9], s[18:19]
	s_cselect_b32 s14, s10, 0x10000
	s_add_nc_u64 s[22:23], s[6:7], s[22:23]
	s_lshl_b32 s4, s2, 1
	v_add_co_u32 v3, s17, s22, v0
	s_delay_alu instid0(VALU_DEP_1)
	v_add_co_ci_u32_e64 v4, null, s23, 0, s17
	s_wait_alu 0xfffe
	s_add_nc_u64 s[22:23], s[8:9], s[4:5]
	v_add_co_u32 v5, s5, s18, v0
	s_wait_alu 0xfffe
	s_add_nc_u64 s[18:19], s[6:7], s[22:23]
	v_add_co_ci_u32_e64 v6, null, 0, 0, s5
	s_wait_alu 0xfffe
	v_add_co_u32 v7, s5, s18, v0
	v_add_co_u32 v9, s4, s4, v0
	s_wait_alu 0xf1ff
	v_add_co_ci_u32_e64 v8, null, s19, 0, s5
	v_add_co_ci_u32_e64 v10, null, 0, 0, s4
	s_add_nc_u64 s[4:5], s[6:7], s[2:3]
	s_lshl_b32 s16, s2, 2
	s_wait_alu 0xfffe
	v_add_co_u32 v11, vcc_lo, s4, v11
	v_add_co_u32 v13, s2, v0, s2
	s_wait_alu 0xfffd
	v_add_co_ci_u32_e64 v12, null, s5, v12, vcc_lo
	s_wait_alu 0xf1ff
	v_add_co_ci_u32_e64 v14, null, 0, 0, s2
	s_mov_b32 s17, s3
	s_mov_b64 s[18:19], 0
	s_lshr_b32 s21, s20, 16
	s_branch .LBB24_4
.LBB24_3:                               ;   in Loop: Header=BB24_4 Depth=1
	s_wait_alu 0xfffe
	s_or_b32 exec_lo, exec_lo, s2
	s_add_nc_u64 s[18:19], s[18:19], s[16:17]
	s_wait_alu 0xfffe
	v_cmp_lt_i64_e64 s2, s[18:19], s[12:13]
	s_and_b32 vcc_lo, exec_lo, s2
	s_wait_alu 0xfffe
	s_cbranch_vccz .LBB24_20
.LBB24_4:                               ; =>This Inner Loop Header: Depth=1
	s_wait_loadcnt 0x0
	s_wait_alu 0xfffe
	v_add_co_u32 v15, s2, v0, s18
	s_wait_alu 0xf1ff
	v_add_co_ci_u32_e64 v16, null, 0, s19, s2
	s_delay_alu instid0(VALU_DEP_1)
	v_cmp_gt_u64_e32 vcc_lo, s[14:15], v[15:16]
	v_mov_b32_e32 v16, 0
	s_and_saveexec_b32 s3, vcc_lo
	s_cbranch_execz .LBB24_6
; %bb.5:                                ;   in Loop: Header=BB24_4 Depth=1
	v_add_co_u32 v15, s2, v1, s18
	s_wait_alu 0xf1ff
	v_add_co_ci_u32_e64 v16, null, s19, v2, s2
	global_load_u8 v16, v[15:16], off
.LBB24_6:                               ;   in Loop: Header=BB24_4 Depth=1
	s_wait_alu 0xfffe
	s_or_b32 exec_lo, exec_lo, s3
	v_add_co_u32 v17, s2, v13, s18
	s_wait_alu 0xf1ff
	v_add_co_ci_u32_e64 v18, null, s19, v14, s2
	v_mov_b32_e32 v15, 0
	s_delay_alu instid0(VALU_DEP_2)
	v_cmp_gt_u64_e64 s2, s[14:15], v[17:18]
	v_mov_b32_e32 v17, 0
	s_and_saveexec_b32 s4, s2
	s_cbranch_execz .LBB24_8
; %bb.7:                                ;   in Loop: Header=BB24_4 Depth=1
	v_add_co_u32 v17, s3, v11, s18
	s_wait_alu 0xf1ff
	v_add_co_ci_u32_e64 v18, null, s19, v12, s3
	global_load_u8 v17, v[17:18], off
.LBB24_8:                               ;   in Loop: Header=BB24_4 Depth=1
	s_wait_alu 0xfffe
	s_or_b32 exec_lo, exec_lo, s4
	v_add_co_u32 v18, s3, v9, s18
	s_wait_alu 0xf1ff
	v_add_co_ci_u32_e64 v19, null, s19, v10, s3
	s_delay_alu instid0(VALU_DEP_1)
	v_cmp_gt_u64_e64 s3, s[14:15], v[18:19]
	s_and_saveexec_b32 s5, s3
	s_cbranch_execz .LBB24_10
; %bb.9:                                ;   in Loop: Header=BB24_4 Depth=1
	v_add_co_u32 v18, s4, v7, s18
	s_wait_alu 0xf1ff
	v_add_co_ci_u32_e64 v19, null, s19, v8, s4
	global_load_u8 v15, v[18:19], off
.LBB24_10:                              ;   in Loop: Header=BB24_4 Depth=1
	s_wait_alu 0xfffe
	s_or_b32 exec_lo, exec_lo, s5
	v_add_co_u32 v18, s4, v5, s18
	s_wait_alu 0xf1ff
	v_add_co_ci_u32_e64 v19, null, s19, v6, s4
	s_delay_alu instid0(VALU_DEP_1)
	v_cmp_gt_u64_e64 s4, s[14:15], v[18:19]
	v_mov_b32_e32 v18, 0
	s_and_saveexec_b32 s22, s4
	s_cbranch_execnz .LBB24_15
; %bb.11:                               ;   in Loop: Header=BB24_4 Depth=1
	s_wait_alu 0xfffe
	s_or_b32 exec_lo, exec_lo, s22
	s_and_saveexec_b32 s5, vcc_lo
	s_cbranch_execnz .LBB24_16
.LBB24_12:                              ;   in Loop: Header=BB24_4 Depth=1
	s_wait_alu 0xfffe
	s_or_b32 exec_lo, exec_lo, s5
	s_and_saveexec_b32 s5, s2
	s_cbranch_execnz .LBB24_17
.LBB24_13:                              ;   in Loop: Header=BB24_4 Depth=1
	s_wait_alu 0xfffe
	s_or_b32 exec_lo, exec_lo, s5
	s_and_saveexec_b32 s2, s3
	s_cbranch_execnz .LBB24_18
.LBB24_14:                              ;   in Loop: Header=BB24_4 Depth=1
	s_wait_alu 0xfffe
	s_or_b32 exec_lo, exec_lo, s2
	s_and_saveexec_b32 s2, s4
	s_cbranch_execz .LBB24_3
	s_branch .LBB24_19
.LBB24_15:                              ;   in Loop: Header=BB24_4 Depth=1
	v_add_co_u32 v18, s5, v3, s18
	s_wait_alu 0xf1ff
	v_add_co_ci_u32_e64 v19, null, s19, v4, s5
	global_load_u8 v18, v[18:19], off
	s_wait_alu 0xfffe
	s_or_b32 exec_lo, exec_lo, s22
	s_and_saveexec_b32 s5, vcc_lo
	s_cbranch_execz .LBB24_12
.LBB24_16:                              ;   in Loop: Header=BB24_4 Depth=1
	v_add_co_u32 v19, vcc_lo, v1, s18
	s_wait_loadcnt 0x0
	v_mul_lo_u16 v16, v16, s21
	s_wait_alu 0xfffd
	v_add_co_ci_u32_e64 v20, null, s19, v2, vcc_lo
	global_store_b8 v[19:20], v16, off
	s_wait_alu 0xfffe
	s_or_b32 exec_lo, exec_lo, s5
	s_and_saveexec_b32 s5, s2
	s_cbranch_execz .LBB24_13
.LBB24_17:                              ;   in Loop: Header=BB24_4 Depth=1
	s_wait_loadcnt 0x0
	v_add_co_u32 v16, vcc_lo, v11, s18
	v_mul_lo_u16 v19, v17, s21
	s_wait_alu 0xfffd
	v_add_co_ci_u32_e64 v17, null, s19, v12, vcc_lo
	global_store_b8 v[16:17], v19, off
	s_wait_alu 0xfffe
	s_or_b32 exec_lo, exec_lo, s5
	s_and_saveexec_b32 s2, s3
	s_cbranch_execz .LBB24_14
.LBB24_18:                              ;   in Loop: Header=BB24_4 Depth=1
	s_wait_loadcnt 0x0
	v_mul_lo_u16 v17, v15, s21
	v_add_co_u32 v15, vcc_lo, v7, s18
	s_wait_alu 0xfffd
	v_add_co_ci_u32_e64 v16, null, s19, v8, vcc_lo
	global_store_b8 v[15:16], v17, off
	s_wait_alu 0xfffe
	s_or_b32 exec_lo, exec_lo, s2
	s_and_saveexec_b32 s2, s4
	s_cbranch_execz .LBB24_3
.LBB24_19:                              ;   in Loop: Header=BB24_4 Depth=1
	s_wait_loadcnt 0x0
	v_add_co_u32 v15, vcc_lo, v3, s18
	v_mul_lo_u16 v17, v18, s21
	s_wait_alu 0xfffd
	v_add_co_ci_u32_e64 v16, null, s19, v4, vcc_lo
	global_store_b8 v[15:16], v17, off
	s_branch .LBB24_3
.LBB24_20:
	s_cbranch_execz .LBB24_22
	s_branch .LBB24_25
.LBB24_21:
.LBB24_22:
	v_cmp_gt_i64_e64 s2, 0x10000, s[10:11]
	v_dual_mov_b32 v3, 0 :: v_dual_lshlrev_b32 v2, 2, v0
	s_mov_b32 s4, 0
	s_mov_b32 s5, exec_lo
	s_and_b32 s2, s2, exec_lo
	s_cselect_b32 s3, s11, 0
	s_cselect_b32 s2, s10, 0x10000
	s_wait_alu 0xfffe
	v_cmpx_gt_i64_e64 s[2:3], v[2:3]
	s_cbranch_execz .LBB24_25
; %bb.23:
	s_load_b32 s5, s[0:1], 0xd3c
	s_add_nc_u64 s[0:1], s[6:7], s[8:9]
	v_mov_b32_e32 v1, v3
	v_add_co_u32 v2, s0, s0, v2
	s_wait_alu 0xf1ff
	v_add_co_ci_u32_e64 v3, null, s1, 0, s0
	s_lshr_b32 s6, s20, 16
	s_wait_kmcnt 0x0
	s_and_b32 s1, s5, 0xffff
	s_wait_alu 0xfffe
	s_lshl_b32 s5, s1, 2
.LBB24_24:                              ; =>This Inner Loop Header: Depth=1
	global_load_b32 v4, v[2:3], off
	v_add_co_u32 v0, vcc_lo, v0, s1
	s_wait_alu 0xfffd
	v_add_co_ci_u32_e64 v1, null, 0, v1, vcc_lo
	s_wait_loadcnt 0x0
	v_lshrrev_b32_e32 v5, 24, v4
	v_lshrrev_b32_e32 v6, 16, v4
	v_lshrrev_b32_e32 v7, 8, v4
	v_mul_lo_u16 v4, s6, v4
	s_delay_alu instid0(VALU_DEP_4) | instskip(NEXT) | instid1(VALU_DEP_4)
	v_mul_lo_u16 v5, s6, v5
	v_mul_lo_u16 v6, s6, v6
	s_delay_alu instid0(VALU_DEP_4) | instskip(NEXT) | instid1(VALU_DEP_4)
	v_mul_lo_u16 v7, s6, v7
	v_and_b32_e32 v4, 0xff, v4
	s_delay_alu instid0(VALU_DEP_4) | instskip(NEXT) | instid1(VALU_DEP_4)
	v_lshlrev_b16 v5, 8, v5
	v_and_b32_e32 v6, 0xff, v6
	s_delay_alu instid0(VALU_DEP_4) | instskip(NEXT) | instid1(VALU_DEP_2)
	v_lshlrev_b16 v7, 8, v7
	v_or_b32_e32 v5, v6, v5
	s_delay_alu instid0(VALU_DEP_2) | instskip(NEXT) | instid1(VALU_DEP_2)
	v_or_b32_e32 v4, v4, v7
	v_lshlrev_b32_e32 v6, 16, v5
	s_delay_alu instid0(VALU_DEP_2) | instskip(SKIP_1) | instid1(VALU_DEP_2)
	v_and_b32_e32 v7, 0xffff, v4
	v_lshlrev_b64_e32 v[4:5], 2, v[0:1]
	v_or_b32_e32 v6, v7, v6
	s_delay_alu instid0(VALU_DEP_2)
	v_cmp_le_i64_e32 vcc_lo, s[2:3], v[4:5]
	global_store_b32 v[2:3], v6, off
	s_wait_alu 0xfffe
	v_add_co_u32 v2, s0, v2, s5
	s_wait_alu 0xf1ff
	v_add_co_ci_u32_e64 v3, null, 0, v3, s0
	s_or_b32 s4, vcc_lo, s4
	s_wait_alu 0xfffe
	s_and_not1_b32 exec_lo, exec_lo, s4
	s_cbranch_execnz .LBB24_24
.LBB24_25:
	s_endpgm
	.section	.rodata,"a",@progbits
	.p2align	6, 0x0
	.amdhsa_kernel _ZN2at6native12_GLOBAL__N_125multi_tensor_apply_kernelINS1_18TensorListMetadataILi1EEENS1_21BinaryOpScalarFunctorIhLi1ELi1ELi0EEEJSt10multipliesIhEhEEEvT_T0_DpT1_
		.amdhsa_group_segment_fixed_size 0
		.amdhsa_private_segment_fixed_size 0
		.amdhsa_kernarg_size 3632
		.amdhsa_user_sgpr_count 2
		.amdhsa_user_sgpr_dispatch_ptr 0
		.amdhsa_user_sgpr_queue_ptr 0
		.amdhsa_user_sgpr_kernarg_segment_ptr 1
		.amdhsa_user_sgpr_dispatch_id 0
		.amdhsa_user_sgpr_private_segment_size 0
		.amdhsa_wavefront_size32 1
		.amdhsa_uses_dynamic_stack 0
		.amdhsa_enable_private_segment 0
		.amdhsa_system_sgpr_workgroup_id_x 1
		.amdhsa_system_sgpr_workgroup_id_y 0
		.amdhsa_system_sgpr_workgroup_id_z 0
		.amdhsa_system_sgpr_workgroup_info 0
		.amdhsa_system_vgpr_workitem_id 0
		.amdhsa_next_free_vgpr 21
		.amdhsa_next_free_sgpr 24
		.amdhsa_reserve_vcc 1
		.amdhsa_float_round_mode_32 0
		.amdhsa_float_round_mode_16_64 0
		.amdhsa_float_denorm_mode_32 3
		.amdhsa_float_denorm_mode_16_64 3
		.amdhsa_fp16_overflow 0
		.amdhsa_workgroup_processor_mode 1
		.amdhsa_memory_ordered 1
		.amdhsa_forward_progress 1
		.amdhsa_inst_pref_size 12
		.amdhsa_round_robin_scheduling 0
		.amdhsa_exception_fp_ieee_invalid_op 0
		.amdhsa_exception_fp_denorm_src 0
		.amdhsa_exception_fp_ieee_div_zero 0
		.amdhsa_exception_fp_ieee_overflow 0
		.amdhsa_exception_fp_ieee_underflow 0
		.amdhsa_exception_fp_ieee_inexact 0
		.amdhsa_exception_int_div_zero 0
	.end_amdhsa_kernel
	.section	.text._ZN2at6native12_GLOBAL__N_125multi_tensor_apply_kernelINS1_18TensorListMetadataILi1EEENS1_21BinaryOpScalarFunctorIhLi1ELi1ELi0EEEJSt10multipliesIhEhEEEvT_T0_DpT1_,"axG",@progbits,_ZN2at6native12_GLOBAL__N_125multi_tensor_apply_kernelINS1_18TensorListMetadataILi1EEENS1_21BinaryOpScalarFunctorIhLi1ELi1ELi0EEEJSt10multipliesIhEhEEEvT_T0_DpT1_,comdat
.Lfunc_end24:
	.size	_ZN2at6native12_GLOBAL__N_125multi_tensor_apply_kernelINS1_18TensorListMetadataILi1EEENS1_21BinaryOpScalarFunctorIhLi1ELi1ELi0EEEJSt10multipliesIhEhEEEvT_T0_DpT1_, .Lfunc_end24-_ZN2at6native12_GLOBAL__N_125multi_tensor_apply_kernelINS1_18TensorListMetadataILi1EEENS1_21BinaryOpScalarFunctorIhLi1ELi1ELi0EEEJSt10multipliesIhEhEEEvT_T0_DpT1_
                                        ; -- End function
	.set _ZN2at6native12_GLOBAL__N_125multi_tensor_apply_kernelINS1_18TensorListMetadataILi1EEENS1_21BinaryOpScalarFunctorIhLi1ELi1ELi0EEEJSt10multipliesIhEhEEEvT_T0_DpT1_.num_vgpr, 21
	.set _ZN2at6native12_GLOBAL__N_125multi_tensor_apply_kernelINS1_18TensorListMetadataILi1EEENS1_21BinaryOpScalarFunctorIhLi1ELi1ELi0EEEJSt10multipliesIhEhEEEvT_T0_DpT1_.num_agpr, 0
	.set _ZN2at6native12_GLOBAL__N_125multi_tensor_apply_kernelINS1_18TensorListMetadataILi1EEENS1_21BinaryOpScalarFunctorIhLi1ELi1ELi0EEEJSt10multipliesIhEhEEEvT_T0_DpT1_.numbered_sgpr, 24
	.set _ZN2at6native12_GLOBAL__N_125multi_tensor_apply_kernelINS1_18TensorListMetadataILi1EEENS1_21BinaryOpScalarFunctorIhLi1ELi1ELi0EEEJSt10multipliesIhEhEEEvT_T0_DpT1_.num_named_barrier, 0
	.set _ZN2at6native12_GLOBAL__N_125multi_tensor_apply_kernelINS1_18TensorListMetadataILi1EEENS1_21BinaryOpScalarFunctorIhLi1ELi1ELi0EEEJSt10multipliesIhEhEEEvT_T0_DpT1_.private_seg_size, 0
	.set _ZN2at6native12_GLOBAL__N_125multi_tensor_apply_kernelINS1_18TensorListMetadataILi1EEENS1_21BinaryOpScalarFunctorIhLi1ELi1ELi0EEEJSt10multipliesIhEhEEEvT_T0_DpT1_.uses_vcc, 1
	.set _ZN2at6native12_GLOBAL__N_125multi_tensor_apply_kernelINS1_18TensorListMetadataILi1EEENS1_21BinaryOpScalarFunctorIhLi1ELi1ELi0EEEJSt10multipliesIhEhEEEvT_T0_DpT1_.uses_flat_scratch, 0
	.set _ZN2at6native12_GLOBAL__N_125multi_tensor_apply_kernelINS1_18TensorListMetadataILi1EEENS1_21BinaryOpScalarFunctorIhLi1ELi1ELi0EEEJSt10multipliesIhEhEEEvT_T0_DpT1_.has_dyn_sized_stack, 0
	.set _ZN2at6native12_GLOBAL__N_125multi_tensor_apply_kernelINS1_18TensorListMetadataILi1EEENS1_21BinaryOpScalarFunctorIhLi1ELi1ELi0EEEJSt10multipliesIhEhEEEvT_T0_DpT1_.has_recursion, 0
	.set _ZN2at6native12_GLOBAL__N_125multi_tensor_apply_kernelINS1_18TensorListMetadataILi1EEENS1_21BinaryOpScalarFunctorIhLi1ELi1ELi0EEEJSt10multipliesIhEhEEEvT_T0_DpT1_.has_indirect_call, 0
	.section	.AMDGPU.csdata,"",@progbits
; Kernel info:
; codeLenInByte = 1464
; TotalNumSgprs: 26
; NumVgprs: 21
; ScratchSize: 0
; MemoryBound: 0
; FloatMode: 240
; IeeeMode: 1
; LDSByteSize: 0 bytes/workgroup (compile time only)
; SGPRBlocks: 0
; VGPRBlocks: 2
; NumSGPRsForWavesPerEU: 26
; NumVGPRsForWavesPerEU: 21
; Occupancy: 16
; WaveLimiterHint : 0
; COMPUTE_PGM_RSRC2:SCRATCH_EN: 0
; COMPUTE_PGM_RSRC2:USER_SGPR: 2
; COMPUTE_PGM_RSRC2:TRAP_HANDLER: 0
; COMPUTE_PGM_RSRC2:TGID_X_EN: 1
; COMPUTE_PGM_RSRC2:TGID_Y_EN: 0
; COMPUTE_PGM_RSRC2:TGID_Z_EN: 0
; COMPUTE_PGM_RSRC2:TIDIG_COMP_CNT: 0
	.section	.text._ZN2at6native12_GLOBAL__N_125multi_tensor_apply_kernelINS1_18TensorListMetadataILi1EEENS1_21BinaryOpScalarFunctorIaLi1ELi1ELi0EEEJSt10multipliesIaEaEEEvT_T0_DpT1_,"axG",@progbits,_ZN2at6native12_GLOBAL__N_125multi_tensor_apply_kernelINS1_18TensorListMetadataILi1EEENS1_21BinaryOpScalarFunctorIaLi1ELi1ELi0EEEJSt10multipliesIaEaEEEvT_T0_DpT1_,comdat
	.globl	_ZN2at6native12_GLOBAL__N_125multi_tensor_apply_kernelINS1_18TensorListMetadataILi1EEENS1_21BinaryOpScalarFunctorIaLi1ELi1ELi0EEEJSt10multipliesIaEaEEEvT_T0_DpT1_ ; -- Begin function _ZN2at6native12_GLOBAL__N_125multi_tensor_apply_kernelINS1_18TensorListMetadataILi1EEENS1_21BinaryOpScalarFunctorIaLi1ELi1ELi0EEEJSt10multipliesIaEaEEEvT_T0_DpT1_
	.p2align	8
	.type	_ZN2at6native12_GLOBAL__N_125multi_tensor_apply_kernelINS1_18TensorListMetadataILi1EEENS1_21BinaryOpScalarFunctorIaLi1ELi1ELi0EEEJSt10multipliesIaEaEEEvT_T0_DpT1_,@function
_ZN2at6native12_GLOBAL__N_125multi_tensor_apply_kernelINS1_18TensorListMetadataILi1EEENS1_21BinaryOpScalarFunctorIaLi1ELi1ELi0EEEJSt10multipliesIaEaEEEvT_T0_DpT1_: ; @_ZN2at6native12_GLOBAL__N_125multi_tensor_apply_kernelINS1_18TensorListMetadataILi1EEENS1_21BinaryOpScalarFunctorIaLi1ELi1ELi0EEEJSt10multipliesIaEaEEEvT_T0_DpT1_
; %bb.0:
	s_load_u8 s6, s[0:1], ttmp9 offset:0x6e0
	s_mov_b32 s2, ttmp9
	s_mov_b32 s3, 0
	s_delay_alu instid0(SALU_CYCLE_1) | instskip(SKIP_1) | instid1(SALU_CYCLE_1)
	s_mul_u64 s[4:5], s[2:3], 3
	s_add_nc_u64 s[2:3], s[0:1], s[2:3]
	s_add_nc_u64 s[2:3], s[2:3], s[4:5]
	s_load_b32 s2, s[2:3], 0x820
	s_wait_kmcnt 0x0
	s_lshl_b32 s3, s6, 3
	s_clause 0x2
	s_load_b64 s[4:5], s[0:1], s3 offset:0x370
	s_load_b64 s[6:7], s[0:1], s3 offset:0x0
	s_load_b32 s20, s[0:1], 0xd28
	s_ashr_i32 s3, s2, 31
	s_wait_kmcnt 0x0
	s_or_b32 s8, s4, s6
	s_delay_alu instid0(SALU_CYCLE_1)
	s_and_b32 s10, s8, 3
	s_lshl_b64 s[8:9], s[2:3], 16
	s_cmp_eq_u32 s10, 0
	s_sub_nc_u64 s[10:11], s[4:5], s[8:9]
	s_cbranch_scc1 .LBB25_21
; %bb.1:
	v_cmp_lt_i64_e64 s2, s[10:11], 1
	s_and_b32 vcc_lo, exec_lo, s2
	s_cbranch_vccnz .LBB25_20
; %bb.2:
	s_load_b32 s2, s[0:1], 0xd3c
	v_cmp_gt_i64_e64 s4, 0x10000, s[10:11]
	s_mov_b32 s3, 0
	v_cmp_gt_u64_e64 s14, 0x10000, s[10:11]
	s_mov_b32 s19, s3
	v_add_co_u32 v11, s5, s8, v0
	s_and_b32 s4, s4, exec_lo
	s_cselect_b32 s13, s11, 0
	s_cselect_b32 s12, s10, 0x10000
	v_add_co_ci_u32_e64 v12, null, s9, 0, s5
	s_mov_b32 s5, s3
	v_add_co_u32 v1, vcc_lo, s6, v11
	s_delay_alu instid0(VALU_DEP_1)
	v_add_co_ci_u32_e64 v2, null, s7, v12, vcc_lo
	s_wait_kmcnt 0x0
	s_and_b32 s2, s2, 0xffff
	s_and_b32 s4, s14, exec_lo
	s_mul_i32 s18, s2, 3
	s_cselect_b32 s15, s11, 0
	s_add_nc_u64 s[22:23], s[8:9], s[18:19]
	s_cselect_b32 s14, s10, 0x10000
	s_add_nc_u64 s[22:23], s[6:7], s[22:23]
	s_lshl_b32 s4, s2, 1
	v_add_co_u32 v3, s17, s22, v0
	s_delay_alu instid0(VALU_DEP_1)
	v_add_co_ci_u32_e64 v4, null, s23, 0, s17
	s_wait_alu 0xfffe
	s_add_nc_u64 s[22:23], s[8:9], s[4:5]
	v_add_co_u32 v5, s5, s18, v0
	s_wait_alu 0xfffe
	s_add_nc_u64 s[18:19], s[6:7], s[22:23]
	v_add_co_ci_u32_e64 v6, null, 0, 0, s5
	s_wait_alu 0xfffe
	v_add_co_u32 v7, s5, s18, v0
	v_add_co_u32 v9, s4, s4, v0
	s_wait_alu 0xf1ff
	v_add_co_ci_u32_e64 v8, null, s19, 0, s5
	v_add_co_ci_u32_e64 v10, null, 0, 0, s4
	s_add_nc_u64 s[4:5], s[6:7], s[2:3]
	s_lshl_b32 s16, s2, 2
	s_wait_alu 0xfffe
	v_add_co_u32 v11, vcc_lo, s4, v11
	v_add_co_u32 v13, s2, v0, s2
	s_wait_alu 0xfffd
	v_add_co_ci_u32_e64 v12, null, s5, v12, vcc_lo
	s_wait_alu 0xf1ff
	v_add_co_ci_u32_e64 v14, null, 0, 0, s2
	s_mov_b32 s17, s3
	s_mov_b64 s[18:19], 0
	s_lshr_b32 s21, s20, 16
	s_branch .LBB25_4
.LBB25_3:                               ;   in Loop: Header=BB25_4 Depth=1
	s_wait_alu 0xfffe
	s_or_b32 exec_lo, exec_lo, s2
	s_add_nc_u64 s[18:19], s[18:19], s[16:17]
	s_wait_alu 0xfffe
	v_cmp_lt_i64_e64 s2, s[18:19], s[12:13]
	s_and_b32 vcc_lo, exec_lo, s2
	s_wait_alu 0xfffe
	s_cbranch_vccz .LBB25_20
.LBB25_4:                               ; =>This Inner Loop Header: Depth=1
	s_wait_loadcnt 0x0
	s_wait_alu 0xfffe
	v_add_co_u32 v15, s2, v0, s18
	s_wait_alu 0xf1ff
	v_add_co_ci_u32_e64 v16, null, 0, s19, s2
	s_delay_alu instid0(VALU_DEP_1)
	v_cmp_gt_u64_e32 vcc_lo, s[14:15], v[15:16]
	v_mov_b32_e32 v16, 0
	s_and_saveexec_b32 s3, vcc_lo
	s_cbranch_execz .LBB25_6
; %bb.5:                                ;   in Loop: Header=BB25_4 Depth=1
	v_add_co_u32 v15, s2, v1, s18
	s_wait_alu 0xf1ff
	v_add_co_ci_u32_e64 v16, null, s19, v2, s2
	global_load_u8 v16, v[15:16], off
.LBB25_6:                               ;   in Loop: Header=BB25_4 Depth=1
	s_wait_alu 0xfffe
	s_or_b32 exec_lo, exec_lo, s3
	v_add_co_u32 v17, s2, v13, s18
	s_wait_alu 0xf1ff
	v_add_co_ci_u32_e64 v18, null, s19, v14, s2
	v_mov_b32_e32 v15, 0
	s_delay_alu instid0(VALU_DEP_2)
	v_cmp_gt_u64_e64 s2, s[14:15], v[17:18]
	v_mov_b32_e32 v17, 0
	s_and_saveexec_b32 s4, s2
	s_cbranch_execz .LBB25_8
; %bb.7:                                ;   in Loop: Header=BB25_4 Depth=1
	v_add_co_u32 v17, s3, v11, s18
	s_wait_alu 0xf1ff
	v_add_co_ci_u32_e64 v18, null, s19, v12, s3
	global_load_u8 v17, v[17:18], off
.LBB25_8:                               ;   in Loop: Header=BB25_4 Depth=1
	s_wait_alu 0xfffe
	s_or_b32 exec_lo, exec_lo, s4
	v_add_co_u32 v18, s3, v9, s18
	s_wait_alu 0xf1ff
	v_add_co_ci_u32_e64 v19, null, s19, v10, s3
	s_delay_alu instid0(VALU_DEP_1)
	v_cmp_gt_u64_e64 s3, s[14:15], v[18:19]
	s_and_saveexec_b32 s5, s3
	s_cbranch_execz .LBB25_10
; %bb.9:                                ;   in Loop: Header=BB25_4 Depth=1
	v_add_co_u32 v18, s4, v7, s18
	s_wait_alu 0xf1ff
	v_add_co_ci_u32_e64 v19, null, s19, v8, s4
	global_load_u8 v15, v[18:19], off
.LBB25_10:                              ;   in Loop: Header=BB25_4 Depth=1
	s_wait_alu 0xfffe
	s_or_b32 exec_lo, exec_lo, s5
	v_add_co_u32 v18, s4, v5, s18
	s_wait_alu 0xf1ff
	v_add_co_ci_u32_e64 v19, null, s19, v6, s4
	s_delay_alu instid0(VALU_DEP_1)
	v_cmp_gt_u64_e64 s4, s[14:15], v[18:19]
	v_mov_b32_e32 v18, 0
	s_and_saveexec_b32 s22, s4
	s_cbranch_execnz .LBB25_15
; %bb.11:                               ;   in Loop: Header=BB25_4 Depth=1
	s_wait_alu 0xfffe
	s_or_b32 exec_lo, exec_lo, s22
	s_and_saveexec_b32 s5, vcc_lo
	s_cbranch_execnz .LBB25_16
.LBB25_12:                              ;   in Loop: Header=BB25_4 Depth=1
	s_wait_alu 0xfffe
	s_or_b32 exec_lo, exec_lo, s5
	s_and_saveexec_b32 s5, s2
	s_cbranch_execnz .LBB25_17
.LBB25_13:                              ;   in Loop: Header=BB25_4 Depth=1
	s_wait_alu 0xfffe
	s_or_b32 exec_lo, exec_lo, s5
	s_and_saveexec_b32 s2, s3
	s_cbranch_execnz .LBB25_18
.LBB25_14:                              ;   in Loop: Header=BB25_4 Depth=1
	s_wait_alu 0xfffe
	s_or_b32 exec_lo, exec_lo, s2
	s_and_saveexec_b32 s2, s4
	s_cbranch_execz .LBB25_3
	s_branch .LBB25_19
.LBB25_15:                              ;   in Loop: Header=BB25_4 Depth=1
	v_add_co_u32 v18, s5, v3, s18
	s_wait_alu 0xf1ff
	v_add_co_ci_u32_e64 v19, null, s19, v4, s5
	global_load_u8 v18, v[18:19], off
	s_wait_alu 0xfffe
	s_or_b32 exec_lo, exec_lo, s22
	s_and_saveexec_b32 s5, vcc_lo
	s_cbranch_execz .LBB25_12
.LBB25_16:                              ;   in Loop: Header=BB25_4 Depth=1
	v_add_co_u32 v19, vcc_lo, v1, s18
	s_wait_loadcnt 0x0
	v_mul_lo_u16 v16, v16, s21
	s_wait_alu 0xfffd
	v_add_co_ci_u32_e64 v20, null, s19, v2, vcc_lo
	global_store_b8 v[19:20], v16, off
	s_wait_alu 0xfffe
	s_or_b32 exec_lo, exec_lo, s5
	s_and_saveexec_b32 s5, s2
	s_cbranch_execz .LBB25_13
.LBB25_17:                              ;   in Loop: Header=BB25_4 Depth=1
	s_wait_loadcnt 0x0
	v_add_co_u32 v16, vcc_lo, v11, s18
	v_mul_lo_u16 v19, v17, s21
	s_wait_alu 0xfffd
	v_add_co_ci_u32_e64 v17, null, s19, v12, vcc_lo
	global_store_b8 v[16:17], v19, off
	s_wait_alu 0xfffe
	s_or_b32 exec_lo, exec_lo, s5
	s_and_saveexec_b32 s2, s3
	s_cbranch_execz .LBB25_14
.LBB25_18:                              ;   in Loop: Header=BB25_4 Depth=1
	s_wait_loadcnt 0x0
	v_mul_lo_u16 v17, v15, s21
	v_add_co_u32 v15, vcc_lo, v7, s18
	s_wait_alu 0xfffd
	v_add_co_ci_u32_e64 v16, null, s19, v8, vcc_lo
	global_store_b8 v[15:16], v17, off
	s_wait_alu 0xfffe
	s_or_b32 exec_lo, exec_lo, s2
	s_and_saveexec_b32 s2, s4
	s_cbranch_execz .LBB25_3
.LBB25_19:                              ;   in Loop: Header=BB25_4 Depth=1
	s_wait_loadcnt 0x0
	v_add_co_u32 v15, vcc_lo, v3, s18
	v_mul_lo_u16 v17, v18, s21
	s_wait_alu 0xfffd
	v_add_co_ci_u32_e64 v16, null, s19, v4, vcc_lo
	global_store_b8 v[15:16], v17, off
	s_branch .LBB25_3
.LBB25_20:
	s_cbranch_execz .LBB25_22
	s_branch .LBB25_25
.LBB25_21:
.LBB25_22:
	v_cmp_gt_i64_e64 s2, 0x10000, s[10:11]
	v_dual_mov_b32 v3, 0 :: v_dual_lshlrev_b32 v2, 2, v0
	s_mov_b32 s4, 0
	s_mov_b32 s5, exec_lo
	s_and_b32 s2, s2, exec_lo
	s_cselect_b32 s3, s11, 0
	s_cselect_b32 s2, s10, 0x10000
	s_wait_alu 0xfffe
	v_cmpx_gt_i64_e64 s[2:3], v[2:3]
	s_cbranch_execz .LBB25_25
; %bb.23:
	s_load_b32 s5, s[0:1], 0xd3c
	s_add_nc_u64 s[0:1], s[6:7], s[8:9]
	v_mov_b32_e32 v1, v3
	v_add_co_u32 v2, s0, s0, v2
	s_wait_alu 0xf1ff
	v_add_co_ci_u32_e64 v3, null, s1, 0, s0
	s_lshr_b32 s6, s20, 16
	s_wait_kmcnt 0x0
	s_and_b32 s1, s5, 0xffff
	s_wait_alu 0xfffe
	s_lshl_b32 s5, s1, 2
.LBB25_24:                              ; =>This Inner Loop Header: Depth=1
	global_load_b32 v4, v[2:3], off
	v_add_co_u32 v0, vcc_lo, v0, s1
	s_wait_alu 0xfffd
	v_add_co_ci_u32_e64 v1, null, 0, v1, vcc_lo
	s_wait_loadcnt 0x0
	v_lshrrev_b32_e32 v5, 24, v4
	v_lshrrev_b32_e32 v6, 16, v4
	v_lshrrev_b32_e32 v7, 8, v4
	v_mul_lo_u16 v4, s6, v4
	s_delay_alu instid0(VALU_DEP_4) | instskip(NEXT) | instid1(VALU_DEP_4)
	v_mul_lo_u16 v5, s6, v5
	v_mul_lo_u16 v6, s6, v6
	s_delay_alu instid0(VALU_DEP_4) | instskip(NEXT) | instid1(VALU_DEP_4)
	v_mul_lo_u16 v7, s6, v7
	v_and_b32_e32 v4, 0xff, v4
	s_delay_alu instid0(VALU_DEP_4) | instskip(NEXT) | instid1(VALU_DEP_4)
	v_lshlrev_b16 v5, 8, v5
	v_and_b32_e32 v6, 0xff, v6
	s_delay_alu instid0(VALU_DEP_4) | instskip(NEXT) | instid1(VALU_DEP_2)
	v_lshlrev_b16 v7, 8, v7
	v_or_b32_e32 v5, v6, v5
	s_delay_alu instid0(VALU_DEP_2) | instskip(NEXT) | instid1(VALU_DEP_2)
	v_or_b32_e32 v4, v4, v7
	v_lshlrev_b32_e32 v6, 16, v5
	s_delay_alu instid0(VALU_DEP_2) | instskip(SKIP_1) | instid1(VALU_DEP_2)
	v_and_b32_e32 v7, 0xffff, v4
	v_lshlrev_b64_e32 v[4:5], 2, v[0:1]
	v_or_b32_e32 v6, v7, v6
	s_delay_alu instid0(VALU_DEP_2)
	v_cmp_le_i64_e32 vcc_lo, s[2:3], v[4:5]
	global_store_b32 v[2:3], v6, off
	s_wait_alu 0xfffe
	v_add_co_u32 v2, s0, v2, s5
	s_wait_alu 0xf1ff
	v_add_co_ci_u32_e64 v3, null, 0, v3, s0
	s_or_b32 s4, vcc_lo, s4
	s_wait_alu 0xfffe
	s_and_not1_b32 exec_lo, exec_lo, s4
	s_cbranch_execnz .LBB25_24
.LBB25_25:
	s_endpgm
	.section	.rodata,"a",@progbits
	.p2align	6, 0x0
	.amdhsa_kernel _ZN2at6native12_GLOBAL__N_125multi_tensor_apply_kernelINS1_18TensorListMetadataILi1EEENS1_21BinaryOpScalarFunctorIaLi1ELi1ELi0EEEJSt10multipliesIaEaEEEvT_T0_DpT1_
		.amdhsa_group_segment_fixed_size 0
		.amdhsa_private_segment_fixed_size 0
		.amdhsa_kernarg_size 3632
		.amdhsa_user_sgpr_count 2
		.amdhsa_user_sgpr_dispatch_ptr 0
		.amdhsa_user_sgpr_queue_ptr 0
		.amdhsa_user_sgpr_kernarg_segment_ptr 1
		.amdhsa_user_sgpr_dispatch_id 0
		.amdhsa_user_sgpr_private_segment_size 0
		.amdhsa_wavefront_size32 1
		.amdhsa_uses_dynamic_stack 0
		.amdhsa_enable_private_segment 0
		.amdhsa_system_sgpr_workgroup_id_x 1
		.amdhsa_system_sgpr_workgroup_id_y 0
		.amdhsa_system_sgpr_workgroup_id_z 0
		.amdhsa_system_sgpr_workgroup_info 0
		.amdhsa_system_vgpr_workitem_id 0
		.amdhsa_next_free_vgpr 21
		.amdhsa_next_free_sgpr 24
		.amdhsa_reserve_vcc 1
		.amdhsa_float_round_mode_32 0
		.amdhsa_float_round_mode_16_64 0
		.amdhsa_float_denorm_mode_32 3
		.amdhsa_float_denorm_mode_16_64 3
		.amdhsa_fp16_overflow 0
		.amdhsa_workgroup_processor_mode 1
		.amdhsa_memory_ordered 1
		.amdhsa_forward_progress 1
		.amdhsa_inst_pref_size 12
		.amdhsa_round_robin_scheduling 0
		.amdhsa_exception_fp_ieee_invalid_op 0
		.amdhsa_exception_fp_denorm_src 0
		.amdhsa_exception_fp_ieee_div_zero 0
		.amdhsa_exception_fp_ieee_overflow 0
		.amdhsa_exception_fp_ieee_underflow 0
		.amdhsa_exception_fp_ieee_inexact 0
		.amdhsa_exception_int_div_zero 0
	.end_amdhsa_kernel
	.section	.text._ZN2at6native12_GLOBAL__N_125multi_tensor_apply_kernelINS1_18TensorListMetadataILi1EEENS1_21BinaryOpScalarFunctorIaLi1ELi1ELi0EEEJSt10multipliesIaEaEEEvT_T0_DpT1_,"axG",@progbits,_ZN2at6native12_GLOBAL__N_125multi_tensor_apply_kernelINS1_18TensorListMetadataILi1EEENS1_21BinaryOpScalarFunctorIaLi1ELi1ELi0EEEJSt10multipliesIaEaEEEvT_T0_DpT1_,comdat
.Lfunc_end25:
	.size	_ZN2at6native12_GLOBAL__N_125multi_tensor_apply_kernelINS1_18TensorListMetadataILi1EEENS1_21BinaryOpScalarFunctorIaLi1ELi1ELi0EEEJSt10multipliesIaEaEEEvT_T0_DpT1_, .Lfunc_end25-_ZN2at6native12_GLOBAL__N_125multi_tensor_apply_kernelINS1_18TensorListMetadataILi1EEENS1_21BinaryOpScalarFunctorIaLi1ELi1ELi0EEEJSt10multipliesIaEaEEEvT_T0_DpT1_
                                        ; -- End function
	.set _ZN2at6native12_GLOBAL__N_125multi_tensor_apply_kernelINS1_18TensorListMetadataILi1EEENS1_21BinaryOpScalarFunctorIaLi1ELi1ELi0EEEJSt10multipliesIaEaEEEvT_T0_DpT1_.num_vgpr, 21
	.set _ZN2at6native12_GLOBAL__N_125multi_tensor_apply_kernelINS1_18TensorListMetadataILi1EEENS1_21BinaryOpScalarFunctorIaLi1ELi1ELi0EEEJSt10multipliesIaEaEEEvT_T0_DpT1_.num_agpr, 0
	.set _ZN2at6native12_GLOBAL__N_125multi_tensor_apply_kernelINS1_18TensorListMetadataILi1EEENS1_21BinaryOpScalarFunctorIaLi1ELi1ELi0EEEJSt10multipliesIaEaEEEvT_T0_DpT1_.numbered_sgpr, 24
	.set _ZN2at6native12_GLOBAL__N_125multi_tensor_apply_kernelINS1_18TensorListMetadataILi1EEENS1_21BinaryOpScalarFunctorIaLi1ELi1ELi0EEEJSt10multipliesIaEaEEEvT_T0_DpT1_.num_named_barrier, 0
	.set _ZN2at6native12_GLOBAL__N_125multi_tensor_apply_kernelINS1_18TensorListMetadataILi1EEENS1_21BinaryOpScalarFunctorIaLi1ELi1ELi0EEEJSt10multipliesIaEaEEEvT_T0_DpT1_.private_seg_size, 0
	.set _ZN2at6native12_GLOBAL__N_125multi_tensor_apply_kernelINS1_18TensorListMetadataILi1EEENS1_21BinaryOpScalarFunctorIaLi1ELi1ELi0EEEJSt10multipliesIaEaEEEvT_T0_DpT1_.uses_vcc, 1
	.set _ZN2at6native12_GLOBAL__N_125multi_tensor_apply_kernelINS1_18TensorListMetadataILi1EEENS1_21BinaryOpScalarFunctorIaLi1ELi1ELi0EEEJSt10multipliesIaEaEEEvT_T0_DpT1_.uses_flat_scratch, 0
	.set _ZN2at6native12_GLOBAL__N_125multi_tensor_apply_kernelINS1_18TensorListMetadataILi1EEENS1_21BinaryOpScalarFunctorIaLi1ELi1ELi0EEEJSt10multipliesIaEaEEEvT_T0_DpT1_.has_dyn_sized_stack, 0
	.set _ZN2at6native12_GLOBAL__N_125multi_tensor_apply_kernelINS1_18TensorListMetadataILi1EEENS1_21BinaryOpScalarFunctorIaLi1ELi1ELi0EEEJSt10multipliesIaEaEEEvT_T0_DpT1_.has_recursion, 0
	.set _ZN2at6native12_GLOBAL__N_125multi_tensor_apply_kernelINS1_18TensorListMetadataILi1EEENS1_21BinaryOpScalarFunctorIaLi1ELi1ELi0EEEJSt10multipliesIaEaEEEvT_T0_DpT1_.has_indirect_call, 0
	.section	.AMDGPU.csdata,"",@progbits
; Kernel info:
; codeLenInByte = 1464
; TotalNumSgprs: 26
; NumVgprs: 21
; ScratchSize: 0
; MemoryBound: 0
; FloatMode: 240
; IeeeMode: 1
; LDSByteSize: 0 bytes/workgroup (compile time only)
; SGPRBlocks: 0
; VGPRBlocks: 2
; NumSGPRsForWavesPerEU: 26
; NumVGPRsForWavesPerEU: 21
; Occupancy: 16
; WaveLimiterHint : 0
; COMPUTE_PGM_RSRC2:SCRATCH_EN: 0
; COMPUTE_PGM_RSRC2:USER_SGPR: 2
; COMPUTE_PGM_RSRC2:TRAP_HANDLER: 0
; COMPUTE_PGM_RSRC2:TGID_X_EN: 1
; COMPUTE_PGM_RSRC2:TGID_Y_EN: 0
; COMPUTE_PGM_RSRC2:TGID_Z_EN: 0
; COMPUTE_PGM_RSRC2:TIDIG_COMP_CNT: 0
	.section	.text._ZN2at6native12_GLOBAL__N_125multi_tensor_apply_kernelINS1_18TensorListMetadataILi1EEENS1_21BinaryOpScalarFunctorIiLi1ELi1ELi0EEEJSt10multipliesIiEiEEEvT_T0_DpT1_,"axG",@progbits,_ZN2at6native12_GLOBAL__N_125multi_tensor_apply_kernelINS1_18TensorListMetadataILi1EEENS1_21BinaryOpScalarFunctorIiLi1ELi1ELi0EEEJSt10multipliesIiEiEEEvT_T0_DpT1_,comdat
	.globl	_ZN2at6native12_GLOBAL__N_125multi_tensor_apply_kernelINS1_18TensorListMetadataILi1EEENS1_21BinaryOpScalarFunctorIiLi1ELi1ELi0EEEJSt10multipliesIiEiEEEvT_T0_DpT1_ ; -- Begin function _ZN2at6native12_GLOBAL__N_125multi_tensor_apply_kernelINS1_18TensorListMetadataILi1EEENS1_21BinaryOpScalarFunctorIiLi1ELi1ELi0EEEJSt10multipliesIiEiEEEvT_T0_DpT1_
	.p2align	8
	.type	_ZN2at6native12_GLOBAL__N_125multi_tensor_apply_kernelINS1_18TensorListMetadataILi1EEENS1_21BinaryOpScalarFunctorIiLi1ELi1ELi0EEEJSt10multipliesIiEiEEEvT_T0_DpT1_,@function
_ZN2at6native12_GLOBAL__N_125multi_tensor_apply_kernelINS1_18TensorListMetadataILi1EEENS1_21BinaryOpScalarFunctorIiLi1ELi1ELi0EEEJSt10multipliesIiEiEEEvT_T0_DpT1_: ; @_ZN2at6native12_GLOBAL__N_125multi_tensor_apply_kernelINS1_18TensorListMetadataILi1EEENS1_21BinaryOpScalarFunctorIiLi1ELi1ELi0EEEJSt10multipliesIiEiEEEvT_T0_DpT1_
; %bb.0:
	s_load_u8 s8, s[0:1], ttmp9 offset:0x6e0
	s_mov_b32 s2, ttmp9
	s_mov_b32 s3, 0
	s_delay_alu instid0(SALU_CYCLE_1)
	s_mul_u64 s[4:5], s[2:3], 3
	s_add_nc_u64 s[6:7], s[0:1], s[2:3]
	s_mov_b32 s13, s3
	s_add_nc_u64 s[4:5], s[6:7], s[4:5]
	s_load_b32 s4, s[4:5], 0x820
	s_wait_kmcnt 0x0
	s_lshl_b32 s2, s8, 3
	s_clause 0x2
	s_load_b64 s[6:7], s[0:1], s2 offset:0x0
	s_load_b64 s[10:11], s[0:1], s2 offset:0x370
	s_load_b32 s22, s[0:1], 0xd2c
	s_ashr_i32 s5, s4, 31
	s_delay_alu instid0(SALU_CYCLE_1)
	s_lshl_b64 s[8:9], s[4:5], 18
	s_lshl_b64 s[4:5], s[4:5], 16
	s_wait_kmcnt 0x0
	s_and_b32 s2, s6, 15
	s_and_b32 s12, s10, 3
	s_sub_nc_u64 s[10:11], s[10:11], s[4:5]
	s_or_b64 s[2:3], s[2:3], s[12:13]
	s_delay_alu instid0(SALU_CYCLE_1)
	s_cmp_eq_u64 s[2:3], 0
	s_cbranch_scc1 .LBB26_21
; %bb.1:
	v_cmp_lt_i64_e64 s2, s[10:11], 1
	s_and_b32 vcc_lo, exec_lo, s2
	s_cbranch_vccnz .LBB26_20
; %bb.2:
	s_load_b32 s2, s[0:1], 0xd3c
	v_cmp_gt_i64_e64 s12, 0x10000, s[10:11]
	v_lshlrev_b32_e32 v1, 2, v0
	s_add_nc_u64 s[4:5], s[6:7], s[8:9]
	s_mov_b32 s3, 0
	v_cmp_gt_u64_e64 s16, 0x10000, s[10:11]
	s_mov_b32 s13, s3
	v_add_co_u32 v1, s14, s4, v1
	s_and_b32 s12, s12, exec_lo
	v_add_co_ci_u32_e64 v2, null, s5, 0, s14
	s_cselect_b32 s15, s11, 0
	s_cselect_b32 s14, s10, 0x10000
	s_wait_kmcnt 0x0
	s_and_b32 s2, s2, 0xffff
	s_and_b32 s12, s16, exec_lo
	s_mul_u64 s[18:19], s[2:3], 12
	v_add_co_u32 v5, s3, v0, s2
	s_cselect_b32 s17, s11, 0
	s_cselect_b32 s16, s10, 0x10000
	s_lshl_b32 s20, s2, 1
	v_lshlrev_b32_e32 v3, 2, v5
	s_mul_i32 s21, s2, 3
	v_add_co_ci_u32_e64 v8, null, 0, 0, s3
	v_add_co_u32 v9, s3, s20, v0
	v_add_co_u32 v6, s21, s21, v0
	s_wait_alu 0xf1ff
	v_add_co_ci_u32_e64 v10, null, 0, 0, s3
	v_add_co_u32 v3, s3, s4, v3
	v_add_co_ci_u32_e64 v7, null, 0, 0, s21
	s_wait_alu 0xf1ff
	v_add_co_ci_u32_e64 v4, null, s5, 0, s3
	s_lshl_b32 s12, s2, 2
	s_lshl_b32 s23, s2, 4
	;; [unrolled: 1-line block ×3, first 2 shown]
	s_mov_b64 s[20:21], 0
	s_branch .LBB26_4
.LBB26_3:                               ;   in Loop: Header=BB26_4 Depth=1
	s_wait_alu 0xfffe
	s_or_b32 exec_lo, exec_lo, s2
	s_add_nc_u64 s[20:21], s[20:21], s[12:13]
	v_add_co_u32 v1, vcc_lo, v1, s23
	s_wait_alu 0xfffe
	v_cmp_lt_i64_e64 s2, s[20:21], s[14:15]
	s_wait_alu 0xfffd
	v_add_co_ci_u32_e64 v2, null, 0, v2, vcc_lo
	v_add_co_u32 v3, vcc_lo, v3, s23
	s_wait_alu 0xfffd
	v_add_co_ci_u32_e64 v4, null, 0, v4, vcc_lo
	s_and_b32 vcc_lo, exec_lo, s2
	s_wait_alu 0xfffe
	s_cbranch_vccz .LBB26_20
.LBB26_4:                               ; =>This Inner Loop Header: Depth=1
	s_wait_loadcnt 0x0
	s_wait_alu 0xfffe
	v_add_co_u32 v11, s2, v0, s20
	s_wait_alu 0xf1ff
	v_add_co_ci_u32_e64 v12, null, 0, s21, s2
	s_delay_alu instid0(VALU_DEP_1)
	v_cmp_gt_u64_e32 vcc_lo, s[16:17], v[11:12]
	v_mov_b32_e32 v11, 0
	s_and_saveexec_b32 s2, vcc_lo
	s_cbranch_execz .LBB26_6
; %bb.5:                                ;   in Loop: Header=BB26_4 Depth=1
	global_load_b32 v11, v[1:2], off
.LBB26_6:                               ;   in Loop: Header=BB26_4 Depth=1
	s_wait_alu 0xfffe
	s_or_b32 exec_lo, exec_lo, s2
	v_add_co_u32 v12, s2, v5, s20
	s_wait_alu 0xf1ff
	v_add_co_ci_u32_e64 v13, null, s21, v8, s2
	s_delay_alu instid0(VALU_DEP_1)
	v_cmp_gt_u64_e64 s2, s[16:17], v[12:13]
	v_dual_mov_b32 v12, 0 :: v_dual_mov_b32 v13, 0
	s_and_saveexec_b32 s3, s2
	s_cbranch_execz .LBB26_8
; %bb.7:                                ;   in Loop: Header=BB26_4 Depth=1
	global_load_b32 v13, v[3:4], off
.LBB26_8:                               ;   in Loop: Header=BB26_4 Depth=1
	s_wait_alu 0xfffe
	s_or_b32 exec_lo, exec_lo, s3
	v_add_co_u32 v14, s3, v9, s20
	s_wait_alu 0xf1ff
	v_add_co_ci_u32_e64 v15, null, s21, v10, s3
	s_delay_alu instid0(VALU_DEP_1)
	v_cmp_gt_u64_e64 s3, s[16:17], v[14:15]
	s_and_saveexec_b32 s5, s3
	s_cbranch_execz .LBB26_10
; %bb.9:                                ;   in Loop: Header=BB26_4 Depth=1
	v_add_co_u32 v14, s4, v1, s24
	s_wait_alu 0xf1ff
	v_add_co_ci_u32_e64 v15, null, 0, v2, s4
	global_load_b32 v12, v[14:15], off
.LBB26_10:                              ;   in Loop: Header=BB26_4 Depth=1
	s_wait_alu 0xfffe
	s_or_b32 exec_lo, exec_lo, s5
	v_add_co_u32 v14, s4, v6, s20
	s_wait_alu 0xf1ff
	v_add_co_ci_u32_e64 v15, null, s21, v7, s4
	s_delay_alu instid0(VALU_DEP_1)
	v_cmp_gt_u64_e64 s4, s[16:17], v[14:15]
	v_mov_b32_e32 v14, 0
	s_and_saveexec_b32 s25, s4
	s_cbranch_execnz .LBB26_15
; %bb.11:                               ;   in Loop: Header=BB26_4 Depth=1
	s_wait_alu 0xfffe
	s_or_b32 exec_lo, exec_lo, s25
	s_and_saveexec_b32 s5, vcc_lo
	s_cbranch_execnz .LBB26_16
.LBB26_12:                              ;   in Loop: Header=BB26_4 Depth=1
	s_wait_alu 0xfffe
	s_or_b32 exec_lo, exec_lo, s5
	s_and_saveexec_b32 s5, s2
	s_cbranch_execnz .LBB26_17
.LBB26_13:                              ;   in Loop: Header=BB26_4 Depth=1
	s_wait_alu 0xfffe
	s_or_b32 exec_lo, exec_lo, s5
	s_and_saveexec_b32 s2, s3
	s_cbranch_execnz .LBB26_18
.LBB26_14:                              ;   in Loop: Header=BB26_4 Depth=1
	s_wait_alu 0xfffe
	s_or_b32 exec_lo, exec_lo, s2
	s_and_saveexec_b32 s2, s4
	s_cbranch_execz .LBB26_3
	s_branch .LBB26_19
.LBB26_15:                              ;   in Loop: Header=BB26_4 Depth=1
	v_add_co_u32 v14, s5, v1, s18
	s_wait_alu 0xf1ff
	v_add_co_ci_u32_e64 v15, null, s19, v2, s5
	global_load_b32 v14, v[14:15], off
	s_wait_alu 0xfffe
	s_or_b32 exec_lo, exec_lo, s25
	s_and_saveexec_b32 s5, vcc_lo
	s_cbranch_execz .LBB26_12
.LBB26_16:                              ;   in Loop: Header=BB26_4 Depth=1
	s_wait_loadcnt 0x0
	v_mul_lo_u32 v11, v11, s22
	global_store_b32 v[1:2], v11, off
	s_wait_alu 0xfffe
	s_or_b32 exec_lo, exec_lo, s5
	s_and_saveexec_b32 s5, s2
	s_cbranch_execz .LBB26_13
.LBB26_17:                              ;   in Loop: Header=BB26_4 Depth=1
	s_wait_loadcnt 0x0
	v_mul_lo_u32 v11, v13, s22
	global_store_b32 v[3:4], v11, off
	s_wait_alu 0xfffe
	s_or_b32 exec_lo, exec_lo, s5
	s_and_saveexec_b32 s2, s3
	s_cbranch_execz .LBB26_14
.LBB26_18:                              ;   in Loop: Header=BB26_4 Depth=1
	s_wait_loadcnt 0x0
	v_mul_lo_u32 v13, v12, s22
	v_add_co_u32 v11, vcc_lo, v1, s24
	s_wait_alu 0xfffd
	v_add_co_ci_u32_e64 v12, null, 0, v2, vcc_lo
	global_store_b32 v[11:12], v13, off
	s_wait_alu 0xfffe
	s_or_b32 exec_lo, exec_lo, s2
	s_and_saveexec_b32 s2, s4
	s_cbranch_execz .LBB26_3
.LBB26_19:                              ;   in Loop: Header=BB26_4 Depth=1
	s_wait_loadcnt 0x0
	v_mul_lo_u32 v13, v14, s22
	v_add_co_u32 v11, vcc_lo, v1, s18
	s_wait_alu 0xfffd
	v_add_co_ci_u32_e64 v12, null, s19, v2, vcc_lo
	global_store_b32 v[11:12], v13, off
	s_branch .LBB26_3
.LBB26_20:
	s_cbranch_execz .LBB26_22
	s_branch .LBB26_25
.LBB26_21:
.LBB26_22:
	v_cmp_gt_i64_e64 s2, 0x10000, s[10:11]
	v_dual_mov_b32 v2, 0 :: v_dual_lshlrev_b32 v1, 2, v0
	s_mov_b32 s4, 0
	s_mov_b32 s5, exec_lo
	s_and_b32 s2, s2, exec_lo
	s_cselect_b32 s3, s11, 0
	s_cselect_b32 s2, s10, 0x10000
	s_wait_alu 0xfffe
	v_cmpx_gt_i64_e64 s[2:3], v[1:2]
	s_cbranch_execz .LBB26_25
; %bb.23:
	s_load_b32 s5, s[0:1], 0xd3c
	v_lshlrev_b32_e32 v1, 4, v0
	s_add_nc_u64 s[0:1], s[6:7], s[8:9]
	s_delay_alu instid0(VALU_DEP_1) | instid1(SALU_CYCLE_1)
	v_add_co_u32 v3, s0, s0, v1
	s_wait_alu 0xf1ff
	v_add_co_ci_u32_e64 v4, null, s1, 0, s0
	v_mov_b32_e32 v1, v2
	s_delay_alu instid0(VALU_DEP_3) | instskip(SKIP_1) | instid1(VALU_DEP_3)
	v_add_co_u32 v2, vcc_lo, v3, 8
	s_wait_alu 0xfffd
	v_add_co_ci_u32_e64 v3, null, 0, v4, vcc_lo
	s_wait_kmcnt 0x0
	s_and_b32 s1, s5, 0xffff
	s_wait_alu 0xfffe
	s_lshl_b32 s5, s1, 4
.LBB26_24:                              ; =>This Inner Loop Header: Depth=1
	global_load_b128 v[4:7], v[2:3], off offset:-8
	v_add_co_u32 v0, vcc_lo, v0, s1
	s_wait_alu 0xfffd
	v_add_co_ci_u32_e64 v1, null, 0, v1, vcc_lo
	s_delay_alu instid0(VALU_DEP_1) | instskip(NEXT) | instid1(VALU_DEP_1)
	v_lshlrev_b64_e32 v[8:9], 2, v[0:1]
	v_cmp_le_i64_e32 vcc_lo, s[2:3], v[8:9]
	s_or_b32 s4, vcc_lo, s4
	s_wait_loadcnt 0x0
	v_mul_lo_u32 v4, v4, s22
	v_mul_lo_u32 v5, v5, s22
	v_mul_lo_u32 v6, v6, s22
	v_mul_lo_u32 v7, v7, s22
	global_store_b128 v[2:3], v[4:7], off offset:-8
	s_wait_alu 0xfffe
	v_add_co_u32 v2, s0, v2, s5
	s_wait_alu 0xf1ff
	v_add_co_ci_u32_e64 v3, null, 0, v3, s0
	s_and_not1_b32 exec_lo, exec_lo, s4
	s_cbranch_execnz .LBB26_24
.LBB26_25:
	s_endpgm
	.section	.rodata,"a",@progbits
	.p2align	6, 0x0
	.amdhsa_kernel _ZN2at6native12_GLOBAL__N_125multi_tensor_apply_kernelINS1_18TensorListMetadataILi1EEENS1_21BinaryOpScalarFunctorIiLi1ELi1ELi0EEEJSt10multipliesIiEiEEEvT_T0_DpT1_
		.amdhsa_group_segment_fixed_size 0
		.amdhsa_private_segment_fixed_size 0
		.amdhsa_kernarg_size 3632
		.amdhsa_user_sgpr_count 2
		.amdhsa_user_sgpr_dispatch_ptr 0
		.amdhsa_user_sgpr_queue_ptr 0
		.amdhsa_user_sgpr_kernarg_segment_ptr 1
		.amdhsa_user_sgpr_dispatch_id 0
		.amdhsa_user_sgpr_private_segment_size 0
		.amdhsa_wavefront_size32 1
		.amdhsa_uses_dynamic_stack 0
		.amdhsa_enable_private_segment 0
		.amdhsa_system_sgpr_workgroup_id_x 1
		.amdhsa_system_sgpr_workgroup_id_y 0
		.amdhsa_system_sgpr_workgroup_id_z 0
		.amdhsa_system_sgpr_workgroup_info 0
		.amdhsa_system_vgpr_workitem_id 0
		.amdhsa_next_free_vgpr 16
		.amdhsa_next_free_sgpr 26
		.amdhsa_reserve_vcc 1
		.amdhsa_float_round_mode_32 0
		.amdhsa_float_round_mode_16_64 0
		.amdhsa_float_denorm_mode_32 3
		.amdhsa_float_denorm_mode_16_64 3
		.amdhsa_fp16_overflow 0
		.amdhsa_workgroup_processor_mode 1
		.amdhsa_memory_ordered 1
		.amdhsa_forward_progress 1
		.amdhsa_inst_pref_size 11
		.amdhsa_round_robin_scheduling 0
		.amdhsa_exception_fp_ieee_invalid_op 0
		.amdhsa_exception_fp_denorm_src 0
		.amdhsa_exception_fp_ieee_div_zero 0
		.amdhsa_exception_fp_ieee_overflow 0
		.amdhsa_exception_fp_ieee_underflow 0
		.amdhsa_exception_fp_ieee_inexact 0
		.amdhsa_exception_int_div_zero 0
	.end_amdhsa_kernel
	.section	.text._ZN2at6native12_GLOBAL__N_125multi_tensor_apply_kernelINS1_18TensorListMetadataILi1EEENS1_21BinaryOpScalarFunctorIiLi1ELi1ELi0EEEJSt10multipliesIiEiEEEvT_T0_DpT1_,"axG",@progbits,_ZN2at6native12_GLOBAL__N_125multi_tensor_apply_kernelINS1_18TensorListMetadataILi1EEENS1_21BinaryOpScalarFunctorIiLi1ELi1ELi0EEEJSt10multipliesIiEiEEEvT_T0_DpT1_,comdat
.Lfunc_end26:
	.size	_ZN2at6native12_GLOBAL__N_125multi_tensor_apply_kernelINS1_18TensorListMetadataILi1EEENS1_21BinaryOpScalarFunctorIiLi1ELi1ELi0EEEJSt10multipliesIiEiEEEvT_T0_DpT1_, .Lfunc_end26-_ZN2at6native12_GLOBAL__N_125multi_tensor_apply_kernelINS1_18TensorListMetadataILi1EEENS1_21BinaryOpScalarFunctorIiLi1ELi1ELi0EEEJSt10multipliesIiEiEEEvT_T0_DpT1_
                                        ; -- End function
	.set _ZN2at6native12_GLOBAL__N_125multi_tensor_apply_kernelINS1_18TensorListMetadataILi1EEENS1_21BinaryOpScalarFunctorIiLi1ELi1ELi0EEEJSt10multipliesIiEiEEEvT_T0_DpT1_.num_vgpr, 16
	.set _ZN2at6native12_GLOBAL__N_125multi_tensor_apply_kernelINS1_18TensorListMetadataILi1EEENS1_21BinaryOpScalarFunctorIiLi1ELi1ELi0EEEJSt10multipliesIiEiEEEvT_T0_DpT1_.num_agpr, 0
	.set _ZN2at6native12_GLOBAL__N_125multi_tensor_apply_kernelINS1_18TensorListMetadataILi1EEENS1_21BinaryOpScalarFunctorIiLi1ELi1ELi0EEEJSt10multipliesIiEiEEEvT_T0_DpT1_.numbered_sgpr, 26
	.set _ZN2at6native12_GLOBAL__N_125multi_tensor_apply_kernelINS1_18TensorListMetadataILi1EEENS1_21BinaryOpScalarFunctorIiLi1ELi1ELi0EEEJSt10multipliesIiEiEEEvT_T0_DpT1_.num_named_barrier, 0
	.set _ZN2at6native12_GLOBAL__N_125multi_tensor_apply_kernelINS1_18TensorListMetadataILi1EEENS1_21BinaryOpScalarFunctorIiLi1ELi1ELi0EEEJSt10multipliesIiEiEEEvT_T0_DpT1_.private_seg_size, 0
	.set _ZN2at6native12_GLOBAL__N_125multi_tensor_apply_kernelINS1_18TensorListMetadataILi1EEENS1_21BinaryOpScalarFunctorIiLi1ELi1ELi0EEEJSt10multipliesIiEiEEEvT_T0_DpT1_.uses_vcc, 1
	.set _ZN2at6native12_GLOBAL__N_125multi_tensor_apply_kernelINS1_18TensorListMetadataILi1EEENS1_21BinaryOpScalarFunctorIiLi1ELi1ELi0EEEJSt10multipliesIiEiEEEvT_T0_DpT1_.uses_flat_scratch, 0
	.set _ZN2at6native12_GLOBAL__N_125multi_tensor_apply_kernelINS1_18TensorListMetadataILi1EEENS1_21BinaryOpScalarFunctorIiLi1ELi1ELi0EEEJSt10multipliesIiEiEEEvT_T0_DpT1_.has_dyn_sized_stack, 0
	.set _ZN2at6native12_GLOBAL__N_125multi_tensor_apply_kernelINS1_18TensorListMetadataILi1EEENS1_21BinaryOpScalarFunctorIiLi1ELi1ELi0EEEJSt10multipliesIiEiEEEvT_T0_DpT1_.has_recursion, 0
	.set _ZN2at6native12_GLOBAL__N_125multi_tensor_apply_kernelINS1_18TensorListMetadataILi1EEENS1_21BinaryOpScalarFunctorIiLi1ELi1ELi0EEEJSt10multipliesIiEiEEEvT_T0_DpT1_.has_indirect_call, 0
	.section	.AMDGPU.csdata,"",@progbits
; Kernel info:
; codeLenInByte = 1288
; TotalNumSgprs: 28
; NumVgprs: 16
; ScratchSize: 0
; MemoryBound: 0
; FloatMode: 240
; IeeeMode: 1
; LDSByteSize: 0 bytes/workgroup (compile time only)
; SGPRBlocks: 0
; VGPRBlocks: 1
; NumSGPRsForWavesPerEU: 28
; NumVGPRsForWavesPerEU: 16
; Occupancy: 16
; WaveLimiterHint : 0
; COMPUTE_PGM_RSRC2:SCRATCH_EN: 0
; COMPUTE_PGM_RSRC2:USER_SGPR: 2
; COMPUTE_PGM_RSRC2:TRAP_HANDLER: 0
; COMPUTE_PGM_RSRC2:TGID_X_EN: 1
; COMPUTE_PGM_RSRC2:TGID_Y_EN: 0
; COMPUTE_PGM_RSRC2:TGID_Z_EN: 0
; COMPUTE_PGM_RSRC2:TIDIG_COMP_CNT: 0
	.section	.text._ZN2at6native12_GLOBAL__N_125multi_tensor_apply_kernelINS1_18TensorListMetadataILi1EEENS1_21BinaryOpScalarFunctorIlLi1ELi1ELi0EEEJSt10multipliesIlElEEEvT_T0_DpT1_,"axG",@progbits,_ZN2at6native12_GLOBAL__N_125multi_tensor_apply_kernelINS1_18TensorListMetadataILi1EEENS1_21BinaryOpScalarFunctorIlLi1ELi1ELi0EEEJSt10multipliesIlElEEEvT_T0_DpT1_,comdat
	.globl	_ZN2at6native12_GLOBAL__N_125multi_tensor_apply_kernelINS1_18TensorListMetadataILi1EEENS1_21BinaryOpScalarFunctorIlLi1ELi1ELi0EEEJSt10multipliesIlElEEEvT_T0_DpT1_ ; -- Begin function _ZN2at6native12_GLOBAL__N_125multi_tensor_apply_kernelINS1_18TensorListMetadataILi1EEENS1_21BinaryOpScalarFunctorIlLi1ELi1ELi0EEEJSt10multipliesIlElEEEvT_T0_DpT1_
	.p2align	8
	.type	_ZN2at6native12_GLOBAL__N_125multi_tensor_apply_kernelINS1_18TensorListMetadataILi1EEENS1_21BinaryOpScalarFunctorIlLi1ELi1ELi0EEEJSt10multipliesIlElEEEvT_T0_DpT1_,@function
_ZN2at6native12_GLOBAL__N_125multi_tensor_apply_kernelINS1_18TensorListMetadataILi1EEENS1_21BinaryOpScalarFunctorIlLi1ELi1ELi0EEEJSt10multipliesIlElEEEvT_T0_DpT1_: ; @_ZN2at6native12_GLOBAL__N_125multi_tensor_apply_kernelINS1_18TensorListMetadataILi1EEENS1_21BinaryOpScalarFunctorIlLi1ELi1ELi0EEEJSt10multipliesIlElEEEvT_T0_DpT1_
; %bb.0:
	s_load_u8 s8, s[0:1], ttmp9 offset:0x6e0
	s_mov_b32 s2, ttmp9
	s_mov_b32 s3, 0
	s_delay_alu instid0(SALU_CYCLE_1)
	s_mul_u64 s[4:5], s[2:3], 3
	s_add_nc_u64 s[6:7], s[0:1], s[2:3]
	s_mov_b32 s15, s3
	s_add_nc_u64 s[4:5], s[6:7], s[4:5]
	s_load_b32 s4, s[4:5], 0x820
	s_wait_kmcnt 0x0
	s_lshl_b32 s2, s8, 3
	s_clause 0x2
	s_load_b64 s[8:9], s[0:1], s2 offset:0x0
	s_load_b64 s[12:13], s[0:1], s2 offset:0x370
	s_load_b64 s[6:7], s[0:1], 0xd30
	s_ashr_i32 s5, s4, 31
	s_delay_alu instid0(SALU_CYCLE_1)
	s_lshl_b64 s[10:11], s[4:5], 19
	s_lshl_b64 s[4:5], s[4:5], 16
	s_wait_kmcnt 0x0
	s_and_b32 s2, s8, 31
	s_and_b32 s14, s12, 3
	s_sub_nc_u64 s[12:13], s[12:13], s[4:5]
	s_or_b64 s[2:3], s[2:3], s[14:15]
	s_delay_alu instid0(SALU_CYCLE_1)
	s_cmp_eq_u64 s[2:3], 0
	s_cbranch_scc1 .LBB27_21
; %bb.1:
	v_cmp_lt_i64_e64 s2, s[12:13], 1
	s_and_b32 vcc_lo, exec_lo, s2
	s_cbranch_vccnz .LBB27_20
; %bb.2:
	s_load_b32 s2, s[0:1], 0xd44
	v_cmp_gt_i64_e64 s14, 0x10000, s[12:13]
	v_lshlrev_b32_e32 v1, 3, v0
	s_add_nc_u64 s[4:5], s[8:9], s[10:11]
	s_mov_b32 s3, 0
	v_cmp_gt_u64_e64 s18, 0x10000, s[12:13]
	s_mov_b32 s15, s3
	v_add_co_u32 v1, s16, s4, v1
	s_and_b32 s14, s14, exec_lo
	v_add_co_ci_u32_e64 v2, null, s5, 0, s16
	s_cselect_b32 s17, s13, 0
	s_cselect_b32 s16, s12, 0x10000
	s_wait_kmcnt 0x0
	s_and_b32 s2, s2, 0xffff
	s_and_b32 s14, s18, exec_lo
	s_mul_u64 s[20:21], s[2:3], 24
	v_add_co_u32 v13, s3, v0, s2
	s_cselect_b32 s19, s13, 0
	s_cselect_b32 s18, s12, 0x10000
	s_lshl_b32 s22, s2, 1
	v_lshlrev_b32_e32 v3, 3, v13
	s_mul_i32 s23, s2, 3
	v_add_co_ci_u32_e64 v16, null, 0, 0, s3
	v_add_co_u32 v17, s3, s22, v0
	v_add_co_u32 v14, s23, s23, v0
	s_wait_alu 0xf1ff
	v_add_co_ci_u32_e64 v18, null, 0, 0, s3
	v_add_co_u32 v3, s3, s4, v3
	v_add_co_ci_u32_e64 v15, null, 0, 0, s23
	s_wait_alu 0xf1ff
	v_add_co_ci_u32_e64 v4, null, s5, 0, s3
	s_lshl_b32 s14, s2, 2
	s_lshl_b32 s24, s2, 5
	s_lshl_b32 s25, s2, 4
	s_mov_b64 s[22:23], 0
	s_branch .LBB27_4
.LBB27_3:                               ;   in Loop: Header=BB27_4 Depth=1
	s_wait_alu 0xfffe
	s_or_b32 exec_lo, exec_lo, s2
	s_add_nc_u64 s[22:23], s[22:23], s[14:15]
	v_add_co_u32 v1, vcc_lo, v1, s24
	s_wait_alu 0xfffe
	v_cmp_lt_i64_e64 s2, s[22:23], s[16:17]
	s_wait_alu 0xfffd
	v_add_co_ci_u32_e64 v2, null, 0, v2, vcc_lo
	v_add_co_u32 v3, vcc_lo, v3, s24
	s_wait_alu 0xfffd
	v_add_co_ci_u32_e64 v4, null, 0, v4, vcc_lo
	s_and_b32 vcc_lo, exec_lo, s2
	s_wait_alu 0xfffe
	s_cbranch_vccz .LBB27_20
.LBB27_4:                               ; =>This Inner Loop Header: Depth=1
	s_wait_loadcnt 0x0
	s_wait_alu 0xfffe
	v_add_co_u32 v7, s2, v0, s22
	s_wait_alu 0xf1ff
	v_add_co_ci_u32_e64 v8, null, 0, s23, s2
	v_mov_b32_e32 v5, 0
	v_dual_mov_b32 v6, 0 :: v_dual_mov_b32 v9, 0
	s_delay_alu instid0(VALU_DEP_3)
	v_cmp_gt_u64_e32 vcc_lo, s[18:19], v[7:8]
	v_mov_b32_e32 v10, 0
	s_and_saveexec_b32 s2, vcc_lo
	s_cbranch_execz .LBB27_6
; %bb.5:                                ;   in Loop: Header=BB27_4 Depth=1
	global_load_b64 v[9:10], v[1:2], off
.LBB27_6:                               ;   in Loop: Header=BB27_4 Depth=1
	s_wait_alu 0xfffe
	s_or_b32 exec_lo, exec_lo, s2
	v_add_co_u32 v7, s2, v13, s22
	s_wait_alu 0xf1ff
	v_add_co_ci_u32_e64 v8, null, s23, v16, s2
	s_delay_alu instid0(VALU_DEP_1)
	v_cmp_gt_u64_e64 s2, s[18:19], v[7:8]
	s_and_saveexec_b32 s3, s2
	s_cbranch_execz .LBB27_8
; %bb.7:                                ;   in Loop: Header=BB27_4 Depth=1
	global_load_b64 v[5:6], v[3:4], off
.LBB27_8:                               ;   in Loop: Header=BB27_4 Depth=1
	s_wait_alu 0xfffe
	s_or_b32 exec_lo, exec_lo, s3
	v_add_co_u32 v11, s3, v17, s22
	s_wait_alu 0xf1ff
	v_add_co_ci_u32_e64 v12, null, s23, v18, s3
	v_mov_b32_e32 v7, 0
	v_mov_b32_e32 v8, 0
	s_delay_alu instid0(VALU_DEP_3)
	v_cmp_gt_u64_e64 s3, s[18:19], v[11:12]
	v_mov_b32_e32 v11, 0
	v_mov_b32_e32 v12, 0
	s_and_saveexec_b32 s5, s3
	s_cbranch_execz .LBB27_10
; %bb.9:                                ;   in Loop: Header=BB27_4 Depth=1
	v_add_co_u32 v11, s4, v1, s25
	s_wait_alu 0xf1ff
	v_add_co_ci_u32_e64 v12, null, 0, v2, s4
	global_load_b64 v[11:12], v[11:12], off
.LBB27_10:                              ;   in Loop: Header=BB27_4 Depth=1
	s_wait_alu 0xfffe
	s_or_b32 exec_lo, exec_lo, s5
	v_add_co_u32 v19, s4, v14, s22
	s_wait_alu 0xf1ff
	v_add_co_ci_u32_e64 v20, null, s23, v15, s4
	s_delay_alu instid0(VALU_DEP_1)
	v_cmp_gt_u64_e64 s4, s[18:19], v[19:20]
	s_and_saveexec_b32 s26, s4
	s_cbranch_execnz .LBB27_15
; %bb.11:                               ;   in Loop: Header=BB27_4 Depth=1
	s_or_b32 exec_lo, exec_lo, s26
	s_and_saveexec_b32 s5, vcc_lo
	s_cbranch_execnz .LBB27_16
.LBB27_12:                              ;   in Loop: Header=BB27_4 Depth=1
	s_wait_alu 0xfffe
	s_or_b32 exec_lo, exec_lo, s5
	s_and_saveexec_b32 s5, s2
	s_cbranch_execnz .LBB27_17
.LBB27_13:                              ;   in Loop: Header=BB27_4 Depth=1
	s_wait_alu 0xfffe
	s_or_b32 exec_lo, exec_lo, s5
	s_and_saveexec_b32 s2, s3
	s_cbranch_execnz .LBB27_18
.LBB27_14:                              ;   in Loop: Header=BB27_4 Depth=1
	s_wait_alu 0xfffe
	s_or_b32 exec_lo, exec_lo, s2
	s_and_saveexec_b32 s2, s4
	s_cbranch_execz .LBB27_3
	s_branch .LBB27_19
.LBB27_15:                              ;   in Loop: Header=BB27_4 Depth=1
	v_add_co_u32 v7, s5, v1, s20
	s_wait_alu 0xf1ff
	v_add_co_ci_u32_e64 v8, null, s21, v2, s5
	global_load_b64 v[7:8], v[7:8], off
	s_or_b32 exec_lo, exec_lo, s26
	s_and_saveexec_b32 s5, vcc_lo
	s_cbranch_execz .LBB27_12
.LBB27_16:                              ;   in Loop: Header=BB27_4 Depth=1
	s_wait_loadcnt 0x0
	v_mul_lo_u32 v19, v10, s6
	v_mul_lo_u32 v20, v9, s7
	v_mad_co_u64_u32 v[9:10], null, v9, s6, 0
	s_delay_alu instid0(VALU_DEP_1)
	v_add3_u32 v10, v10, v20, v19
	global_store_b64 v[1:2], v[9:10], off
	s_wait_alu 0xfffe
	s_or_b32 exec_lo, exec_lo, s5
	s_and_saveexec_b32 s5, s2
	s_cbranch_execz .LBB27_13
.LBB27_17:                              ;   in Loop: Header=BB27_4 Depth=1
	s_wait_loadcnt 0x0
	v_mul_lo_u32 v9, v6, s6
	v_mul_lo_u32 v10, v5, s7
	v_mad_co_u64_u32 v[5:6], null, v5, s6, 0
	s_delay_alu instid0(VALU_DEP_1)
	v_add3_u32 v6, v6, v10, v9
	global_store_b64 v[3:4], v[5:6], off
	s_wait_alu 0xfffe
	s_or_b32 exec_lo, exec_lo, s5
	s_and_saveexec_b32 s2, s3
	s_cbranch_execz .LBB27_14
.LBB27_18:                              ;   in Loop: Header=BB27_4 Depth=1
	s_wait_loadcnt 0x0
	v_mul_lo_u32 v9, v12, s6
	v_mul_lo_u32 v10, v11, s7
	v_mad_co_u64_u32 v[5:6], null, v11, s6, 0
	s_delay_alu instid0(VALU_DEP_1)
	v_add3_u32 v6, v6, v10, v9
	v_add_co_u32 v9, vcc_lo, v1, s25
	s_wait_alu 0xfffd
	v_add_co_ci_u32_e64 v10, null, 0, v2, vcc_lo
	global_store_b64 v[9:10], v[5:6], off
	s_wait_alu 0xfffe
	s_or_b32 exec_lo, exec_lo, s2
	s_and_saveexec_b32 s2, s4
	s_cbranch_execz .LBB27_3
.LBB27_19:                              ;   in Loop: Header=BB27_4 Depth=1
	s_wait_loadcnt 0x0
	v_mul_lo_u32 v8, v8, s6
	v_mul_lo_u32 v9, v7, s7
	v_mad_co_u64_u32 v[5:6], null, v7, s6, 0
	v_add_co_u32 v7, vcc_lo, v1, s20
	s_delay_alu instid0(VALU_DEP_2)
	v_add3_u32 v6, v6, v9, v8
	s_wait_alu 0xfffd
	v_add_co_ci_u32_e64 v8, null, s21, v2, vcc_lo
	global_store_b64 v[7:8], v[5:6], off
	s_branch .LBB27_3
.LBB27_20:
	s_cbranch_execz .LBB27_22
	s_branch .LBB27_25
.LBB27_21:
.LBB27_22:
	v_cmp_gt_i64_e64 s2, 0x10000, s[12:13]
	v_dual_mov_b32 v2, 0 :: v_dual_lshlrev_b32 v1, 2, v0
	s_mov_b32 s4, 0
	s_mov_b32 s5, exec_lo
	s_and_b32 s2, s2, exec_lo
	s_cselect_b32 s3, s13, 0
	s_cselect_b32 s2, s12, 0x10000
	s_wait_alu 0xfffe
	v_cmpx_gt_i64_e64 s[2:3], v[1:2]
	s_cbranch_execz .LBB27_25
; %bb.23:
	s_load_b32 s5, s[0:1], 0xd44
	v_lshlrev_b32_e32 v1, 5, v0
	s_add_nc_u64 s[0:1], s[8:9], s[10:11]
	s_delay_alu instid0(VALU_DEP_1) | instid1(SALU_CYCLE_1)
	v_add_co_u32 v3, s0, s0, v1
	s_wait_alu 0xf1ff
	v_add_co_ci_u32_e64 v4, null, s1, 0, s0
	v_mov_b32_e32 v1, v2
	s_delay_alu instid0(VALU_DEP_3) | instskip(SKIP_1) | instid1(VALU_DEP_3)
	v_add_co_u32 v2, vcc_lo, v3, 16
	s_wait_alu 0xfffd
	v_add_co_ci_u32_e64 v3, null, 0, v4, vcc_lo
	s_wait_kmcnt 0x0
	s_and_b32 s1, s5, 0xffff
	s_wait_alu 0xfffe
	s_lshl_b32 s5, s1, 5
.LBB27_24:                              ; =>This Inner Loop Header: Depth=1
	s_wait_loadcnt 0x0
	s_clause 0x1
	global_load_b128 v[4:7], v[2:3], off offset:-16
	global_load_b128 v[8:11], v[2:3], off
	v_add_co_u32 v0, vcc_lo, v0, s1
	s_wait_alu 0xfffd
	v_add_co_ci_u32_e64 v1, null, 0, v1, vcc_lo
	s_delay_alu instid0(VALU_DEP_1) | instskip(NEXT) | instid1(VALU_DEP_1)
	v_lshlrev_b64_e32 v[12:13], 2, v[0:1]
	v_cmp_le_i64_e32 vcc_lo, s[2:3], v[12:13]
	s_or_b32 s4, vcc_lo, s4
	s_wait_loadcnt 0x1
	v_mul_lo_u32 v14, v5, s6
	v_mul_lo_u32 v15, v4, s7
	v_mad_co_u64_u32 v[4:5], null, v4, s6, 0
	v_mul_lo_u32 v16, v7, s6
	v_mul_lo_u32 v17, v6, s7
	v_mad_co_u64_u32 v[6:7], null, v6, s6, 0
	s_wait_loadcnt 0x0
	v_mul_lo_u32 v18, v9, s6
	v_mul_lo_u32 v19, v8, s7
	v_mad_co_u64_u32 v[8:9], null, v8, s6, 0
	v_mul_lo_u32 v20, v11, s6
	v_mul_lo_u32 v21, v10, s7
	v_mad_co_u64_u32 v[10:11], null, v10, s6, 0
	v_add3_u32 v5, v5, v15, v14
	v_add3_u32 v7, v7, v17, v16
	v_add3_u32 v9, v9, v19, v18
	s_delay_alu instid0(VALU_DEP_4)
	v_add3_u32 v11, v11, v21, v20
	s_clause 0x1
	global_store_b128 v[2:3], v[4:7], off offset:-16
	global_store_b128 v[2:3], v[8:11], off
	s_wait_alu 0xfffe
	v_add_co_u32 v2, s0, v2, s5
	s_wait_alu 0xf1ff
	v_add_co_ci_u32_e64 v3, null, 0, v3, s0
	s_and_not1_b32 exec_lo, exec_lo, s4
	s_cbranch_execnz .LBB27_24
.LBB27_25:
	s_endpgm
	.section	.rodata,"a",@progbits
	.p2align	6, 0x0
	.amdhsa_kernel _ZN2at6native12_GLOBAL__N_125multi_tensor_apply_kernelINS1_18TensorListMetadataILi1EEENS1_21BinaryOpScalarFunctorIlLi1ELi1ELi0EEEJSt10multipliesIlElEEEvT_T0_DpT1_
		.amdhsa_group_segment_fixed_size 0
		.amdhsa_private_segment_fixed_size 0
		.amdhsa_kernarg_size 3640
		.amdhsa_user_sgpr_count 2
		.amdhsa_user_sgpr_dispatch_ptr 0
		.amdhsa_user_sgpr_queue_ptr 0
		.amdhsa_user_sgpr_kernarg_segment_ptr 1
		.amdhsa_user_sgpr_dispatch_id 0
		.amdhsa_user_sgpr_private_segment_size 0
		.amdhsa_wavefront_size32 1
		.amdhsa_uses_dynamic_stack 0
		.amdhsa_enable_private_segment 0
		.amdhsa_system_sgpr_workgroup_id_x 1
		.amdhsa_system_sgpr_workgroup_id_y 0
		.amdhsa_system_sgpr_workgroup_id_z 0
		.amdhsa_system_sgpr_workgroup_info 0
		.amdhsa_system_vgpr_workitem_id 0
		.amdhsa_next_free_vgpr 22
		.amdhsa_next_free_sgpr 27
		.amdhsa_reserve_vcc 1
		.amdhsa_float_round_mode_32 0
		.amdhsa_float_round_mode_16_64 0
		.amdhsa_float_denorm_mode_32 3
		.amdhsa_float_denorm_mode_16_64 3
		.amdhsa_fp16_overflow 0
		.amdhsa_workgroup_processor_mode 1
		.amdhsa_memory_ordered 1
		.amdhsa_forward_progress 1
		.amdhsa_inst_pref_size 13
		.amdhsa_round_robin_scheduling 0
		.amdhsa_exception_fp_ieee_invalid_op 0
		.amdhsa_exception_fp_denorm_src 0
		.amdhsa_exception_fp_ieee_div_zero 0
		.amdhsa_exception_fp_ieee_overflow 0
		.amdhsa_exception_fp_ieee_underflow 0
		.amdhsa_exception_fp_ieee_inexact 0
		.amdhsa_exception_int_div_zero 0
	.end_amdhsa_kernel
	.section	.text._ZN2at6native12_GLOBAL__N_125multi_tensor_apply_kernelINS1_18TensorListMetadataILi1EEENS1_21BinaryOpScalarFunctorIlLi1ELi1ELi0EEEJSt10multipliesIlElEEEvT_T0_DpT1_,"axG",@progbits,_ZN2at6native12_GLOBAL__N_125multi_tensor_apply_kernelINS1_18TensorListMetadataILi1EEENS1_21BinaryOpScalarFunctorIlLi1ELi1ELi0EEEJSt10multipliesIlElEEEvT_T0_DpT1_,comdat
.Lfunc_end27:
	.size	_ZN2at6native12_GLOBAL__N_125multi_tensor_apply_kernelINS1_18TensorListMetadataILi1EEENS1_21BinaryOpScalarFunctorIlLi1ELi1ELi0EEEJSt10multipliesIlElEEEvT_T0_DpT1_, .Lfunc_end27-_ZN2at6native12_GLOBAL__N_125multi_tensor_apply_kernelINS1_18TensorListMetadataILi1EEENS1_21BinaryOpScalarFunctorIlLi1ELi1ELi0EEEJSt10multipliesIlElEEEvT_T0_DpT1_
                                        ; -- End function
	.set _ZN2at6native12_GLOBAL__N_125multi_tensor_apply_kernelINS1_18TensorListMetadataILi1EEENS1_21BinaryOpScalarFunctorIlLi1ELi1ELi0EEEJSt10multipliesIlElEEEvT_T0_DpT1_.num_vgpr, 22
	.set _ZN2at6native12_GLOBAL__N_125multi_tensor_apply_kernelINS1_18TensorListMetadataILi1EEENS1_21BinaryOpScalarFunctorIlLi1ELi1ELi0EEEJSt10multipliesIlElEEEvT_T0_DpT1_.num_agpr, 0
	.set _ZN2at6native12_GLOBAL__N_125multi_tensor_apply_kernelINS1_18TensorListMetadataILi1EEENS1_21BinaryOpScalarFunctorIlLi1ELi1ELi0EEEJSt10multipliesIlElEEEvT_T0_DpT1_.numbered_sgpr, 27
	.set _ZN2at6native12_GLOBAL__N_125multi_tensor_apply_kernelINS1_18TensorListMetadataILi1EEENS1_21BinaryOpScalarFunctorIlLi1ELi1ELi0EEEJSt10multipliesIlElEEEvT_T0_DpT1_.num_named_barrier, 0
	.set _ZN2at6native12_GLOBAL__N_125multi_tensor_apply_kernelINS1_18TensorListMetadataILi1EEENS1_21BinaryOpScalarFunctorIlLi1ELi1ELi0EEEJSt10multipliesIlElEEEvT_T0_DpT1_.private_seg_size, 0
	.set _ZN2at6native12_GLOBAL__N_125multi_tensor_apply_kernelINS1_18TensorListMetadataILi1EEENS1_21BinaryOpScalarFunctorIlLi1ELi1ELi0EEEJSt10multipliesIlElEEEvT_T0_DpT1_.uses_vcc, 1
	.set _ZN2at6native12_GLOBAL__N_125multi_tensor_apply_kernelINS1_18TensorListMetadataILi1EEENS1_21BinaryOpScalarFunctorIlLi1ELi1ELi0EEEJSt10multipliesIlElEEEvT_T0_DpT1_.uses_flat_scratch, 0
	.set _ZN2at6native12_GLOBAL__N_125multi_tensor_apply_kernelINS1_18TensorListMetadataILi1EEENS1_21BinaryOpScalarFunctorIlLi1ELi1ELi0EEEJSt10multipliesIlElEEEvT_T0_DpT1_.has_dyn_sized_stack, 0
	.set _ZN2at6native12_GLOBAL__N_125multi_tensor_apply_kernelINS1_18TensorListMetadataILi1EEENS1_21BinaryOpScalarFunctorIlLi1ELi1ELi0EEEJSt10multipliesIlElEEEvT_T0_DpT1_.has_recursion, 0
	.set _ZN2at6native12_GLOBAL__N_125multi_tensor_apply_kernelINS1_18TensorListMetadataILi1EEENS1_21BinaryOpScalarFunctorIlLi1ELi1ELi0EEEJSt10multipliesIlElEEEvT_T0_DpT1_.has_indirect_call, 0
	.section	.AMDGPU.csdata,"",@progbits
; Kernel info:
; codeLenInByte = 1548
; TotalNumSgprs: 29
; NumVgprs: 22
; ScratchSize: 0
; MemoryBound: 0
; FloatMode: 240
; IeeeMode: 1
; LDSByteSize: 0 bytes/workgroup (compile time only)
; SGPRBlocks: 0
; VGPRBlocks: 2
; NumSGPRsForWavesPerEU: 29
; NumVGPRsForWavesPerEU: 22
; Occupancy: 16
; WaveLimiterHint : 0
; COMPUTE_PGM_RSRC2:SCRATCH_EN: 0
; COMPUTE_PGM_RSRC2:USER_SGPR: 2
; COMPUTE_PGM_RSRC2:TRAP_HANDLER: 0
; COMPUTE_PGM_RSRC2:TGID_X_EN: 1
; COMPUTE_PGM_RSRC2:TGID_Y_EN: 0
; COMPUTE_PGM_RSRC2:TGID_Z_EN: 0
; COMPUTE_PGM_RSRC2:TIDIG_COMP_CNT: 0
	.section	.text._ZN2at6native12_GLOBAL__N_125multi_tensor_apply_kernelINS1_18TensorListMetadataILi1EEENS1_21BinaryOpScalarFunctorIsLi1ELi1ELi0EEEJSt10multipliesIsEsEEEvT_T0_DpT1_,"axG",@progbits,_ZN2at6native12_GLOBAL__N_125multi_tensor_apply_kernelINS1_18TensorListMetadataILi1EEENS1_21BinaryOpScalarFunctorIsLi1ELi1ELi0EEEJSt10multipliesIsEsEEEvT_T0_DpT1_,comdat
	.globl	_ZN2at6native12_GLOBAL__N_125multi_tensor_apply_kernelINS1_18TensorListMetadataILi1EEENS1_21BinaryOpScalarFunctorIsLi1ELi1ELi0EEEJSt10multipliesIsEsEEEvT_T0_DpT1_ ; -- Begin function _ZN2at6native12_GLOBAL__N_125multi_tensor_apply_kernelINS1_18TensorListMetadataILi1EEENS1_21BinaryOpScalarFunctorIsLi1ELi1ELi0EEEJSt10multipliesIsEsEEEvT_T0_DpT1_
	.p2align	8
	.type	_ZN2at6native12_GLOBAL__N_125multi_tensor_apply_kernelINS1_18TensorListMetadataILi1EEENS1_21BinaryOpScalarFunctorIsLi1ELi1ELi0EEEJSt10multipliesIsEsEEEvT_T0_DpT1_,@function
_ZN2at6native12_GLOBAL__N_125multi_tensor_apply_kernelINS1_18TensorListMetadataILi1EEENS1_21BinaryOpScalarFunctorIsLi1ELi1ELi0EEEJSt10multipliesIsEsEEEvT_T0_DpT1_: ; @_ZN2at6native12_GLOBAL__N_125multi_tensor_apply_kernelINS1_18TensorListMetadataILi1EEENS1_21BinaryOpScalarFunctorIsLi1ELi1ELi0EEEJSt10multipliesIsEsEEEvT_T0_DpT1_
; %bb.0:
	s_load_u8 s8, s[0:1], ttmp9 offset:0x6e0
	s_mov_b32 s2, ttmp9
	s_mov_b32 s3, 0
	s_delay_alu instid0(SALU_CYCLE_1)
	s_mul_u64 s[4:5], s[2:3], 3
	s_add_nc_u64 s[6:7], s[0:1], s[2:3]
	s_mov_b32 s13, s3
	s_add_nc_u64 s[4:5], s[6:7], s[4:5]
	s_load_b32 s4, s[4:5], 0x820
	s_wait_kmcnt 0x0
	s_lshl_b32 s2, s8, 3
	s_clause 0x2
	s_load_b32 s5, s[0:1], 0xd28
	s_load_b64 s[6:7], s[0:1], s2 offset:0x0
	s_load_b64 s[10:11], s[0:1], s2 offset:0x370
	s_wait_kmcnt 0x0
	s_lshr_b32 s22, s5, 16
	s_ashr_i32 s5, s4, 31
	s_and_b32 s2, s6, 7
	s_and_b32 s12, s10, 3
	s_lshl_b64 s[8:9], s[4:5], 17
	s_or_b64 s[2:3], s[2:3], s[12:13]
	s_lshl_b64 s[4:5], s[4:5], 16
	s_cmp_eq_u64 s[2:3], 0
	s_sub_nc_u64 s[10:11], s[10:11], s[4:5]
	s_cbranch_scc1 .LBB28_21
; %bb.1:
	v_cmp_lt_i64_e64 s2, s[10:11], 1
	s_and_b32 vcc_lo, exec_lo, s2
	s_cbranch_vccnz .LBB28_20
; %bb.2:
	s_load_b32 s2, s[0:1], 0xd3c
	v_cmp_gt_i64_e64 s12, 0x10000, s[10:11]
	v_lshlrev_b32_e32 v1, 1, v0
	s_add_nc_u64 s[4:5], s[6:7], s[8:9]
	v_cmp_gt_u64_e64 s14, 0x10000, s[10:11]
	s_mov_b32 s3, 0
	v_add_co_u32 v1, s13, s4, v1
	s_and_b32 s12, s12, exec_lo
	v_add_co_ci_u32_e64 v2, null, s5, 0, s13
	s_cselect_b32 s13, s11, 0
	s_cselect_b32 s12, s10, 0x10000
	s_wait_kmcnt 0x0
	s_and_b32 s2, s2, 0xffff
	s_and_b32 s14, s14, exec_lo
	v_add_co_u32 v5, s21, v0, s2
	s_cselect_b32 s15, s11, 0
	s_cselect_b32 s14, s10, 0x10000
	s_lshl_b32 s17, s2, 1
	v_lshlrev_b32_e32 v3, 1, v5
	s_mul_i32 s20, s2, 3
	v_add_co_u32 v9, s17, s17, v0
	v_add_co_u32 v6, s20, s20, v0
	s_delay_alu instid0(VALU_DEP_3)
	v_add_co_u32 v3, s4, s4, v3
	s_wait_alu 0xf1ff
	v_add_co_ci_u32_e64 v7, null, 0, 0, s20
	v_add_co_ci_u32_e64 v8, null, 0, 0, s21
	;; [unrolled: 1-line block ×4, first 2 shown]
	s_lshl_b32 s16, s2, 2
	s_mul_u64 s[18:19], s[2:3], 6
	s_mov_b32 s17, s3
	s_lshl_b32 s23, s2, 3
	s_mov_b64 s[20:21], 0
	s_branch .LBB28_4
.LBB28_3:                               ;   in Loop: Header=BB28_4 Depth=1
	s_wait_alu 0xfffe
	s_or_b32 exec_lo, exec_lo, s2
	s_add_nc_u64 s[20:21], s[20:21], s[16:17]
	v_add_co_u32 v1, vcc_lo, v1, s23
	s_wait_alu 0xfffe
	v_cmp_lt_i64_e64 s2, s[20:21], s[12:13]
	s_wait_alu 0xfffd
	v_add_co_ci_u32_e64 v2, null, 0, v2, vcc_lo
	v_add_co_u32 v3, vcc_lo, v3, s23
	s_wait_alu 0xfffd
	v_add_co_ci_u32_e64 v4, null, 0, v4, vcc_lo
	s_and_b32 vcc_lo, exec_lo, s2
	s_wait_alu 0xfffe
	s_cbranch_vccz .LBB28_20
.LBB28_4:                               ; =>This Inner Loop Header: Depth=1
	s_wait_loadcnt 0x0
	s_wait_alu 0xfffe
	v_add_co_u32 v11, s2, v0, s20
	s_wait_alu 0xf1ff
	v_add_co_ci_u32_e64 v12, null, 0, s21, s2
	s_delay_alu instid0(VALU_DEP_1)
	v_cmp_gt_u64_e32 vcc_lo, s[14:15], v[11:12]
	v_mov_b32_e32 v11, 0
	s_and_saveexec_b32 s2, vcc_lo
	s_cbranch_execz .LBB28_6
; %bb.5:                                ;   in Loop: Header=BB28_4 Depth=1
	global_load_u16 v11, v[1:2], off
.LBB28_6:                               ;   in Loop: Header=BB28_4 Depth=1
	s_wait_alu 0xfffe
	s_or_b32 exec_lo, exec_lo, s2
	v_add_co_u32 v12, s2, v5, s20
	s_wait_alu 0xf1ff
	v_add_co_ci_u32_e64 v13, null, s21, v8, s2
	s_delay_alu instid0(VALU_DEP_1)
	v_cmp_gt_u64_e64 s2, s[14:15], v[12:13]
	v_dual_mov_b32 v12, 0 :: v_dual_mov_b32 v13, 0
	s_and_saveexec_b32 s3, s2
	s_cbranch_execz .LBB28_8
; %bb.7:                                ;   in Loop: Header=BB28_4 Depth=1
	global_load_u16 v13, v[3:4], off
.LBB28_8:                               ;   in Loop: Header=BB28_4 Depth=1
	s_wait_alu 0xfffe
	s_or_b32 exec_lo, exec_lo, s3
	v_add_co_u32 v14, s3, v9, s20
	s_wait_alu 0xf1ff
	v_add_co_ci_u32_e64 v15, null, s21, v10, s3
	s_delay_alu instid0(VALU_DEP_1)
	v_cmp_gt_u64_e64 s3, s[14:15], v[14:15]
	s_and_saveexec_b32 s5, s3
	s_cbranch_execz .LBB28_10
; %bb.9:                                ;   in Loop: Header=BB28_4 Depth=1
	v_add_co_u32 v14, s4, v1, s16
	s_wait_alu 0xf1ff
	v_add_co_ci_u32_e64 v15, null, 0, v2, s4
	global_load_u16 v12, v[14:15], off
.LBB28_10:                              ;   in Loop: Header=BB28_4 Depth=1
	s_wait_alu 0xfffe
	s_or_b32 exec_lo, exec_lo, s5
	v_add_co_u32 v14, s4, v6, s20
	s_wait_alu 0xf1ff
	v_add_co_ci_u32_e64 v15, null, s21, v7, s4
	s_delay_alu instid0(VALU_DEP_1)
	v_cmp_gt_u64_e64 s4, s[14:15], v[14:15]
	v_mov_b32_e32 v14, 0
	s_and_saveexec_b32 s24, s4
	s_cbranch_execnz .LBB28_15
; %bb.11:                               ;   in Loop: Header=BB28_4 Depth=1
	s_or_b32 exec_lo, exec_lo, s24
	s_and_saveexec_b32 s5, vcc_lo
	s_cbranch_execnz .LBB28_16
.LBB28_12:                              ;   in Loop: Header=BB28_4 Depth=1
	s_wait_alu 0xfffe
	s_or_b32 exec_lo, exec_lo, s5
	s_and_saveexec_b32 s5, s2
	s_cbranch_execnz .LBB28_17
.LBB28_13:                              ;   in Loop: Header=BB28_4 Depth=1
	s_wait_alu 0xfffe
	s_or_b32 exec_lo, exec_lo, s5
	s_and_saveexec_b32 s2, s3
	s_cbranch_execnz .LBB28_18
.LBB28_14:                              ;   in Loop: Header=BB28_4 Depth=1
	s_wait_alu 0xfffe
	s_or_b32 exec_lo, exec_lo, s2
	s_and_saveexec_b32 s2, s4
	s_cbranch_execz .LBB28_3
	s_branch .LBB28_19
.LBB28_15:                              ;   in Loop: Header=BB28_4 Depth=1
	v_add_co_u32 v14, s5, v1, s18
	s_wait_alu 0xf1ff
	v_add_co_ci_u32_e64 v15, null, s19, v2, s5
	global_load_u16 v14, v[14:15], off
	s_or_b32 exec_lo, exec_lo, s24
	s_and_saveexec_b32 s5, vcc_lo
	s_cbranch_execz .LBB28_12
.LBB28_16:                              ;   in Loop: Header=BB28_4 Depth=1
	s_wait_loadcnt 0x0
	v_mul_lo_u16 v11, v11, s22
	global_store_b16 v[1:2], v11, off
	s_wait_alu 0xfffe
	s_or_b32 exec_lo, exec_lo, s5
	s_and_saveexec_b32 s5, s2
	s_cbranch_execz .LBB28_13
.LBB28_17:                              ;   in Loop: Header=BB28_4 Depth=1
	s_wait_loadcnt 0x0
	v_mul_lo_u16 v11, v13, s22
	global_store_b16 v[3:4], v11, off
	s_wait_alu 0xfffe
	s_or_b32 exec_lo, exec_lo, s5
	s_and_saveexec_b32 s2, s3
	s_cbranch_execz .LBB28_14
.LBB28_18:                              ;   in Loop: Header=BB28_4 Depth=1
	s_wait_loadcnt 0x0
	v_add_co_u32 v11, vcc_lo, v1, s16
	v_mul_lo_u16 v13, v12, s22
	s_wait_alu 0xfffd
	v_add_co_ci_u32_e64 v12, null, 0, v2, vcc_lo
	global_store_b16 v[11:12], v13, off
	s_wait_alu 0xfffe
	s_or_b32 exec_lo, exec_lo, s2
	s_and_saveexec_b32 s2, s4
	s_cbranch_execz .LBB28_3
.LBB28_19:                              ;   in Loop: Header=BB28_4 Depth=1
	s_wait_loadcnt 0x0
	v_add_co_u32 v11, vcc_lo, v1, s18
	v_mul_lo_u16 v13, v14, s22
	s_wait_alu 0xfffd
	v_add_co_ci_u32_e64 v12, null, s19, v2, vcc_lo
	global_store_b16 v[11:12], v13, off
	s_branch .LBB28_3
.LBB28_20:
	s_cbranch_execz .LBB28_22
	s_branch .LBB28_25
.LBB28_21:
.LBB28_22:
	v_cmp_gt_i64_e64 s2, 0x10000, s[10:11]
	v_dual_mov_b32 v2, 0 :: v_dual_lshlrev_b32 v1, 2, v0
	s_mov_b32 s4, 0
	s_mov_b32 s5, exec_lo
	s_and_b32 s2, s2, exec_lo
	s_cselect_b32 s3, s11, 0
	s_cselect_b32 s2, s10, 0x10000
	s_wait_alu 0xfffe
	v_cmpx_gt_i64_e64 s[2:3], v[1:2]
	s_cbranch_execz .LBB28_25
; %bb.23:
	s_load_b32 s5, s[0:1], 0xd3c
	v_lshlrev_b32_e32 v3, 3, v0
	s_add_nc_u64 s[0:1], s[6:7], s[8:9]
	v_mov_b32_e32 v1, v2
	s_delay_alu instid0(VALU_DEP_2)
	v_add_co_u32 v2, s0, s0, v3
	s_wait_alu 0xf1ff
	v_add_co_ci_u32_e64 v3, null, s1, 0, s0
	s_wait_kmcnt 0x0
	s_and_b32 s1, s5, 0xffff
	s_wait_alu 0xfffe
	s_lshl_b32 s5, s1, 3
.LBB28_24:                              ; =>This Inner Loop Header: Depth=1
	global_load_b64 v[4:5], v[2:3], off
	v_add_co_u32 v0, vcc_lo, v0, s1
	s_wait_alu 0xfffd
	v_add_co_ci_u32_e64 v1, null, 0, v1, vcc_lo
	s_wait_loadcnt 0x0
	v_lshrrev_b32_e32 v6, 16, v4
	v_lshrrev_b32_e32 v7, 16, v5
	v_mul_lo_u16 v8, s22, v4
	v_mul_lo_u16 v9, s22, v5
	v_lshlrev_b64_e32 v[4:5], 2, v[0:1]
	v_mul_lo_u16 v6, s22, v6
	v_mul_lo_u16 v7, s22, v7
	s_delay_alu instid0(VALU_DEP_3) | instskip(NEXT) | instid1(VALU_DEP_2)
	v_cmp_le_i64_e32 vcc_lo, s[2:3], v[4:5]
	v_perm_b32 v7, v7, v9, 0x5040100
	s_delay_alu instid0(VALU_DEP_4)
	v_perm_b32 v6, v6, v8, 0x5040100
	s_or_b32 s4, vcc_lo, s4
	global_store_b64 v[2:3], v[6:7], off
	s_wait_alu 0xfffe
	v_add_co_u32 v2, s0, v2, s5
	s_wait_alu 0xf1ff
	v_add_co_ci_u32_e64 v3, null, 0, v3, s0
	s_and_not1_b32 exec_lo, exec_lo, s4
	s_cbranch_execnz .LBB28_24
.LBB28_25:
	s_endpgm
	.section	.rodata,"a",@progbits
	.p2align	6, 0x0
	.amdhsa_kernel _ZN2at6native12_GLOBAL__N_125multi_tensor_apply_kernelINS1_18TensorListMetadataILi1EEENS1_21BinaryOpScalarFunctorIsLi1ELi1ELi0EEEJSt10multipliesIsEsEEEvT_T0_DpT1_
		.amdhsa_group_segment_fixed_size 0
		.amdhsa_private_segment_fixed_size 0
		.amdhsa_kernarg_size 3632
		.amdhsa_user_sgpr_count 2
		.amdhsa_user_sgpr_dispatch_ptr 0
		.amdhsa_user_sgpr_queue_ptr 0
		.amdhsa_user_sgpr_kernarg_segment_ptr 1
		.amdhsa_user_sgpr_dispatch_id 0
		.amdhsa_user_sgpr_private_segment_size 0
		.amdhsa_wavefront_size32 1
		.amdhsa_uses_dynamic_stack 0
		.amdhsa_enable_private_segment 0
		.amdhsa_system_sgpr_workgroup_id_x 1
		.amdhsa_system_sgpr_workgroup_id_y 0
		.amdhsa_system_sgpr_workgroup_id_z 0
		.amdhsa_system_sgpr_workgroup_info 0
		.amdhsa_system_vgpr_workitem_id 0
		.amdhsa_next_free_vgpr 16
		.amdhsa_next_free_sgpr 25
		.amdhsa_reserve_vcc 1
		.amdhsa_float_round_mode_32 0
		.amdhsa_float_round_mode_16_64 0
		.amdhsa_float_denorm_mode_32 3
		.amdhsa_float_denorm_mode_16_64 3
		.amdhsa_fp16_overflow 0
		.amdhsa_workgroup_processor_mode 1
		.amdhsa_memory_ordered 1
		.amdhsa_forward_progress 1
		.amdhsa_inst_pref_size 11
		.amdhsa_round_robin_scheduling 0
		.amdhsa_exception_fp_ieee_invalid_op 0
		.amdhsa_exception_fp_denorm_src 0
		.amdhsa_exception_fp_ieee_div_zero 0
		.amdhsa_exception_fp_ieee_overflow 0
		.amdhsa_exception_fp_ieee_underflow 0
		.amdhsa_exception_fp_ieee_inexact 0
		.amdhsa_exception_int_div_zero 0
	.end_amdhsa_kernel
	.section	.text._ZN2at6native12_GLOBAL__N_125multi_tensor_apply_kernelINS1_18TensorListMetadataILi1EEENS1_21BinaryOpScalarFunctorIsLi1ELi1ELi0EEEJSt10multipliesIsEsEEEvT_T0_DpT1_,"axG",@progbits,_ZN2at6native12_GLOBAL__N_125multi_tensor_apply_kernelINS1_18TensorListMetadataILi1EEENS1_21BinaryOpScalarFunctorIsLi1ELi1ELi0EEEJSt10multipliesIsEsEEEvT_T0_DpT1_,comdat
.Lfunc_end28:
	.size	_ZN2at6native12_GLOBAL__N_125multi_tensor_apply_kernelINS1_18TensorListMetadataILi1EEENS1_21BinaryOpScalarFunctorIsLi1ELi1ELi0EEEJSt10multipliesIsEsEEEvT_T0_DpT1_, .Lfunc_end28-_ZN2at6native12_GLOBAL__N_125multi_tensor_apply_kernelINS1_18TensorListMetadataILi1EEENS1_21BinaryOpScalarFunctorIsLi1ELi1ELi0EEEJSt10multipliesIsEsEEEvT_T0_DpT1_
                                        ; -- End function
	.set _ZN2at6native12_GLOBAL__N_125multi_tensor_apply_kernelINS1_18TensorListMetadataILi1EEENS1_21BinaryOpScalarFunctorIsLi1ELi1ELi0EEEJSt10multipliesIsEsEEEvT_T0_DpT1_.num_vgpr, 16
	.set _ZN2at6native12_GLOBAL__N_125multi_tensor_apply_kernelINS1_18TensorListMetadataILi1EEENS1_21BinaryOpScalarFunctorIsLi1ELi1ELi0EEEJSt10multipliesIsEsEEEvT_T0_DpT1_.num_agpr, 0
	.set _ZN2at6native12_GLOBAL__N_125multi_tensor_apply_kernelINS1_18TensorListMetadataILi1EEENS1_21BinaryOpScalarFunctorIsLi1ELi1ELi0EEEJSt10multipliesIsEsEEEvT_T0_DpT1_.numbered_sgpr, 25
	.set _ZN2at6native12_GLOBAL__N_125multi_tensor_apply_kernelINS1_18TensorListMetadataILi1EEENS1_21BinaryOpScalarFunctorIsLi1ELi1ELi0EEEJSt10multipliesIsEsEEEvT_T0_DpT1_.num_named_barrier, 0
	.set _ZN2at6native12_GLOBAL__N_125multi_tensor_apply_kernelINS1_18TensorListMetadataILi1EEENS1_21BinaryOpScalarFunctorIsLi1ELi1ELi0EEEJSt10multipliesIsEsEEEvT_T0_DpT1_.private_seg_size, 0
	.set _ZN2at6native12_GLOBAL__N_125multi_tensor_apply_kernelINS1_18TensorListMetadataILi1EEENS1_21BinaryOpScalarFunctorIsLi1ELi1ELi0EEEJSt10multipliesIsEsEEEvT_T0_DpT1_.uses_vcc, 1
	.set _ZN2at6native12_GLOBAL__N_125multi_tensor_apply_kernelINS1_18TensorListMetadataILi1EEENS1_21BinaryOpScalarFunctorIsLi1ELi1ELi0EEEJSt10multipliesIsEsEEEvT_T0_DpT1_.uses_flat_scratch, 0
	.set _ZN2at6native12_GLOBAL__N_125multi_tensor_apply_kernelINS1_18TensorListMetadataILi1EEENS1_21BinaryOpScalarFunctorIsLi1ELi1ELi0EEEJSt10multipliesIsEsEEEvT_T0_DpT1_.has_dyn_sized_stack, 0
	.set _ZN2at6native12_GLOBAL__N_125multi_tensor_apply_kernelINS1_18TensorListMetadataILi1EEENS1_21BinaryOpScalarFunctorIsLi1ELi1ELi0EEEJSt10multipliesIsEsEEEvT_T0_DpT1_.has_recursion, 0
	.set _ZN2at6native12_GLOBAL__N_125multi_tensor_apply_kernelINS1_18TensorListMetadataILi1EEENS1_21BinaryOpScalarFunctorIsLi1ELi1ELi0EEEJSt10multipliesIsEsEEEvT_T0_DpT1_.has_indirect_call, 0
	.section	.AMDGPU.csdata,"",@progbits
; Kernel info:
; codeLenInByte = 1284
; TotalNumSgprs: 27
; NumVgprs: 16
; ScratchSize: 0
; MemoryBound: 0
; FloatMode: 240
; IeeeMode: 1
; LDSByteSize: 0 bytes/workgroup (compile time only)
; SGPRBlocks: 0
; VGPRBlocks: 1
; NumSGPRsForWavesPerEU: 27
; NumVGPRsForWavesPerEU: 16
; Occupancy: 16
; WaveLimiterHint : 0
; COMPUTE_PGM_RSRC2:SCRATCH_EN: 0
; COMPUTE_PGM_RSRC2:USER_SGPR: 2
; COMPUTE_PGM_RSRC2:TRAP_HANDLER: 0
; COMPUTE_PGM_RSRC2:TGID_X_EN: 1
; COMPUTE_PGM_RSRC2:TGID_Y_EN: 0
; COMPUTE_PGM_RSRC2:TGID_Z_EN: 0
; COMPUTE_PGM_RSRC2:TIDIG_COMP_CNT: 0
	.section	.text._ZN2at6native12_GLOBAL__N_125multi_tensor_apply_kernelINS1_18TensorListMetadataILi1EEENS1_21BinaryOpScalarFunctorIdLi1ELi1ELi0EEEJSt10multipliesIdEdEEEvT_T0_DpT1_,"axG",@progbits,_ZN2at6native12_GLOBAL__N_125multi_tensor_apply_kernelINS1_18TensorListMetadataILi1EEENS1_21BinaryOpScalarFunctorIdLi1ELi1ELi0EEEJSt10multipliesIdEdEEEvT_T0_DpT1_,comdat
	.globl	_ZN2at6native12_GLOBAL__N_125multi_tensor_apply_kernelINS1_18TensorListMetadataILi1EEENS1_21BinaryOpScalarFunctorIdLi1ELi1ELi0EEEJSt10multipliesIdEdEEEvT_T0_DpT1_ ; -- Begin function _ZN2at6native12_GLOBAL__N_125multi_tensor_apply_kernelINS1_18TensorListMetadataILi1EEENS1_21BinaryOpScalarFunctorIdLi1ELi1ELi0EEEJSt10multipliesIdEdEEEvT_T0_DpT1_
	.p2align	8
	.type	_ZN2at6native12_GLOBAL__N_125multi_tensor_apply_kernelINS1_18TensorListMetadataILi1EEENS1_21BinaryOpScalarFunctorIdLi1ELi1ELi0EEEJSt10multipliesIdEdEEEvT_T0_DpT1_,@function
_ZN2at6native12_GLOBAL__N_125multi_tensor_apply_kernelINS1_18TensorListMetadataILi1EEENS1_21BinaryOpScalarFunctorIdLi1ELi1ELi0EEEJSt10multipliesIdEdEEEvT_T0_DpT1_: ; @_ZN2at6native12_GLOBAL__N_125multi_tensor_apply_kernelINS1_18TensorListMetadataILi1EEENS1_21BinaryOpScalarFunctorIdLi1ELi1ELi0EEEJSt10multipliesIdEdEEEvT_T0_DpT1_
; %bb.0:
	s_load_u8 s8, s[0:1], ttmp9 offset:0x6e0
	s_mov_b32 s2, ttmp9
	s_mov_b32 s3, 0
	s_delay_alu instid0(SALU_CYCLE_1)
	s_mul_u64 s[4:5], s[2:3], 3
	s_add_nc_u64 s[6:7], s[0:1], s[2:3]
	s_mov_b32 s15, s3
	s_add_nc_u64 s[4:5], s[6:7], s[4:5]
	s_load_b32 s4, s[4:5], 0x820
	s_wait_kmcnt 0x0
	s_lshl_b32 s2, s8, 3
	s_clause 0x2
	s_load_b64 s[8:9], s[0:1], s2 offset:0x0
	s_load_b64 s[12:13], s[0:1], s2 offset:0x370
	s_load_b64 s[6:7], s[0:1], 0xd30
	s_ashr_i32 s5, s4, 31
	s_delay_alu instid0(SALU_CYCLE_1)
	s_lshl_b64 s[10:11], s[4:5], 19
	s_lshl_b64 s[4:5], s[4:5], 16
	s_wait_kmcnt 0x0
	s_and_b32 s2, s8, 31
	s_and_b32 s14, s12, 3
	s_sub_nc_u64 s[12:13], s[12:13], s[4:5]
	s_or_b64 s[2:3], s[2:3], s[14:15]
	s_delay_alu instid0(SALU_CYCLE_1)
	s_cmp_eq_u64 s[2:3], 0
	s_cbranch_scc1 .LBB29_21
; %bb.1:
	v_cmp_lt_i64_e64 s2, s[12:13], 1
	s_and_b32 vcc_lo, exec_lo, s2
	s_cbranch_vccnz .LBB29_20
; %bb.2:
	s_load_b32 s2, s[0:1], 0xd44
	v_cmp_gt_i64_e64 s14, 0x10000, s[12:13]
	v_lshlrev_b32_e32 v1, 3, v0
	s_add_nc_u64 s[4:5], s[8:9], s[10:11]
	s_mov_b32 s3, 0
	v_cmp_gt_u64_e64 s18, 0x10000, s[12:13]
	s_mov_b32 s15, s3
	v_add_co_u32 v1, s16, s4, v1
	s_and_b32 s14, s14, exec_lo
	v_add_co_ci_u32_e64 v2, null, s5, 0, s16
	s_cselect_b32 s17, s13, 0
	s_cselect_b32 s16, s12, 0x10000
	s_wait_kmcnt 0x0
	s_and_b32 s2, s2, 0xffff
	s_and_b32 s14, s18, exec_lo
	s_mul_u64 s[20:21], s[2:3], 24
	v_add_co_u32 v13, s3, v0, s2
	s_cselect_b32 s19, s13, 0
	s_cselect_b32 s18, s12, 0x10000
	s_lshl_b32 s22, s2, 1
	v_lshlrev_b32_e32 v3, 3, v13
	s_mul_i32 s23, s2, 3
	v_add_co_ci_u32_e64 v16, null, 0, 0, s3
	v_add_co_u32 v17, s3, s22, v0
	v_add_co_u32 v14, s23, s23, v0
	s_wait_alu 0xf1ff
	v_add_co_ci_u32_e64 v18, null, 0, 0, s3
	v_add_co_u32 v3, s3, s4, v3
	v_add_co_ci_u32_e64 v15, null, 0, 0, s23
	s_wait_alu 0xf1ff
	v_add_co_ci_u32_e64 v4, null, s5, 0, s3
	s_lshl_b32 s14, s2, 2
	s_lshl_b32 s24, s2, 5
	;; [unrolled: 1-line block ×3, first 2 shown]
	s_mov_b64 s[22:23], 0
	s_branch .LBB29_4
.LBB29_3:                               ;   in Loop: Header=BB29_4 Depth=1
	s_wait_alu 0xfffe
	s_or_b32 exec_lo, exec_lo, s2
	s_add_nc_u64 s[22:23], s[22:23], s[14:15]
	v_add_co_u32 v1, vcc_lo, v1, s24
	s_wait_alu 0xfffe
	v_cmp_lt_i64_e64 s2, s[22:23], s[16:17]
	s_wait_alu 0xfffd
	v_add_co_ci_u32_e64 v2, null, 0, v2, vcc_lo
	v_add_co_u32 v3, vcc_lo, v3, s24
	s_wait_alu 0xfffd
	v_add_co_ci_u32_e64 v4, null, 0, v4, vcc_lo
	s_and_b32 vcc_lo, exec_lo, s2
	s_wait_alu 0xfffe
	s_cbranch_vccz .LBB29_20
.LBB29_4:                               ; =>This Inner Loop Header: Depth=1
	s_wait_loadcnt 0x0
	s_wait_alu 0xfffe
	v_add_co_u32 v7, s2, v0, s22
	s_wait_alu 0xf1ff
	v_add_co_ci_u32_e64 v8, null, 0, s23, s2
	v_mov_b32_e32 v5, 0
	v_mov_b32_e32 v6, 0
	s_delay_alu instid0(VALU_DEP_3)
	v_cmp_gt_u64_e32 vcc_lo, s[18:19], v[7:8]
	v_mov_b32_e32 v7, 0
	v_mov_b32_e32 v8, 0
	s_and_saveexec_b32 s2, vcc_lo
	s_cbranch_execz .LBB29_6
; %bb.5:                                ;   in Loop: Header=BB29_4 Depth=1
	global_load_b64 v[7:8], v[1:2], off
.LBB29_6:                               ;   in Loop: Header=BB29_4 Depth=1
	s_wait_alu 0xfffe
	s_or_b32 exec_lo, exec_lo, s2
	v_add_co_u32 v9, s2, v13, s22
	s_wait_alu 0xf1ff
	v_add_co_ci_u32_e64 v10, null, s23, v16, s2
	s_delay_alu instid0(VALU_DEP_1)
	v_cmp_gt_u64_e64 s2, s[18:19], v[9:10]
	s_and_saveexec_b32 s3, s2
	s_cbranch_execz .LBB29_8
; %bb.7:                                ;   in Loop: Header=BB29_4 Depth=1
	global_load_b64 v[5:6], v[3:4], off
.LBB29_8:                               ;   in Loop: Header=BB29_4 Depth=1
	s_wait_alu 0xfffe
	s_or_b32 exec_lo, exec_lo, s3
	v_add_co_u32 v11, s3, v17, s22
	s_wait_alu 0xf1ff
	v_add_co_ci_u32_e64 v12, null, s23, v18, s3
	v_mov_b32_e32 v9, 0
	v_mov_b32_e32 v10, 0
	s_delay_alu instid0(VALU_DEP_3)
	v_cmp_gt_u64_e64 s3, s[18:19], v[11:12]
	v_mov_b32_e32 v11, 0
	v_mov_b32_e32 v12, 0
	s_and_saveexec_b32 s5, s3
	s_cbranch_execz .LBB29_10
; %bb.9:                                ;   in Loop: Header=BB29_4 Depth=1
	v_add_co_u32 v11, s4, v1, s25
	s_wait_alu 0xf1ff
	v_add_co_ci_u32_e64 v12, null, 0, v2, s4
	global_load_b64 v[11:12], v[11:12], off
.LBB29_10:                              ;   in Loop: Header=BB29_4 Depth=1
	s_wait_alu 0xfffe
	s_or_b32 exec_lo, exec_lo, s5
	v_add_co_u32 v19, s4, v14, s22
	s_wait_alu 0xf1ff
	v_add_co_ci_u32_e64 v20, null, s23, v15, s4
	s_delay_alu instid0(VALU_DEP_1)
	v_cmp_gt_u64_e64 s4, s[18:19], v[19:20]
	s_and_saveexec_b32 s26, s4
	s_cbranch_execnz .LBB29_15
; %bb.11:                               ;   in Loop: Header=BB29_4 Depth=1
	s_or_b32 exec_lo, exec_lo, s26
	s_and_saveexec_b32 s5, vcc_lo
	s_cbranch_execnz .LBB29_16
.LBB29_12:                              ;   in Loop: Header=BB29_4 Depth=1
	s_wait_alu 0xfffe
	s_or_b32 exec_lo, exec_lo, s5
	s_and_saveexec_b32 s5, s2
	s_cbranch_execnz .LBB29_17
.LBB29_13:                              ;   in Loop: Header=BB29_4 Depth=1
	s_wait_alu 0xfffe
	s_or_b32 exec_lo, exec_lo, s5
	s_and_saveexec_b32 s2, s3
	s_cbranch_execnz .LBB29_18
.LBB29_14:                              ;   in Loop: Header=BB29_4 Depth=1
	s_wait_alu 0xfffe
	s_or_b32 exec_lo, exec_lo, s2
	s_and_saveexec_b32 s2, s4
	s_cbranch_execz .LBB29_3
	s_branch .LBB29_19
.LBB29_15:                              ;   in Loop: Header=BB29_4 Depth=1
	v_add_co_u32 v9, s5, v1, s20
	s_wait_alu 0xf1ff
	v_add_co_ci_u32_e64 v10, null, s21, v2, s5
	global_load_b64 v[9:10], v[9:10], off
	s_or_b32 exec_lo, exec_lo, s26
	s_and_saveexec_b32 s5, vcc_lo
	s_cbranch_execz .LBB29_12
.LBB29_16:                              ;   in Loop: Header=BB29_4 Depth=1
	s_wait_loadcnt 0x0
	v_mul_f64_e32 v[7:8], s[6:7], v[7:8]
	global_store_b64 v[1:2], v[7:8], off
	s_wait_alu 0xfffe
	s_or_b32 exec_lo, exec_lo, s5
	s_and_saveexec_b32 s5, s2
	s_cbranch_execz .LBB29_13
.LBB29_17:                              ;   in Loop: Header=BB29_4 Depth=1
	s_wait_loadcnt 0x0
	v_mul_f64_e32 v[5:6], s[6:7], v[5:6]
	global_store_b64 v[3:4], v[5:6], off
	s_wait_alu 0xfffe
	s_or_b32 exec_lo, exec_lo, s5
	s_and_saveexec_b32 s2, s3
	s_cbranch_execz .LBB29_14
.LBB29_18:                              ;   in Loop: Header=BB29_4 Depth=1
	s_wait_loadcnt 0x0
	v_mul_f64_e32 v[5:6], s[6:7], v[11:12]
	v_add_co_u32 v7, vcc_lo, v1, s25
	s_wait_alu 0xfffd
	v_add_co_ci_u32_e64 v8, null, 0, v2, vcc_lo
	global_store_b64 v[7:8], v[5:6], off
	s_wait_alu 0xfffe
	s_or_b32 exec_lo, exec_lo, s2
	s_and_saveexec_b32 s2, s4
	s_cbranch_execz .LBB29_3
.LBB29_19:                              ;   in Loop: Header=BB29_4 Depth=1
	s_wait_loadcnt 0x0
	v_mul_f64_e32 v[5:6], s[6:7], v[9:10]
	v_add_co_u32 v7, vcc_lo, v1, s20
	s_wait_alu 0xfffd
	v_add_co_ci_u32_e64 v8, null, s21, v2, vcc_lo
	global_store_b64 v[7:8], v[5:6], off
	s_branch .LBB29_3
.LBB29_20:
	s_cbranch_execz .LBB29_22
	s_branch .LBB29_25
.LBB29_21:
.LBB29_22:
	v_cmp_gt_i64_e64 s2, 0x10000, s[12:13]
	v_dual_mov_b32 v2, 0 :: v_dual_lshlrev_b32 v1, 2, v0
	s_mov_b32 s4, 0
	s_mov_b32 s5, exec_lo
	s_and_b32 s2, s2, exec_lo
	s_cselect_b32 s3, s13, 0
	s_cselect_b32 s2, s12, 0x10000
	s_wait_alu 0xfffe
	v_cmpx_gt_i64_e64 s[2:3], v[1:2]
	s_cbranch_execz .LBB29_25
; %bb.23:
	s_load_b32 s5, s[0:1], 0xd44
	v_lshlrev_b32_e32 v1, 5, v0
	s_add_nc_u64 s[0:1], s[8:9], s[10:11]
	s_delay_alu instid0(VALU_DEP_1) | instid1(SALU_CYCLE_1)
	v_add_co_u32 v3, s0, s0, v1
	s_wait_alu 0xf1ff
	v_add_co_ci_u32_e64 v4, null, s1, 0, s0
	v_mov_b32_e32 v1, v2
	s_delay_alu instid0(VALU_DEP_3) | instskip(SKIP_1) | instid1(VALU_DEP_3)
	v_add_co_u32 v2, vcc_lo, v3, 16
	s_wait_alu 0xfffd
	v_add_co_ci_u32_e64 v3, null, 0, v4, vcc_lo
	s_wait_kmcnt 0x0
	s_and_b32 s1, s5, 0xffff
	s_wait_alu 0xfffe
	s_lshl_b32 s5, s1, 5
.LBB29_24:                              ; =>This Inner Loop Header: Depth=1
	s_wait_loadcnt 0x0
	s_clause 0x1
	global_load_b128 v[4:7], v[2:3], off offset:-16
	global_load_b128 v[8:11], v[2:3], off
	v_add_co_u32 v0, vcc_lo, v0, s1
	s_wait_alu 0xfffd
	v_add_co_ci_u32_e64 v1, null, 0, v1, vcc_lo
	s_delay_alu instid0(VALU_DEP_1) | instskip(NEXT) | instid1(VALU_DEP_1)
	v_lshlrev_b64_e32 v[12:13], 2, v[0:1]
	v_cmp_le_i64_e32 vcc_lo, s[2:3], v[12:13]
	s_or_b32 s4, vcc_lo, s4
	s_wait_loadcnt 0x1
	v_mul_f64_e32 v[4:5], s[6:7], v[4:5]
	v_mul_f64_e32 v[6:7], s[6:7], v[6:7]
	s_wait_loadcnt 0x0
	v_mul_f64_e32 v[8:9], s[6:7], v[8:9]
	v_mul_f64_e32 v[10:11], s[6:7], v[10:11]
	s_clause 0x1
	global_store_b128 v[2:3], v[4:7], off offset:-16
	global_store_b128 v[2:3], v[8:11], off
	s_wait_alu 0xfffe
	v_add_co_u32 v2, s0, v2, s5
	s_wait_alu 0xf1ff
	v_add_co_ci_u32_e64 v3, null, 0, v3, s0
	s_and_not1_b32 exec_lo, exec_lo, s4
	s_cbranch_execnz .LBB29_24
.LBB29_25:
	s_endpgm
	.section	.rodata,"a",@progbits
	.p2align	6, 0x0
	.amdhsa_kernel _ZN2at6native12_GLOBAL__N_125multi_tensor_apply_kernelINS1_18TensorListMetadataILi1EEENS1_21BinaryOpScalarFunctorIdLi1ELi1ELi0EEEJSt10multipliesIdEdEEEvT_T0_DpT1_
		.amdhsa_group_segment_fixed_size 0
		.amdhsa_private_segment_fixed_size 0
		.amdhsa_kernarg_size 3640
		.amdhsa_user_sgpr_count 2
		.amdhsa_user_sgpr_dispatch_ptr 0
		.amdhsa_user_sgpr_queue_ptr 0
		.amdhsa_user_sgpr_kernarg_segment_ptr 1
		.amdhsa_user_sgpr_dispatch_id 0
		.amdhsa_user_sgpr_private_segment_size 0
		.amdhsa_wavefront_size32 1
		.amdhsa_uses_dynamic_stack 0
		.amdhsa_enable_private_segment 0
		.amdhsa_system_sgpr_workgroup_id_x 1
		.amdhsa_system_sgpr_workgroup_id_y 0
		.amdhsa_system_sgpr_workgroup_id_z 0
		.amdhsa_system_sgpr_workgroup_info 0
		.amdhsa_system_vgpr_workitem_id 0
		.amdhsa_next_free_vgpr 21
		.amdhsa_next_free_sgpr 27
		.amdhsa_reserve_vcc 1
		.amdhsa_float_round_mode_32 0
		.amdhsa_float_round_mode_16_64 0
		.amdhsa_float_denorm_mode_32 3
		.amdhsa_float_denorm_mode_16_64 3
		.amdhsa_fp16_overflow 0
		.amdhsa_workgroup_processor_mode 1
		.amdhsa_memory_ordered 1
		.amdhsa_forward_progress 1
		.amdhsa_inst_pref_size 11
		.amdhsa_round_robin_scheduling 0
		.amdhsa_exception_fp_ieee_invalid_op 0
		.amdhsa_exception_fp_denorm_src 0
		.amdhsa_exception_fp_ieee_div_zero 0
		.amdhsa_exception_fp_ieee_overflow 0
		.amdhsa_exception_fp_ieee_underflow 0
		.amdhsa_exception_fp_ieee_inexact 0
		.amdhsa_exception_int_div_zero 0
	.end_amdhsa_kernel
	.section	.text._ZN2at6native12_GLOBAL__N_125multi_tensor_apply_kernelINS1_18TensorListMetadataILi1EEENS1_21BinaryOpScalarFunctorIdLi1ELi1ELi0EEEJSt10multipliesIdEdEEEvT_T0_DpT1_,"axG",@progbits,_ZN2at6native12_GLOBAL__N_125multi_tensor_apply_kernelINS1_18TensorListMetadataILi1EEENS1_21BinaryOpScalarFunctorIdLi1ELi1ELi0EEEJSt10multipliesIdEdEEEvT_T0_DpT1_,comdat
.Lfunc_end29:
	.size	_ZN2at6native12_GLOBAL__N_125multi_tensor_apply_kernelINS1_18TensorListMetadataILi1EEENS1_21BinaryOpScalarFunctorIdLi1ELi1ELi0EEEJSt10multipliesIdEdEEEvT_T0_DpT1_, .Lfunc_end29-_ZN2at6native12_GLOBAL__N_125multi_tensor_apply_kernelINS1_18TensorListMetadataILi1EEENS1_21BinaryOpScalarFunctorIdLi1ELi1ELi0EEEJSt10multipliesIdEdEEEvT_T0_DpT1_
                                        ; -- End function
	.set _ZN2at6native12_GLOBAL__N_125multi_tensor_apply_kernelINS1_18TensorListMetadataILi1EEENS1_21BinaryOpScalarFunctorIdLi1ELi1ELi0EEEJSt10multipliesIdEdEEEvT_T0_DpT1_.num_vgpr, 21
	.set _ZN2at6native12_GLOBAL__N_125multi_tensor_apply_kernelINS1_18TensorListMetadataILi1EEENS1_21BinaryOpScalarFunctorIdLi1ELi1ELi0EEEJSt10multipliesIdEdEEEvT_T0_DpT1_.num_agpr, 0
	.set _ZN2at6native12_GLOBAL__N_125multi_tensor_apply_kernelINS1_18TensorListMetadataILi1EEENS1_21BinaryOpScalarFunctorIdLi1ELi1ELi0EEEJSt10multipliesIdEdEEEvT_T0_DpT1_.numbered_sgpr, 27
	.set _ZN2at6native12_GLOBAL__N_125multi_tensor_apply_kernelINS1_18TensorListMetadataILi1EEENS1_21BinaryOpScalarFunctorIdLi1ELi1ELi0EEEJSt10multipliesIdEdEEEvT_T0_DpT1_.num_named_barrier, 0
	.set _ZN2at6native12_GLOBAL__N_125multi_tensor_apply_kernelINS1_18TensorListMetadataILi1EEENS1_21BinaryOpScalarFunctorIdLi1ELi1ELi0EEEJSt10multipliesIdEdEEEvT_T0_DpT1_.private_seg_size, 0
	.set _ZN2at6native12_GLOBAL__N_125multi_tensor_apply_kernelINS1_18TensorListMetadataILi1EEENS1_21BinaryOpScalarFunctorIdLi1ELi1ELi0EEEJSt10multipliesIdEdEEEvT_T0_DpT1_.uses_vcc, 1
	.set _ZN2at6native12_GLOBAL__N_125multi_tensor_apply_kernelINS1_18TensorListMetadataILi1EEENS1_21BinaryOpScalarFunctorIdLi1ELi1ELi0EEEJSt10multipliesIdEdEEEvT_T0_DpT1_.uses_flat_scratch, 0
	.set _ZN2at6native12_GLOBAL__N_125multi_tensor_apply_kernelINS1_18TensorListMetadataILi1EEENS1_21BinaryOpScalarFunctorIdLi1ELi1ELi0EEEJSt10multipliesIdEdEEEvT_T0_DpT1_.has_dyn_sized_stack, 0
	.set _ZN2at6native12_GLOBAL__N_125multi_tensor_apply_kernelINS1_18TensorListMetadataILi1EEENS1_21BinaryOpScalarFunctorIdLi1ELi1ELi0EEEJSt10multipliesIdEdEEEvT_T0_DpT1_.has_recursion, 0
	.set _ZN2at6native12_GLOBAL__N_125multi_tensor_apply_kernelINS1_18TensorListMetadataILi1EEENS1_21BinaryOpScalarFunctorIdLi1ELi1ELi0EEEJSt10multipliesIdEdEEEvT_T0_DpT1_.has_indirect_call, 0
	.section	.AMDGPU.csdata,"",@progbits
; Kernel info:
; codeLenInByte = 1304
; TotalNumSgprs: 29
; NumVgprs: 21
; ScratchSize: 0
; MemoryBound: 0
; FloatMode: 240
; IeeeMode: 1
; LDSByteSize: 0 bytes/workgroup (compile time only)
; SGPRBlocks: 0
; VGPRBlocks: 2
; NumSGPRsForWavesPerEU: 29
; NumVGPRsForWavesPerEU: 21
; Occupancy: 16
; WaveLimiterHint : 0
; COMPUTE_PGM_RSRC2:SCRATCH_EN: 0
; COMPUTE_PGM_RSRC2:USER_SGPR: 2
; COMPUTE_PGM_RSRC2:TRAP_HANDLER: 0
; COMPUTE_PGM_RSRC2:TGID_X_EN: 1
; COMPUTE_PGM_RSRC2:TGID_Y_EN: 0
; COMPUTE_PGM_RSRC2:TGID_Z_EN: 0
; COMPUTE_PGM_RSRC2:TIDIG_COMP_CNT: 0
	.section	.text._ZN2at6native12_GLOBAL__N_125multi_tensor_apply_kernelINS1_18TensorListMetadataILi1EEENS1_21BinaryOpScalarFunctorIfLi1ELi1ELi0EEEJSt10multipliesIfEfEEEvT_T0_DpT1_,"axG",@progbits,_ZN2at6native12_GLOBAL__N_125multi_tensor_apply_kernelINS1_18TensorListMetadataILi1EEENS1_21BinaryOpScalarFunctorIfLi1ELi1ELi0EEEJSt10multipliesIfEfEEEvT_T0_DpT1_,comdat
	.globl	_ZN2at6native12_GLOBAL__N_125multi_tensor_apply_kernelINS1_18TensorListMetadataILi1EEENS1_21BinaryOpScalarFunctorIfLi1ELi1ELi0EEEJSt10multipliesIfEfEEEvT_T0_DpT1_ ; -- Begin function _ZN2at6native12_GLOBAL__N_125multi_tensor_apply_kernelINS1_18TensorListMetadataILi1EEENS1_21BinaryOpScalarFunctorIfLi1ELi1ELi0EEEJSt10multipliesIfEfEEEvT_T0_DpT1_
	.p2align	8
	.type	_ZN2at6native12_GLOBAL__N_125multi_tensor_apply_kernelINS1_18TensorListMetadataILi1EEENS1_21BinaryOpScalarFunctorIfLi1ELi1ELi0EEEJSt10multipliesIfEfEEEvT_T0_DpT1_,@function
_ZN2at6native12_GLOBAL__N_125multi_tensor_apply_kernelINS1_18TensorListMetadataILi1EEENS1_21BinaryOpScalarFunctorIfLi1ELi1ELi0EEEJSt10multipliesIfEfEEEvT_T0_DpT1_: ; @_ZN2at6native12_GLOBAL__N_125multi_tensor_apply_kernelINS1_18TensorListMetadataILi1EEENS1_21BinaryOpScalarFunctorIfLi1ELi1ELi0EEEJSt10multipliesIfEfEEEvT_T0_DpT1_
; %bb.0:
	s_load_u8 s8, s[0:1], ttmp9 offset:0x6e0
	s_mov_b32 s2, ttmp9
	s_mov_b32 s3, 0
	s_delay_alu instid0(SALU_CYCLE_1)
	s_mul_u64 s[4:5], s[2:3], 3
	s_add_nc_u64 s[6:7], s[0:1], s[2:3]
	s_mov_b32 s13, s3
	s_add_nc_u64 s[4:5], s[6:7], s[4:5]
	s_load_b32 s4, s[4:5], 0x820
	s_wait_kmcnt 0x0
	s_lshl_b32 s2, s8, 3
	s_clause 0x2
	s_load_b64 s[6:7], s[0:1], s2 offset:0x0
	s_load_b64 s[10:11], s[0:1], s2 offset:0x370
	s_load_b32 s22, s[0:1], 0xd2c
	s_ashr_i32 s5, s4, 31
	s_delay_alu instid0(SALU_CYCLE_1)
	s_lshl_b64 s[8:9], s[4:5], 18
	s_lshl_b64 s[4:5], s[4:5], 16
	s_wait_kmcnt 0x0
	s_and_b32 s2, s6, 15
	s_and_b32 s12, s10, 3
	s_sub_nc_u64 s[10:11], s[10:11], s[4:5]
	s_or_b64 s[2:3], s[2:3], s[12:13]
	s_delay_alu instid0(SALU_CYCLE_1)
	s_cmp_eq_u64 s[2:3], 0
	s_cbranch_scc1 .LBB30_21
; %bb.1:
	v_cmp_lt_i64_e64 s2, s[10:11], 1
	s_and_b32 vcc_lo, exec_lo, s2
	s_cbranch_vccnz .LBB30_20
; %bb.2:
	s_load_b32 s2, s[0:1], 0xd3c
	v_cmp_gt_i64_e64 s12, 0x10000, s[10:11]
	v_lshlrev_b32_e32 v1, 2, v0
	s_add_nc_u64 s[4:5], s[6:7], s[8:9]
	s_mov_b32 s3, 0
	v_cmp_gt_u64_e64 s16, 0x10000, s[10:11]
	s_mov_b32 s13, s3
	v_add_co_u32 v1, s14, s4, v1
	s_and_b32 s12, s12, exec_lo
	v_add_co_ci_u32_e64 v2, null, s5, 0, s14
	s_cselect_b32 s15, s11, 0
	s_cselect_b32 s14, s10, 0x10000
	s_wait_kmcnt 0x0
	s_and_b32 s2, s2, 0xffff
	s_and_b32 s12, s16, exec_lo
	s_mul_u64 s[18:19], s[2:3], 12
	v_add_co_u32 v5, s3, v0, s2
	s_cselect_b32 s17, s11, 0
	s_cselect_b32 s16, s10, 0x10000
	s_lshl_b32 s20, s2, 1
	v_lshlrev_b32_e32 v3, 2, v5
	s_mul_i32 s21, s2, 3
	v_add_co_ci_u32_e64 v8, null, 0, 0, s3
	v_add_co_u32 v9, s3, s20, v0
	v_add_co_u32 v6, s21, s21, v0
	s_wait_alu 0xf1ff
	v_add_co_ci_u32_e64 v10, null, 0, 0, s3
	v_add_co_u32 v3, s3, s4, v3
	v_add_co_ci_u32_e64 v7, null, 0, 0, s21
	s_wait_alu 0xf1ff
	v_add_co_ci_u32_e64 v4, null, s5, 0, s3
	s_lshl_b32 s12, s2, 2
	s_lshl_b32 s23, s2, 4
	;; [unrolled: 1-line block ×3, first 2 shown]
	s_mov_b64 s[20:21], 0
	s_branch .LBB30_4
.LBB30_3:                               ;   in Loop: Header=BB30_4 Depth=1
	s_wait_alu 0xfffe
	s_or_b32 exec_lo, exec_lo, s2
	s_add_nc_u64 s[20:21], s[20:21], s[12:13]
	v_add_co_u32 v1, vcc_lo, v1, s23
	s_wait_alu 0xfffe
	v_cmp_lt_i64_e64 s2, s[20:21], s[14:15]
	s_wait_alu 0xfffd
	v_add_co_ci_u32_e64 v2, null, 0, v2, vcc_lo
	v_add_co_u32 v3, vcc_lo, v3, s23
	s_wait_alu 0xfffd
	v_add_co_ci_u32_e64 v4, null, 0, v4, vcc_lo
	s_and_b32 vcc_lo, exec_lo, s2
	s_wait_alu 0xfffe
	s_cbranch_vccz .LBB30_20
.LBB30_4:                               ; =>This Inner Loop Header: Depth=1
	s_wait_loadcnt 0x0
	s_wait_alu 0xfffe
	v_add_co_u32 v11, s2, v0, s20
	s_wait_alu 0xf1ff
	v_add_co_ci_u32_e64 v12, null, 0, s21, s2
	s_delay_alu instid0(VALU_DEP_1)
	v_cmp_gt_u64_e32 vcc_lo, s[16:17], v[11:12]
	v_mov_b32_e32 v11, 0
	s_and_saveexec_b32 s2, vcc_lo
	s_cbranch_execz .LBB30_6
; %bb.5:                                ;   in Loop: Header=BB30_4 Depth=1
	global_load_b32 v11, v[1:2], off
.LBB30_6:                               ;   in Loop: Header=BB30_4 Depth=1
	s_wait_alu 0xfffe
	s_or_b32 exec_lo, exec_lo, s2
	v_add_co_u32 v12, s2, v5, s20
	s_wait_alu 0xf1ff
	v_add_co_ci_u32_e64 v13, null, s21, v8, s2
	s_delay_alu instid0(VALU_DEP_1)
	v_cmp_gt_u64_e64 s2, s[16:17], v[12:13]
	v_dual_mov_b32 v12, 0 :: v_dual_mov_b32 v13, 0
	s_and_saveexec_b32 s3, s2
	s_cbranch_execz .LBB30_8
; %bb.7:                                ;   in Loop: Header=BB30_4 Depth=1
	global_load_b32 v13, v[3:4], off
.LBB30_8:                               ;   in Loop: Header=BB30_4 Depth=1
	s_wait_alu 0xfffe
	s_or_b32 exec_lo, exec_lo, s3
	v_add_co_u32 v14, s3, v9, s20
	s_wait_alu 0xf1ff
	v_add_co_ci_u32_e64 v15, null, s21, v10, s3
	s_delay_alu instid0(VALU_DEP_1)
	v_cmp_gt_u64_e64 s3, s[16:17], v[14:15]
	s_and_saveexec_b32 s5, s3
	s_cbranch_execz .LBB30_10
; %bb.9:                                ;   in Loop: Header=BB30_4 Depth=1
	v_add_co_u32 v14, s4, v1, s24
	s_wait_alu 0xf1ff
	v_add_co_ci_u32_e64 v15, null, 0, v2, s4
	global_load_b32 v12, v[14:15], off
.LBB30_10:                              ;   in Loop: Header=BB30_4 Depth=1
	s_wait_alu 0xfffe
	s_or_b32 exec_lo, exec_lo, s5
	v_add_co_u32 v14, s4, v6, s20
	s_wait_alu 0xf1ff
	v_add_co_ci_u32_e64 v15, null, s21, v7, s4
	s_delay_alu instid0(VALU_DEP_1)
	v_cmp_gt_u64_e64 s4, s[16:17], v[14:15]
	v_mov_b32_e32 v14, 0
	s_and_saveexec_b32 s25, s4
	s_cbranch_execnz .LBB30_15
; %bb.11:                               ;   in Loop: Header=BB30_4 Depth=1
	s_wait_alu 0xfffe
	s_or_b32 exec_lo, exec_lo, s25
	s_and_saveexec_b32 s5, vcc_lo
	s_cbranch_execnz .LBB30_16
.LBB30_12:                              ;   in Loop: Header=BB30_4 Depth=1
	s_wait_alu 0xfffe
	s_or_b32 exec_lo, exec_lo, s5
	s_and_saveexec_b32 s5, s2
	s_cbranch_execnz .LBB30_17
.LBB30_13:                              ;   in Loop: Header=BB30_4 Depth=1
	s_wait_alu 0xfffe
	s_or_b32 exec_lo, exec_lo, s5
	s_and_saveexec_b32 s2, s3
	s_cbranch_execnz .LBB30_18
.LBB30_14:                              ;   in Loop: Header=BB30_4 Depth=1
	s_wait_alu 0xfffe
	s_or_b32 exec_lo, exec_lo, s2
	s_and_saveexec_b32 s2, s4
	s_cbranch_execz .LBB30_3
	s_branch .LBB30_19
.LBB30_15:                              ;   in Loop: Header=BB30_4 Depth=1
	v_add_co_u32 v14, s5, v1, s18
	s_wait_alu 0xf1ff
	v_add_co_ci_u32_e64 v15, null, s19, v2, s5
	global_load_b32 v14, v[14:15], off
	s_wait_alu 0xfffe
	s_or_b32 exec_lo, exec_lo, s25
	s_and_saveexec_b32 s5, vcc_lo
	s_cbranch_execz .LBB30_12
.LBB30_16:                              ;   in Loop: Header=BB30_4 Depth=1
	s_wait_loadcnt 0x0
	v_mul_f32_e32 v11, s22, v11
	global_store_b32 v[1:2], v11, off
	s_wait_alu 0xfffe
	s_or_b32 exec_lo, exec_lo, s5
	s_and_saveexec_b32 s5, s2
	s_cbranch_execz .LBB30_13
.LBB30_17:                              ;   in Loop: Header=BB30_4 Depth=1
	s_wait_loadcnt 0x0
	v_mul_f32_e32 v11, s22, v13
	global_store_b32 v[3:4], v11, off
	s_wait_alu 0xfffe
	s_or_b32 exec_lo, exec_lo, s5
	s_and_saveexec_b32 s2, s3
	s_cbranch_execz .LBB30_14
.LBB30_18:                              ;   in Loop: Header=BB30_4 Depth=1
	s_wait_loadcnt 0x0
	v_add_co_u32 v11, vcc_lo, v1, s24
	v_mul_f32_e32 v13, s22, v12
	s_wait_alu 0xfffd
	v_add_co_ci_u32_e64 v12, null, 0, v2, vcc_lo
	global_store_b32 v[11:12], v13, off
	s_wait_alu 0xfffe
	s_or_b32 exec_lo, exec_lo, s2
	s_and_saveexec_b32 s2, s4
	s_cbranch_execz .LBB30_3
.LBB30_19:                              ;   in Loop: Header=BB30_4 Depth=1
	s_wait_loadcnt 0x0
	v_add_co_u32 v11, vcc_lo, v1, s18
	v_mul_f32_e32 v13, s22, v14
	s_wait_alu 0xfffd
	v_add_co_ci_u32_e64 v12, null, s19, v2, vcc_lo
	global_store_b32 v[11:12], v13, off
	s_branch .LBB30_3
.LBB30_20:
	s_cbranch_execz .LBB30_22
	s_branch .LBB30_25
.LBB30_21:
.LBB30_22:
	v_cmp_gt_i64_e64 s2, 0x10000, s[10:11]
	v_dual_mov_b32 v2, 0 :: v_dual_lshlrev_b32 v1, 2, v0
	s_mov_b32 s4, 0
	s_mov_b32 s5, exec_lo
	s_and_b32 s2, s2, exec_lo
	s_cselect_b32 s3, s11, 0
	s_cselect_b32 s2, s10, 0x10000
	s_wait_alu 0xfffe
	v_cmpx_gt_i64_e64 s[2:3], v[1:2]
	s_cbranch_execz .LBB30_25
; %bb.23:
	s_load_b32 s5, s[0:1], 0xd3c
	v_lshlrev_b32_e32 v1, 4, v0
	s_add_nc_u64 s[0:1], s[6:7], s[8:9]
	s_delay_alu instid0(VALU_DEP_1) | instid1(SALU_CYCLE_1)
	v_add_co_u32 v3, s0, s0, v1
	s_wait_alu 0xf1ff
	v_add_co_ci_u32_e64 v4, null, s1, 0, s0
	v_mov_b32_e32 v1, v2
	s_delay_alu instid0(VALU_DEP_3) | instskip(SKIP_1) | instid1(VALU_DEP_3)
	v_add_co_u32 v2, vcc_lo, v3, 8
	s_wait_alu 0xfffd
	v_add_co_ci_u32_e64 v3, null, 0, v4, vcc_lo
	s_wait_kmcnt 0x0
	s_and_b32 s1, s5, 0xffff
	s_wait_alu 0xfffe
	s_lshl_b32 s5, s1, 4
.LBB30_24:                              ; =>This Inner Loop Header: Depth=1
	global_load_b128 v[4:7], v[2:3], off offset:-8
	v_add_co_u32 v0, vcc_lo, v0, s1
	s_wait_alu 0xfffd
	v_add_co_ci_u32_e64 v1, null, 0, v1, vcc_lo
	s_delay_alu instid0(VALU_DEP_1) | instskip(NEXT) | instid1(VALU_DEP_1)
	v_lshlrev_b64_e32 v[8:9], 2, v[0:1]
	v_cmp_le_i64_e32 vcc_lo, s[2:3], v[8:9]
	s_or_b32 s4, vcc_lo, s4
	s_wait_loadcnt 0x0
	v_dual_mul_f32 v4, s22, v4 :: v_dual_mul_f32 v5, s22, v5
	v_dual_mul_f32 v6, s22, v6 :: v_dual_mul_f32 v7, s22, v7
	global_store_b128 v[2:3], v[4:7], off offset:-8
	s_wait_alu 0xfffe
	v_add_co_u32 v2, s0, v2, s5
	s_wait_alu 0xf1ff
	v_add_co_ci_u32_e64 v3, null, 0, v3, s0
	s_and_not1_b32 exec_lo, exec_lo, s4
	s_cbranch_execnz .LBB30_24
.LBB30_25:
	s_endpgm
	.section	.rodata,"a",@progbits
	.p2align	6, 0x0
	.amdhsa_kernel _ZN2at6native12_GLOBAL__N_125multi_tensor_apply_kernelINS1_18TensorListMetadataILi1EEENS1_21BinaryOpScalarFunctorIfLi1ELi1ELi0EEEJSt10multipliesIfEfEEEvT_T0_DpT1_
		.amdhsa_group_segment_fixed_size 0
		.amdhsa_private_segment_fixed_size 0
		.amdhsa_kernarg_size 3632
		.amdhsa_user_sgpr_count 2
		.amdhsa_user_sgpr_dispatch_ptr 0
		.amdhsa_user_sgpr_queue_ptr 0
		.amdhsa_user_sgpr_kernarg_segment_ptr 1
		.amdhsa_user_sgpr_dispatch_id 0
		.amdhsa_user_sgpr_private_segment_size 0
		.amdhsa_wavefront_size32 1
		.amdhsa_uses_dynamic_stack 0
		.amdhsa_enable_private_segment 0
		.amdhsa_system_sgpr_workgroup_id_x 1
		.amdhsa_system_sgpr_workgroup_id_y 0
		.amdhsa_system_sgpr_workgroup_id_z 0
		.amdhsa_system_sgpr_workgroup_info 0
		.amdhsa_system_vgpr_workitem_id 0
		.amdhsa_next_free_vgpr 16
		.amdhsa_next_free_sgpr 26
		.amdhsa_reserve_vcc 1
		.amdhsa_float_round_mode_32 0
		.amdhsa_float_round_mode_16_64 0
		.amdhsa_float_denorm_mode_32 3
		.amdhsa_float_denorm_mode_16_64 3
		.amdhsa_fp16_overflow 0
		.amdhsa_workgroup_processor_mode 1
		.amdhsa_memory_ordered 1
		.amdhsa_forward_progress 1
		.amdhsa_inst_pref_size 10
		.amdhsa_round_robin_scheduling 0
		.amdhsa_exception_fp_ieee_invalid_op 0
		.amdhsa_exception_fp_denorm_src 0
		.amdhsa_exception_fp_ieee_div_zero 0
		.amdhsa_exception_fp_ieee_overflow 0
		.amdhsa_exception_fp_ieee_underflow 0
		.amdhsa_exception_fp_ieee_inexact 0
		.amdhsa_exception_int_div_zero 0
	.end_amdhsa_kernel
	.section	.text._ZN2at6native12_GLOBAL__N_125multi_tensor_apply_kernelINS1_18TensorListMetadataILi1EEENS1_21BinaryOpScalarFunctorIfLi1ELi1ELi0EEEJSt10multipliesIfEfEEEvT_T0_DpT1_,"axG",@progbits,_ZN2at6native12_GLOBAL__N_125multi_tensor_apply_kernelINS1_18TensorListMetadataILi1EEENS1_21BinaryOpScalarFunctorIfLi1ELi1ELi0EEEJSt10multipliesIfEfEEEvT_T0_DpT1_,comdat
.Lfunc_end30:
	.size	_ZN2at6native12_GLOBAL__N_125multi_tensor_apply_kernelINS1_18TensorListMetadataILi1EEENS1_21BinaryOpScalarFunctorIfLi1ELi1ELi0EEEJSt10multipliesIfEfEEEvT_T0_DpT1_, .Lfunc_end30-_ZN2at6native12_GLOBAL__N_125multi_tensor_apply_kernelINS1_18TensorListMetadataILi1EEENS1_21BinaryOpScalarFunctorIfLi1ELi1ELi0EEEJSt10multipliesIfEfEEEvT_T0_DpT1_
                                        ; -- End function
	.set _ZN2at6native12_GLOBAL__N_125multi_tensor_apply_kernelINS1_18TensorListMetadataILi1EEENS1_21BinaryOpScalarFunctorIfLi1ELi1ELi0EEEJSt10multipliesIfEfEEEvT_T0_DpT1_.num_vgpr, 16
	.set _ZN2at6native12_GLOBAL__N_125multi_tensor_apply_kernelINS1_18TensorListMetadataILi1EEENS1_21BinaryOpScalarFunctorIfLi1ELi1ELi0EEEJSt10multipliesIfEfEEEvT_T0_DpT1_.num_agpr, 0
	.set _ZN2at6native12_GLOBAL__N_125multi_tensor_apply_kernelINS1_18TensorListMetadataILi1EEENS1_21BinaryOpScalarFunctorIfLi1ELi1ELi0EEEJSt10multipliesIfEfEEEvT_T0_DpT1_.numbered_sgpr, 26
	.set _ZN2at6native12_GLOBAL__N_125multi_tensor_apply_kernelINS1_18TensorListMetadataILi1EEENS1_21BinaryOpScalarFunctorIfLi1ELi1ELi0EEEJSt10multipliesIfEfEEEvT_T0_DpT1_.num_named_barrier, 0
	.set _ZN2at6native12_GLOBAL__N_125multi_tensor_apply_kernelINS1_18TensorListMetadataILi1EEENS1_21BinaryOpScalarFunctorIfLi1ELi1ELi0EEEJSt10multipliesIfEfEEEvT_T0_DpT1_.private_seg_size, 0
	.set _ZN2at6native12_GLOBAL__N_125multi_tensor_apply_kernelINS1_18TensorListMetadataILi1EEENS1_21BinaryOpScalarFunctorIfLi1ELi1ELi0EEEJSt10multipliesIfEfEEEvT_T0_DpT1_.uses_vcc, 1
	.set _ZN2at6native12_GLOBAL__N_125multi_tensor_apply_kernelINS1_18TensorListMetadataILi1EEENS1_21BinaryOpScalarFunctorIfLi1ELi1ELi0EEEJSt10multipliesIfEfEEEvT_T0_DpT1_.uses_flat_scratch, 0
	.set _ZN2at6native12_GLOBAL__N_125multi_tensor_apply_kernelINS1_18TensorListMetadataILi1EEENS1_21BinaryOpScalarFunctorIfLi1ELi1ELi0EEEJSt10multipliesIfEfEEEvT_T0_DpT1_.has_dyn_sized_stack, 0
	.set _ZN2at6native12_GLOBAL__N_125multi_tensor_apply_kernelINS1_18TensorListMetadataILi1EEENS1_21BinaryOpScalarFunctorIfLi1ELi1ELi0EEEJSt10multipliesIfEfEEEvT_T0_DpT1_.has_recursion, 0
	.set _ZN2at6native12_GLOBAL__N_125multi_tensor_apply_kernelINS1_18TensorListMetadataILi1EEENS1_21BinaryOpScalarFunctorIfLi1ELi1ELi0EEEJSt10multipliesIfEfEEEvT_T0_DpT1_.has_indirect_call, 0
	.section	.AMDGPU.csdata,"",@progbits
; Kernel info:
; codeLenInByte = 1256
; TotalNumSgprs: 28
; NumVgprs: 16
; ScratchSize: 0
; MemoryBound: 0
; FloatMode: 240
; IeeeMode: 1
; LDSByteSize: 0 bytes/workgroup (compile time only)
; SGPRBlocks: 0
; VGPRBlocks: 1
; NumSGPRsForWavesPerEU: 28
; NumVGPRsForWavesPerEU: 16
; Occupancy: 16
; WaveLimiterHint : 0
; COMPUTE_PGM_RSRC2:SCRATCH_EN: 0
; COMPUTE_PGM_RSRC2:USER_SGPR: 2
; COMPUTE_PGM_RSRC2:TRAP_HANDLER: 0
; COMPUTE_PGM_RSRC2:TGID_X_EN: 1
; COMPUTE_PGM_RSRC2:TGID_Y_EN: 0
; COMPUTE_PGM_RSRC2:TGID_Z_EN: 0
; COMPUTE_PGM_RSRC2:TIDIG_COMP_CNT: 0
	.section	.text._ZN2at6native12_GLOBAL__N_125multi_tensor_apply_kernelINS1_18TensorListMetadataILi1EEENS1_21BinaryOpScalarFunctorIN3c107complexIdEELi1ELi1ELi0EEEJSt10multipliesIS8_ES8_EEEvT_T0_DpT1_,"axG",@progbits,_ZN2at6native12_GLOBAL__N_125multi_tensor_apply_kernelINS1_18TensorListMetadataILi1EEENS1_21BinaryOpScalarFunctorIN3c107complexIdEELi1ELi1ELi0EEEJSt10multipliesIS8_ES8_EEEvT_T0_DpT1_,comdat
	.globl	_ZN2at6native12_GLOBAL__N_125multi_tensor_apply_kernelINS1_18TensorListMetadataILi1EEENS1_21BinaryOpScalarFunctorIN3c107complexIdEELi1ELi1ELi0EEEJSt10multipliesIS8_ES8_EEEvT_T0_DpT1_ ; -- Begin function _ZN2at6native12_GLOBAL__N_125multi_tensor_apply_kernelINS1_18TensorListMetadataILi1EEENS1_21BinaryOpScalarFunctorIN3c107complexIdEELi1ELi1ELi0EEEJSt10multipliesIS8_ES8_EEEvT_T0_DpT1_
	.p2align	8
	.type	_ZN2at6native12_GLOBAL__N_125multi_tensor_apply_kernelINS1_18TensorListMetadataILi1EEENS1_21BinaryOpScalarFunctorIN3c107complexIdEELi1ELi1ELi0EEEJSt10multipliesIS8_ES8_EEEvT_T0_DpT1_,@function
_ZN2at6native12_GLOBAL__N_125multi_tensor_apply_kernelINS1_18TensorListMetadataILi1EEENS1_21BinaryOpScalarFunctorIN3c107complexIdEELi1ELi1ELi0EEEJSt10multipliesIS8_ES8_EEEvT_T0_DpT1_: ; @_ZN2at6native12_GLOBAL__N_125multi_tensor_apply_kernelINS1_18TensorListMetadataILi1EEENS1_21BinaryOpScalarFunctorIN3c107complexIdEELi1ELi1ELi0EEEJSt10multipliesIS8_ES8_EEEvT_T0_DpT1_
; %bb.0:
	s_mov_b32 s2, ttmp9
	s_mov_b32 s3, 0
	s_delay_alu instid0(SALU_CYCLE_1)
	s_mul_u64 s[4:5], s[2:3], 3
	s_add_nc_u64 s[6:7], s[0:1], s[2:3]
	s_mov_b32 s19, s3
	s_add_nc_u64 s[4:5], s[6:7], s[4:5]
	s_clause 0x1
	s_load_b32 s4, s[4:5], 0x820
	s_load_u8 s2, s[0:1], ttmp9 offset:0x6e0
	s_wait_kmcnt 0x0
	s_ashr_i32 s5, s4, 31
	s_lshl_b32 s2, s2, 3
	s_clause 0x2
	s_load_b64 s[6:7], s[0:1], s2 offset:0x0
	s_load_b64 s[14:15], s[0:1], s2 offset:0x370
	s_load_b128 s[8:11], s[0:1], 0xd30
	s_lshl_b64 s[12:13], s[4:5], 20
	s_lshl_b64 s[4:5], s[4:5], 16
	s_wait_kmcnt 0x0
	s_add_nc_u64 s[16:17], s[6:7], s[12:13]
	s_and_b32 s18, s14, 3
	s_and_b32 s2, s16, 63
	s_sub_nc_u64 s[14:15], s[14:15], s[4:5]
	s_or_b64 s[2:3], s[2:3], s[18:19]
	s_delay_alu instid0(SALU_CYCLE_1)
	s_cmp_eq_u64 s[2:3], 0
	s_cbranch_scc1 .LBB31_21
; %bb.1:
	v_cmp_lt_i64_e64 s2, s[14:15], 1
	s_and_b32 vcc_lo, exec_lo, s2
	s_cbranch_vccnz .LBB31_20
; %bb.2:
	s_load_b32 s2, s[0:1], 0xd4c
	v_cmp_gt_i64_e64 s3, 0x10000, s[14:15]
	v_cmp_gt_u64_e64 s4, 0x10000, s[14:15]
	v_dual_mov_b32 v18, 0 :: v_dual_lshlrev_b32 v17, 4, v0
	s_mov_b32 s19, 0
	s_mov_b64 s[26:27], 0
	s_and_b32 s3, s3, exec_lo
	s_cselect_b32 s21, s15, 0
	s_cselect_b32 s20, s14, 0x10000
	s_mov_b32 s25, s19
	s_wait_kmcnt 0x0
	s_and_b32 s2, s2, 0xffff
	s_and_b32 s3, s4, exec_lo
	s_mul_i32 s4, s2, 3
	v_add_co_u32 v20, s5, v0, s2
	v_mad_co_u64_u32 v[18:19], null, s2, 48, v[17:18]
	s_cselect_b32 s23, s15, 0
	s_cselect_b32 s22, s14, 0x10000
	v_add_co_ci_u32_e64 v21, null, 0, 0, s5
	s_lshl_b32 s5, s2, 5
	v_add_co_u32 v22, s4, s4, v0
	s_wait_alu 0xf1ff
	v_add_co_ci_u32_e64 v23, null, 0, 0, s4
	s_wait_alu 0xfffe
	v_add_co_u32 v1, s4, s5, v17
	s_lshl_b32 s3, s2, 1
	v_lshlrev_b32_e32 v24, 4, v20
	s_wait_alu 0xfffe
	v_add_co_u32 v27, s3, s3, v0
	v_or_b32_e32 v18, 8, v18
	v_add_co_ci_u32_e64 v25, null, 0, 0, s4
	v_or_b32_e32 v26, 8, v1
	s_wait_alu 0xf1ff
	v_add_co_ci_u32_e64 v28, null, 0, 0, s3
	s_lshl_b32 s18, s2, 2
	s_lshl_b32 s24, s2, 6
	s_branch .LBB31_4
.LBB31_3:                               ;   in Loop: Header=BB31_4 Depth=1
	s_wait_alu 0xfffe
	s_or_b32 exec_lo, exec_lo, s2
	s_add_nc_u64 s[26:27], s[26:27], s[18:19]
	s_add_nc_u64 s[16:17], s[16:17], s[24:25]
	s_wait_alu 0xfffe
	v_cmp_lt_i64_e64 s2, s[26:27], s[20:21]
	s_and_b32 vcc_lo, exec_lo, s2
	s_wait_alu 0xfffe
	s_cbranch_vccz .LBB31_20
.LBB31_4:                               ; =>This Inner Loop Header: Depth=1
	s_wait_loadcnt 0x0
	v_add_co_u32 v1, s2, v0, s26
	s_wait_alu 0xf1ff
	v_add_co_ci_u32_e64 v2, null, 0, s27, s2
	v_mov_b32_e32 v3, 0
	v_dual_mov_b32 v4, 0 :: v_dual_mov_b32 v11, 0
	s_delay_alu instid0(VALU_DEP_3)
	v_cmp_gt_u64_e32 vcc_lo, s[22:23], v[1:2]
	v_dual_mov_b32 v9, 0 :: v_dual_mov_b32 v12, 0
	v_mov_b32_e32 v10, 0
	s_and_saveexec_b32 s2, vcc_lo
	s_cbranch_execz .LBB31_6
; %bb.5:                                ;   in Loop: Header=BB31_4 Depth=1
	v_add_co_u32 v1, s3, s16, v17
	s_wait_alu 0xf1ff
	v_add_co_ci_u32_e64 v2, null, s17, 0, s3
	global_load_b128 v[9:12], v[1:2], off
.LBB31_6:                               ;   in Loop: Header=BB31_4 Depth=1
	s_wait_alu 0xfffe
	s_or_b32 exec_lo, exec_lo, s2
	v_add_co_u32 v1, s2, v20, s26
	s_wait_alu 0xf1ff
	v_add_co_ci_u32_e64 v2, null, s27, v21, s2
	s_delay_alu instid0(VALU_DEP_1)
	v_cmp_gt_u64_e64 s2, s[22:23], v[1:2]
	v_mov_b32_e32 v1, 0
	v_mov_b32_e32 v2, 0
	s_and_saveexec_b32 s3, s2
	s_cbranch_execz .LBB31_8
; %bb.7:                                ;   in Loop: Header=BB31_4 Depth=1
	v_add_co_u32 v1, s4, s16, v24
	s_wait_alu 0xf1ff
	v_add_co_ci_u32_e64 v2, null, s17, 0, s4
	global_load_b128 v[1:4], v[1:2], off
.LBB31_8:                               ;   in Loop: Header=BB31_4 Depth=1
	s_wait_alu 0xfffe
	s_or_b32 exec_lo, exec_lo, s3
	v_add_co_u32 v5, s3, v27, s26
	s_wait_alu 0xf1ff
	v_add_co_ci_u32_e64 v6, null, s27, v28, s3
	v_mov_b32_e32 v7, 0
	v_dual_mov_b32 v8, 0 :: v_dual_mov_b32 v15, 0
	s_delay_alu instid0(VALU_DEP_3)
	v_cmp_gt_u64_e64 s3, s[22:23], v[5:6]
	v_dual_mov_b32 v13, 0 :: v_dual_mov_b32 v16, 0
	v_mov_b32_e32 v14, 0
	s_and_saveexec_b32 s5, s3
	s_cbranch_execz .LBB31_10
; %bb.9:                                ;   in Loop: Header=BB31_4 Depth=1
	v_add_co_u32 v5, s4, s16, v26
	s_wait_alu 0xf1ff
	v_add_co_ci_u32_e64 v6, null, s17, v25, s4
	global_load_b128 v[13:16], v[5:6], off offset:-8
.LBB31_10:                              ;   in Loop: Header=BB31_4 Depth=1
	s_wait_alu 0xfffe
	s_or_b32 exec_lo, exec_lo, s5
	v_add_co_u32 v5, s4, v22, s26
	s_wait_alu 0xf1ff
	v_add_co_ci_u32_e64 v6, null, s27, v23, s4
	s_delay_alu instid0(VALU_DEP_1)
	v_cmp_gt_u64_e64 s4, s[22:23], v[5:6]
	v_mov_b32_e32 v5, 0
	v_mov_b32_e32 v6, 0
	s_and_saveexec_b32 s28, s4
	s_cbranch_execnz .LBB31_15
; %bb.11:                               ;   in Loop: Header=BB31_4 Depth=1
	s_wait_alu 0xfffe
	s_or_b32 exec_lo, exec_lo, s28
	s_and_saveexec_b32 s5, vcc_lo
	s_cbranch_execnz .LBB31_16
.LBB31_12:                              ;   in Loop: Header=BB31_4 Depth=1
	s_wait_alu 0xfffe
	s_or_b32 exec_lo, exec_lo, s5
	s_and_saveexec_b32 s5, s2
	s_cbranch_execnz .LBB31_17
.LBB31_13:                              ;   in Loop: Header=BB31_4 Depth=1
	s_wait_alu 0xfffe
	s_or_b32 exec_lo, exec_lo, s5
	s_and_saveexec_b32 s2, s3
	s_cbranch_execnz .LBB31_18
.LBB31_14:                              ;   in Loop: Header=BB31_4 Depth=1
	s_wait_alu 0xfffe
	s_or_b32 exec_lo, exec_lo, s2
	s_and_saveexec_b32 s2, s4
	s_cbranch_execz .LBB31_3
	s_branch .LBB31_19
.LBB31_15:                              ;   in Loop: Header=BB31_4 Depth=1
	v_add_co_u32 v5, s5, s16, v18
	s_wait_alu 0xf1ff
	v_add_co_ci_u32_e64 v6, null, s17, v19, s5
	global_load_b128 v[5:8], v[5:6], off offset:-8
	s_wait_alu 0xfffe
	s_or_b32 exec_lo, exec_lo, s28
	s_and_saveexec_b32 s5, vcc_lo
	s_cbranch_execz .LBB31_12
.LBB31_16:                              ;   in Loop: Header=BB31_4 Depth=1
	s_wait_loadcnt 0x0
	v_mul_f64_e32 v[29:30], s[10:11], v[9:10]
	v_mul_f64_e32 v[31:32], s[10:11], v[11:12]
	s_delay_alu instid0(VALU_DEP_2) | instskip(NEXT) | instid1(VALU_DEP_2)
	v_fma_f64 v[11:12], s[8:9], v[11:12], v[29:30]
	v_fma_f64 v[9:10], s[8:9], v[9:10], -v[31:32]
	v_add_co_u32 v29, s28, s16, v17
	s_wait_alu 0xf1ff
	v_add_co_ci_u32_e64 v30, null, s17, 0, s28
	global_store_b128 v[29:30], v[9:12], off
	s_wait_alu 0xfffe
	s_or_b32 exec_lo, exec_lo, s5
	s_and_saveexec_b32 s5, s2
	s_cbranch_execz .LBB31_13
.LBB31_17:                              ;   in Loop: Header=BB31_4 Depth=1
	s_wait_loadcnt 0x0
	v_mul_f64_e32 v[9:10], s[10:11], v[3:4]
	v_mul_f64_e32 v[11:12], s[10:11], v[1:2]
	s_delay_alu instid0(VALU_DEP_2) | instskip(NEXT) | instid1(VALU_DEP_2)
	v_fma_f64 v[1:2], s[8:9], v[1:2], -v[9:10]
	v_fma_f64 v[3:4], s[8:9], v[3:4], v[11:12]
	v_add_co_u32 v9, s2, s16, v24
	s_wait_alu 0xf1ff
	v_add_co_ci_u32_e64 v10, null, s17, 0, s2
	global_store_b128 v[9:10], v[1:4], off
	s_wait_alu 0xfffe
	s_or_b32 exec_lo, exec_lo, s5
	s_and_saveexec_b32 s2, s3
	s_cbranch_execz .LBB31_14
.LBB31_18:                              ;   in Loop: Header=BB31_4 Depth=1
	s_wait_loadcnt 0x0
	v_mul_f64_e32 v[1:2], s[10:11], v[15:16]
	v_mul_f64_e32 v[3:4], s[10:11], v[13:14]
	v_add_co_u32 v9, vcc_lo, s16, v26
	s_wait_alu 0xfffd
	v_add_co_ci_u32_e64 v10, null, s17, v25, vcc_lo
	s_delay_alu instid0(VALU_DEP_4) | instskip(NEXT) | instid1(VALU_DEP_4)
	v_fma_f64 v[1:2], s[8:9], v[13:14], -v[1:2]
	v_fma_f64 v[3:4], s[8:9], v[15:16], v[3:4]
	global_store_b128 v[9:10], v[1:4], off offset:-8
	s_wait_alu 0xfffe
	s_or_b32 exec_lo, exec_lo, s2
	s_and_saveexec_b32 s2, s4
	s_cbranch_execz .LBB31_3
.LBB31_19:                              ;   in Loop: Header=BB31_4 Depth=1
	s_wait_loadcnt 0x0
	v_mul_f64_e32 v[1:2], s[10:11], v[7:8]
	v_mul_f64_e32 v[3:4], s[10:11], v[5:6]
	s_delay_alu instid0(VALU_DEP_2) | instskip(NEXT) | instid1(VALU_DEP_2)
	v_fma_f64 v[1:2], s[8:9], v[5:6], -v[1:2]
	v_fma_f64 v[3:4], s[8:9], v[7:8], v[3:4]
	v_add_co_u32 v5, vcc_lo, s16, v18
	s_wait_alu 0xfffd
	v_add_co_ci_u32_e64 v6, null, s17, v19, vcc_lo
	global_store_b128 v[5:6], v[1:4], off offset:-8
	s_branch .LBB31_3
.LBB31_20:
	s_cbranch_execz .LBB31_22
	s_branch .LBB31_25
.LBB31_21:
.LBB31_22:
	v_cmp_gt_i64_e64 s2, 0x10000, s[14:15]
	s_wait_loadcnt 0x0
	v_dual_mov_b32 v2, 0 :: v_dual_lshlrev_b32 v1, 2, v0
	s_mov_b32 s4, 0
	s_mov_b32 s5, exec_lo
	s_and_b32 s2, s2, exec_lo
	s_cselect_b32 s3, s15, 0
	s_cselect_b32 s2, s14, 0x10000
	s_wait_alu 0xfffe
	v_cmpx_gt_i64_e64 s[2:3], v[1:2]
	s_cbranch_execz .LBB31_25
; %bb.23:
	s_load_b32 s5, s[0:1], 0xd4c
	v_lshlrev_b32_e32 v3, 6, v0
	s_add_nc_u64 s[0:1], s[6:7], s[12:13]
	v_mov_b32_e32 v1, v2
	s_delay_alu instid0(VALU_DEP_2)
	v_add_co_u32 v2, s0, s0, v3
	s_wait_alu 0xf1ff
	v_add_co_ci_u32_e64 v3, null, s1, 0, s0
	s_wait_kmcnt 0x0
	s_and_b32 s1, s5, 0xffff
	s_wait_alu 0xfffe
	s_lshl_b32 s5, s1, 6
.LBB31_24:                              ; =>This Inner Loop Header: Depth=1
	s_clause 0x3
	global_load_b128 v[4:7], v[2:3], off
	global_load_b128 v[8:11], v[2:3], off offset:16
	global_load_b128 v[12:15], v[2:3], off offset:32
	;; [unrolled: 1-line block ×3, first 2 shown]
	v_add_co_u32 v0, vcc_lo, v0, s1
	s_wait_alu 0xfffd
	v_add_co_ci_u32_e64 v1, null, 0, v1, vcc_lo
	s_wait_loadcnt 0x3
	v_mul_f64_e32 v[20:21], s[10:11], v[6:7]
	v_mul_f64_e32 v[6:7], s[8:9], v[6:7]
	s_wait_loadcnt 0x2
	v_mul_f64_e32 v[22:23], s[10:11], v[10:11]
	v_mul_f64_e32 v[10:11], s[8:9], v[10:11]
	;; [unrolled: 3-line block ×4, first 2 shown]
	v_fma_f64 v[18:19], s[8:9], v[4:5], -v[20:21]
	v_fma_f64 v[20:21], s[10:11], v[4:5], v[6:7]
	v_fma_f64 v[4:5], s[8:9], v[8:9], -v[22:23]
	v_fma_f64 v[6:7], s[10:11], v[8:9], v[10:11]
	;; [unrolled: 2-line block ×4, first 2 shown]
	v_lshlrev_b64_e32 v[16:17], 2, v[0:1]
	s_clause 0x3
	global_store_b128 v[2:3], v[18:21], off
	global_store_b128 v[2:3], v[4:7], off offset:16
	global_store_b128 v[2:3], v[8:11], off offset:32
	;; [unrolled: 1-line block ×3, first 2 shown]
	v_cmp_le_i64_e32 vcc_lo, s[2:3], v[16:17]
	s_wait_alu 0xfffe
	v_add_co_u32 v2, s0, v2, s5
	s_wait_alu 0xf1ff
	v_add_co_ci_u32_e64 v3, null, 0, v3, s0
	s_or_b32 s4, vcc_lo, s4
	s_wait_alu 0xfffe
	s_and_not1_b32 exec_lo, exec_lo, s4
	s_cbranch_execnz .LBB31_24
.LBB31_25:
	s_endpgm
	.section	.rodata,"a",@progbits
	.p2align	6, 0x0
	.amdhsa_kernel _ZN2at6native12_GLOBAL__N_125multi_tensor_apply_kernelINS1_18TensorListMetadataILi1EEENS1_21BinaryOpScalarFunctorIN3c107complexIdEELi1ELi1ELi0EEEJSt10multipliesIS8_ES8_EEEvT_T0_DpT1_
		.amdhsa_group_segment_fixed_size 0
		.amdhsa_private_segment_fixed_size 0
		.amdhsa_kernarg_size 3648
		.amdhsa_user_sgpr_count 2
		.amdhsa_user_sgpr_dispatch_ptr 0
		.amdhsa_user_sgpr_queue_ptr 0
		.amdhsa_user_sgpr_kernarg_segment_ptr 1
		.amdhsa_user_sgpr_dispatch_id 0
		.amdhsa_user_sgpr_private_segment_size 0
		.amdhsa_wavefront_size32 1
		.amdhsa_uses_dynamic_stack 0
		.amdhsa_enable_private_segment 0
		.amdhsa_system_sgpr_workgroup_id_x 1
		.amdhsa_system_sgpr_workgroup_id_y 0
		.amdhsa_system_sgpr_workgroup_id_z 0
		.amdhsa_system_sgpr_workgroup_info 0
		.amdhsa_system_vgpr_workitem_id 0
		.amdhsa_next_free_vgpr 33
		.amdhsa_next_free_sgpr 29
		.amdhsa_reserve_vcc 1
		.amdhsa_float_round_mode_32 0
		.amdhsa_float_round_mode_16_64 0
		.amdhsa_float_denorm_mode_32 3
		.amdhsa_float_denorm_mode_16_64 3
		.amdhsa_fp16_overflow 0
		.amdhsa_workgroup_processor_mode 1
		.amdhsa_memory_ordered 1
		.amdhsa_forward_progress 1
		.amdhsa_inst_pref_size 13
		.amdhsa_round_robin_scheduling 0
		.amdhsa_exception_fp_ieee_invalid_op 0
		.amdhsa_exception_fp_denorm_src 0
		.amdhsa_exception_fp_ieee_div_zero 0
		.amdhsa_exception_fp_ieee_overflow 0
		.amdhsa_exception_fp_ieee_underflow 0
		.amdhsa_exception_fp_ieee_inexact 0
		.amdhsa_exception_int_div_zero 0
	.end_amdhsa_kernel
	.section	.text._ZN2at6native12_GLOBAL__N_125multi_tensor_apply_kernelINS1_18TensorListMetadataILi1EEENS1_21BinaryOpScalarFunctorIN3c107complexIdEELi1ELi1ELi0EEEJSt10multipliesIS8_ES8_EEEvT_T0_DpT1_,"axG",@progbits,_ZN2at6native12_GLOBAL__N_125multi_tensor_apply_kernelINS1_18TensorListMetadataILi1EEENS1_21BinaryOpScalarFunctorIN3c107complexIdEELi1ELi1ELi0EEEJSt10multipliesIS8_ES8_EEEvT_T0_DpT1_,comdat
.Lfunc_end31:
	.size	_ZN2at6native12_GLOBAL__N_125multi_tensor_apply_kernelINS1_18TensorListMetadataILi1EEENS1_21BinaryOpScalarFunctorIN3c107complexIdEELi1ELi1ELi0EEEJSt10multipliesIS8_ES8_EEEvT_T0_DpT1_, .Lfunc_end31-_ZN2at6native12_GLOBAL__N_125multi_tensor_apply_kernelINS1_18TensorListMetadataILi1EEENS1_21BinaryOpScalarFunctorIN3c107complexIdEELi1ELi1ELi0EEEJSt10multipliesIS8_ES8_EEEvT_T0_DpT1_
                                        ; -- End function
	.set _ZN2at6native12_GLOBAL__N_125multi_tensor_apply_kernelINS1_18TensorListMetadataILi1EEENS1_21BinaryOpScalarFunctorIN3c107complexIdEELi1ELi1ELi0EEEJSt10multipliesIS8_ES8_EEEvT_T0_DpT1_.num_vgpr, 33
	.set _ZN2at6native12_GLOBAL__N_125multi_tensor_apply_kernelINS1_18TensorListMetadataILi1EEENS1_21BinaryOpScalarFunctorIN3c107complexIdEELi1ELi1ELi0EEEJSt10multipliesIS8_ES8_EEEvT_T0_DpT1_.num_agpr, 0
	.set _ZN2at6native12_GLOBAL__N_125multi_tensor_apply_kernelINS1_18TensorListMetadataILi1EEENS1_21BinaryOpScalarFunctorIN3c107complexIdEELi1ELi1ELi0EEEJSt10multipliesIS8_ES8_EEEvT_T0_DpT1_.numbered_sgpr, 29
	.set _ZN2at6native12_GLOBAL__N_125multi_tensor_apply_kernelINS1_18TensorListMetadataILi1EEENS1_21BinaryOpScalarFunctorIN3c107complexIdEELi1ELi1ELi0EEEJSt10multipliesIS8_ES8_EEEvT_T0_DpT1_.num_named_barrier, 0
	.set _ZN2at6native12_GLOBAL__N_125multi_tensor_apply_kernelINS1_18TensorListMetadataILi1EEENS1_21BinaryOpScalarFunctorIN3c107complexIdEELi1ELi1ELi0EEEJSt10multipliesIS8_ES8_EEEvT_T0_DpT1_.private_seg_size, 0
	.set _ZN2at6native12_GLOBAL__N_125multi_tensor_apply_kernelINS1_18TensorListMetadataILi1EEENS1_21BinaryOpScalarFunctorIN3c107complexIdEELi1ELi1ELi0EEEJSt10multipliesIS8_ES8_EEEvT_T0_DpT1_.uses_vcc, 1
	.set _ZN2at6native12_GLOBAL__N_125multi_tensor_apply_kernelINS1_18TensorListMetadataILi1EEENS1_21BinaryOpScalarFunctorIN3c107complexIdEELi1ELi1ELi0EEEJSt10multipliesIS8_ES8_EEEvT_T0_DpT1_.uses_flat_scratch, 0
	.set _ZN2at6native12_GLOBAL__N_125multi_tensor_apply_kernelINS1_18TensorListMetadataILi1EEENS1_21BinaryOpScalarFunctorIN3c107complexIdEELi1ELi1ELi0EEEJSt10multipliesIS8_ES8_EEEvT_T0_DpT1_.has_dyn_sized_stack, 0
	.set _ZN2at6native12_GLOBAL__N_125multi_tensor_apply_kernelINS1_18TensorListMetadataILi1EEENS1_21BinaryOpScalarFunctorIN3c107complexIdEELi1ELi1ELi0EEEJSt10multipliesIS8_ES8_EEEvT_T0_DpT1_.has_recursion, 0
	.set _ZN2at6native12_GLOBAL__N_125multi_tensor_apply_kernelINS1_18TensorListMetadataILi1EEENS1_21BinaryOpScalarFunctorIN3c107complexIdEELi1ELi1ELi0EEEJSt10multipliesIS8_ES8_EEEvT_T0_DpT1_.has_indirect_call, 0
	.section	.AMDGPU.csdata,"",@progbits
; Kernel info:
; codeLenInByte = 1600
; TotalNumSgprs: 31
; NumVgprs: 33
; ScratchSize: 0
; MemoryBound: 1
; FloatMode: 240
; IeeeMode: 1
; LDSByteSize: 0 bytes/workgroup (compile time only)
; SGPRBlocks: 0
; VGPRBlocks: 4
; NumSGPRsForWavesPerEU: 31
; NumVGPRsForWavesPerEU: 33
; Occupancy: 16
; WaveLimiterHint : 0
; COMPUTE_PGM_RSRC2:SCRATCH_EN: 0
; COMPUTE_PGM_RSRC2:USER_SGPR: 2
; COMPUTE_PGM_RSRC2:TRAP_HANDLER: 0
; COMPUTE_PGM_RSRC2:TGID_X_EN: 1
; COMPUTE_PGM_RSRC2:TGID_Y_EN: 0
; COMPUTE_PGM_RSRC2:TGID_Z_EN: 0
; COMPUTE_PGM_RSRC2:TIDIG_COMP_CNT: 0
	.section	.text._ZN2at6native12_GLOBAL__N_125multi_tensor_apply_kernelINS1_18TensorListMetadataILi1EEENS1_21BinaryOpScalarFunctorIN3c107complexIfEELi1ELi1ELi0EEEJSt10multipliesIS8_ES8_EEEvT_T0_DpT1_,"axG",@progbits,_ZN2at6native12_GLOBAL__N_125multi_tensor_apply_kernelINS1_18TensorListMetadataILi1EEENS1_21BinaryOpScalarFunctorIN3c107complexIfEELi1ELi1ELi0EEEJSt10multipliesIS8_ES8_EEEvT_T0_DpT1_,comdat
	.globl	_ZN2at6native12_GLOBAL__N_125multi_tensor_apply_kernelINS1_18TensorListMetadataILi1EEENS1_21BinaryOpScalarFunctorIN3c107complexIfEELi1ELi1ELi0EEEJSt10multipliesIS8_ES8_EEEvT_T0_DpT1_ ; -- Begin function _ZN2at6native12_GLOBAL__N_125multi_tensor_apply_kernelINS1_18TensorListMetadataILi1EEENS1_21BinaryOpScalarFunctorIN3c107complexIfEELi1ELi1ELi0EEEJSt10multipliesIS8_ES8_EEEvT_T0_DpT1_
	.p2align	8
	.type	_ZN2at6native12_GLOBAL__N_125multi_tensor_apply_kernelINS1_18TensorListMetadataILi1EEENS1_21BinaryOpScalarFunctorIN3c107complexIfEELi1ELi1ELi0EEEJSt10multipliesIS8_ES8_EEEvT_T0_DpT1_,@function
_ZN2at6native12_GLOBAL__N_125multi_tensor_apply_kernelINS1_18TensorListMetadataILi1EEENS1_21BinaryOpScalarFunctorIN3c107complexIfEELi1ELi1ELi0EEEJSt10multipliesIS8_ES8_EEEvT_T0_DpT1_: ; @_ZN2at6native12_GLOBAL__N_125multi_tensor_apply_kernelINS1_18TensorListMetadataILi1EEENS1_21BinaryOpScalarFunctorIN3c107complexIfEELi1ELi1ELi0EEEJSt10multipliesIS8_ES8_EEEvT_T0_DpT1_
; %bb.0:
	s_load_u8 s8, s[0:1], ttmp9 offset:0x6e0
	s_mov_b32 s2, ttmp9
	s_mov_b32 s3, 0
	s_delay_alu instid0(SALU_CYCLE_1) | instskip(SKIP_1) | instid1(SALU_CYCLE_1)
	s_mul_u64 s[4:5], s[2:3], 3
	s_add_nc_u64 s[6:7], s[0:1], s[2:3]
	s_add_nc_u64 s[4:5], s[6:7], s[4:5]
	s_load_b32 s4, s[4:5], 0x820
	s_wait_kmcnt 0x0
	s_lshl_b32 s2, s8, 3
	s_clause 0x2
	s_load_b64 s[8:9], s[0:1], s2 offset:0x0
	s_load_b64 s[10:11], s[0:1], s2 offset:0x370
	s_load_b64 s[6:7], s[0:1], 0xd30
	s_ashr_i32 s5, s4, 31
	s_delay_alu instid0(SALU_CYCLE_1)
	s_lshl_b64 s[12:13], s[4:5], 19
	s_lshl_b64 s[4:5], s[4:5], 16
	s_wait_kmcnt 0x0
	s_add_nc_u64 s[8:9], s[8:9], s[12:13]
	s_and_b32 s12, s10, 3
	s_and_b32 s2, s8, 31
	s_mov_b32 s13, s3
	s_sub_nc_u64 s[10:11], s[10:11], s[4:5]
	s_or_b64 s[2:3], s[2:3], s[12:13]
	s_delay_alu instid0(SALU_CYCLE_1)
	s_cmp_eq_u64 s[2:3], 0
	s_cbranch_scc1 .LBB32_19
; %bb.1:
	v_cmp_lt_i64_e64 s2, s[10:11], 1
	s_and_b32 vcc_lo, exec_lo, s2
	s_cbranch_vccnz .LBB32_18
; %bb.2:
	s_load_b32 s2, s[0:1], 0xd44
	v_cmp_gt_i64_e64 s3, 0x10000, s[10:11]
	s_mov_b64 s[4:5], src_private_base
	v_mov_b32_e32 v1, 0
	v_cmp_gt_u64_e64 s4, 0x10000, s[10:11]
	s_mov_b32 s13, 0
	s_mov_b64 s[18:19], 0
	s_and_b32 s3, s3, exec_lo
	v_mov_b32_e32 v2, v1
	s_cselect_b32 s15, s11, 0
	s_cselect_b32 s14, s10, 0x10000
	s_wait_kmcnt 0x0
	s_and_b32 s20, s2, 0xffff
	s_and_b32 s2, s4, exec_lo
	s_cselect_b32 s17, s11, 0
	s_cselect_b32 s16, s10, 0x10000
	s_lshl_b32 s21, s20, 1
	s_mul_i32 s22, s20, 3
	s_lshl_b32 s12, s20, 2
	s_branch .LBB32_4
.LBB32_3:                               ;   in Loop: Header=BB32_4 Depth=1
	s_wait_alu 0xfffe
	s_or_b32 exec_lo, exec_lo, s2
	s_add_nc_u64 s[18:19], s[18:19], s[12:13]
	s_wait_alu 0xfffe
	v_cmp_lt_i64_e64 s2, s[18:19], s[14:15]
	s_and_b32 vcc_lo, exec_lo, s2
	s_wait_alu 0xfffe
	s_cbranch_vccz .LBB32_18
.LBB32_4:                               ; =>This Inner Loop Header: Depth=1
	v_add_co_u32 v15, s2, s18, v0
	s_wait_alu 0xf1ff
	v_add_co_ci_u32_e64 v16, null, s19, 0, s2
	v_dual_mov_b32 v6, 0 :: v_dual_mov_b32 v5, 0
	s_delay_alu instid0(VALU_DEP_2)
	v_cmp_gt_u64_e32 vcc_lo, s[16:17], v[15:16]
	v_lshlrev_b64_e32 v[3:4], 3, v[15:16]
	s_and_saveexec_b32 s3, vcc_lo
	s_cbranch_execz .LBB32_6
; %bb.5:                                ;   in Loop: Header=BB32_4 Depth=1
	s_delay_alu instid0(VALU_DEP_1) | instskip(SKIP_1) | instid1(VALU_DEP_2)
	v_add_co_u32 v5, s2, s8, v3
	s_wait_alu 0xf1ff
	v_add_co_ci_u32_e64 v6, null, s9, v4, s2
	global_load_b64 v[5:6], v[5:6], off
.LBB32_6:                               ;   in Loop: Header=BB32_4 Depth=1
	s_wait_alu 0xfffe
	s_or_b32 exec_lo, exec_lo, s3
	v_add_co_u32 v7, s2, v15, s20
	s_wait_alu 0xf1ff
	v_add_co_ci_u32_e64 v8, null, 0, v16, s2
	v_dual_mov_b32 v10, 0 :: v_dual_mov_b32 v9, 0
	s_delay_alu instid0(VALU_DEP_2)
	v_cmp_gt_u64_e64 s2, s[16:17], v[7:8]
	v_lshlrev_b64_e32 v[7:8], 3, v[7:8]
	s_and_saveexec_b32 s4, s2
	s_cbranch_execz .LBB32_8
; %bb.7:                                ;   in Loop: Header=BB32_4 Depth=1
	s_delay_alu instid0(VALU_DEP_1) | instskip(SKIP_1) | instid1(VALU_DEP_2)
	v_add_co_u32 v9, s3, s8, v7
	s_wait_alu 0xf1ff
	v_add_co_ci_u32_e64 v10, null, s9, v8, s3
	global_load_b64 v[9:10], v[9:10], off
.LBB32_8:                               ;   in Loop: Header=BB32_4 Depth=1
	s_wait_alu 0xfffe
	s_or_b32 exec_lo, exec_lo, s4
	v_add_co_u32 v11, s3, v15, s21
	s_wait_alu 0xf1ff
	v_add_co_ci_u32_e64 v12, null, 0, v16, s3
	v_mov_b32_e32 v13, 0
	v_mov_b32_e32 v14, 0
	s_delay_alu instid0(VALU_DEP_3)
	v_cmp_gt_u64_e64 s3, s[16:17], v[11:12]
	v_lshlrev_b64_e32 v[11:12], 3, v[11:12]
	s_and_saveexec_b32 s23, s3
	s_cbranch_execz .LBB32_10
; %bb.9:                                ;   in Loop: Header=BB32_4 Depth=1
	s_delay_alu instid0(VALU_DEP_1) | instskip(SKIP_1) | instid1(VALU_DEP_2)
	v_add_co_u32 v13, s4, s8, v11
	s_wait_alu 0xf1ff
	v_add_co_ci_u32_e64 v14, null, s9, v12, s4
	global_load_b64 v[13:14], v[13:14], off
.LBB32_10:                              ;   in Loop: Header=BB32_4 Depth=1
	s_wait_alu 0xfffe
	s_or_b32 exec_lo, exec_lo, s23
	v_add_co_u32 v17, s4, v15, s22
	s_wait_alu 0xf1ff
	v_add_co_ci_u32_e64 v18, null, 0, v16, s4
	scratch_store_b64 off, v[1:2], off
	v_lshlrev_b64_e32 v[15:16], 3, v[17:18]
	s_delay_alu instid0(VALU_DEP_1) | instskip(SKIP_1) | instid1(VALU_DEP_2)
	v_add_co_u32 v15, s4, s8, v15
	s_wait_alu 0xf1ff
	v_add_co_ci_u32_e64 v16, null, s9, v16, s4
	v_cmp_gt_u64_e64 s4, s[16:17], v[17:18]
	s_wait_alu 0xf1ff
	s_delay_alu instid0(VALU_DEP_1) | instskip(SKIP_4) | instid1(VALU_DEP_1)
	v_cndmask_b32_e64 v18, s5, v16, s4
	v_cndmask_b32_e64 v17, 0, v15, s4
	flat_load_b64 v[17:18], v[17:18]
	s_wait_loadcnt_dscnt 0x0
	v_mul_f32_e32 v19, s6, v18
	v_dual_mul_f32 v20, s7, v18 :: v_dual_fmac_f32 v19, s7, v17
	s_delay_alu instid0(VALU_DEP_1)
	v_fma_f32 v18, s6, v17, -v20
	scratch_store_b64 off, v[18:19], off
	s_and_saveexec_b32 s23, vcc_lo
	s_cbranch_execnz .LBB32_14
; %bb.11:                               ;   in Loop: Header=BB32_4 Depth=1
	s_wait_alu 0xfffe
	s_or_b32 exec_lo, exec_lo, s23
	s_and_saveexec_b32 s23, s2
	s_cbranch_execnz .LBB32_15
.LBB32_12:                              ;   in Loop: Header=BB32_4 Depth=1
	s_wait_alu 0xfffe
	s_or_b32 exec_lo, exec_lo, s23
	s_and_saveexec_b32 s2, s3
	s_cbranch_execnz .LBB32_16
.LBB32_13:                              ;   in Loop: Header=BB32_4 Depth=1
	s_wait_alu 0xfffe
	s_or_b32 exec_lo, exec_lo, s2
	s_and_saveexec_b32 s2, s4
	s_cbranch_execz .LBB32_3
	s_branch .LBB32_17
.LBB32_14:                              ;   in Loop: Header=BB32_4 Depth=1
	v_dual_mul_f32 v17, s7, v6 :: v_dual_mul_f32 v18, s7, v5
	v_add_co_u32 v3, vcc_lo, s8, v3
	s_wait_alu 0xfffd
	v_add_co_ci_u32_e64 v4, null, s9, v4, vcc_lo
	s_delay_alu instid0(VALU_DEP_3)
	v_fma_f32 v17, v5, s6, -v17
	v_fmac_f32_e32 v18, s6, v6
	global_store_b64 v[3:4], v[17:18], off
	s_wait_alu 0xfffe
	s_or_b32 exec_lo, exec_lo, s23
	s_and_saveexec_b32 s23, s2
	s_cbranch_execz .LBB32_12
.LBB32_15:                              ;   in Loop: Header=BB32_4 Depth=1
	v_dual_mul_f32 v3, s7, v10 :: v_dual_mul_f32 v4, s7, v9
	v_add_co_u32 v5, vcc_lo, s8, v7
	s_wait_alu 0xfffd
	v_add_co_ci_u32_e64 v6, null, s9, v8, vcc_lo
	s_delay_alu instid0(VALU_DEP_3)
	v_fma_f32 v3, v9, s6, -v3
	v_fmac_f32_e32 v4, s6, v10
	global_store_b64 v[5:6], v[3:4], off
	s_wait_alu 0xfffe
	s_or_b32 exec_lo, exec_lo, s23
	s_and_saveexec_b32 s2, s3
	s_cbranch_execz .LBB32_13
.LBB32_16:                              ;   in Loop: Header=BB32_4 Depth=1
	v_mul_f32_e32 v4, s6, v14
	v_mul_f32_e32 v3, s7, v14
	v_add_co_u32 v5, vcc_lo, s8, v11
	s_wait_alu 0xfffd
	v_add_co_ci_u32_e64 v6, null, s9, v12, vcc_lo
	v_fmac_f32_e32 v4, s7, v13
	v_fma_f32 v3, s6, v13, -v3
	global_store_b64 v[5:6], v[3:4], off
	s_wait_alu 0xfffe
	s_or_b32 exec_lo, exec_lo, s2
	s_and_saveexec_b32 s2, s4
	s_cbranch_execz .LBB32_3
.LBB32_17:                              ;   in Loop: Header=BB32_4 Depth=1
	scratch_load_b64 v[3:4], off, off
	s_wait_loadcnt 0x0
	global_store_b64 v[15:16], v[3:4], off
	s_branch .LBB32_3
.LBB32_18:
	s_cbranch_execz .LBB32_20
	s_branch .LBB32_23
.LBB32_19:
.LBB32_20:
	v_cmp_gt_i64_e64 s2, 0x10000, s[10:11]
	v_dual_mov_b32 v2, 0 :: v_dual_lshlrev_b32 v1, 2, v0
	s_mov_b32 s4, 0
	s_mov_b32 s5, exec_lo
	s_and_b32 s2, s2, exec_lo
	s_cselect_b32 s3, s11, 0
	s_cselect_b32 s2, s10, 0x10000
	s_wait_alu 0xfffe
	v_cmpx_gt_i64_e64 s[2:3], v[1:2]
	s_cbranch_execz .LBB32_23
; %bb.21:
	s_load_b32 s0, s[0:1], 0xd44
	v_lshlrev_b32_e32 v3, 5, v0
	v_mov_b32_e32 v1, v2
	s_delay_alu instid0(VALU_DEP_2) | instskip(NEXT) | instid1(VALU_DEP_1)
	v_add_co_u32 v2, s1, s8, v3
	v_add_co_ci_u32_e64 v3, null, s9, 0, s1
	s_wait_kmcnt 0x0
	s_and_b32 s1, s0, 0xffff
	s_wait_alu 0xfffe
	s_lshl_b32 s5, s1, 5
.LBB32_22:                              ; =>This Inner Loop Header: Depth=1
	s_clause 0x1
	global_load_b128 v[4:7], v[2:3], off
	global_load_b128 v[8:11], v[2:3], off offset:16
	v_add_co_u32 v0, vcc_lo, v0, s1
	s_wait_alu 0xfffd
	v_add_co_ci_u32_e64 v1, null, 0, v1, vcc_lo
	s_delay_alu instid0(VALU_DEP_1) | instskip(NEXT) | instid1(VALU_DEP_1)
	v_lshlrev_b64_e32 v[15:16], 2, v[0:1]
	v_cmp_le_i64_e32 vcc_lo, s[2:3], v[15:16]
	s_or_b32 s4, vcc_lo, s4
	s_wait_loadcnt 0x1
	v_dual_mul_f32 v13, s7, v5 :: v_dual_mul_f32 v14, s6, v7
	v_dual_mul_f32 v12, s6, v5 :: v_dual_mul_f32 v17, s7, v7
	s_wait_loadcnt 0x0
	v_mul_f32_e32 v18, s7, v9
	v_mul_f32_e32 v5, s6, v9
	;; [unrolled: 1-line block ×3, first 2 shown]
	v_dual_mul_f32 v7, s6, v11 :: v_dual_fmac_f32 v14, s7, v6
	v_fma_f32 v11, v4, s6, -v13
	v_fmac_f32_e32 v12, s7, v4
	v_fma_f32 v13, v6, s6, -v17
	v_fma_f32 v4, v8, s6, -v18
	v_fmac_f32_e32 v5, s7, v8
	v_fma_f32 v6, s6, v10, -v9
	v_fmac_f32_e32 v7, s7, v10
	s_clause 0x1
	global_store_b128 v[2:3], v[11:14], off
	global_store_b128 v[2:3], v[4:7], off offset:16
	s_wait_alu 0xfffe
	v_add_co_u32 v2, s0, v2, s5
	s_wait_alu 0xf1ff
	v_add_co_ci_u32_e64 v3, null, 0, v3, s0
	scratch_store_b64 off, v[6:7], off
	s_and_not1_b32 exec_lo, exec_lo, s4
	s_cbranch_execnz .LBB32_22
.LBB32_23:
	s_endpgm
	.section	.rodata,"a",@progbits
	.p2align	6, 0x0
	.amdhsa_kernel _ZN2at6native12_GLOBAL__N_125multi_tensor_apply_kernelINS1_18TensorListMetadataILi1EEENS1_21BinaryOpScalarFunctorIN3c107complexIfEELi1ELi1ELi0EEEJSt10multipliesIS8_ES8_EEEvT_T0_DpT1_
		.amdhsa_group_segment_fixed_size 0
		.amdhsa_private_segment_fixed_size 16
		.amdhsa_kernarg_size 3640
		.amdhsa_user_sgpr_count 2
		.amdhsa_user_sgpr_dispatch_ptr 0
		.amdhsa_user_sgpr_queue_ptr 0
		.amdhsa_user_sgpr_kernarg_segment_ptr 1
		.amdhsa_user_sgpr_dispatch_id 0
		.amdhsa_user_sgpr_private_segment_size 0
		.amdhsa_wavefront_size32 1
		.amdhsa_uses_dynamic_stack 0
		.amdhsa_enable_private_segment 1
		.amdhsa_system_sgpr_workgroup_id_x 1
		.amdhsa_system_sgpr_workgroup_id_y 0
		.amdhsa_system_sgpr_workgroup_id_z 0
		.amdhsa_system_sgpr_workgroup_info 0
		.amdhsa_system_vgpr_workitem_id 0
		.amdhsa_next_free_vgpr 21
		.amdhsa_next_free_sgpr 24
		.amdhsa_reserve_vcc 1
		.amdhsa_float_round_mode_32 0
		.amdhsa_float_round_mode_16_64 0
		.amdhsa_float_denorm_mode_32 3
		.amdhsa_float_denorm_mode_16_64 3
		.amdhsa_fp16_overflow 0
		.amdhsa_workgroup_processor_mode 1
		.amdhsa_memory_ordered 1
		.amdhsa_forward_progress 1
		.amdhsa_inst_pref_size 11
		.amdhsa_round_robin_scheduling 0
		.amdhsa_exception_fp_ieee_invalid_op 0
		.amdhsa_exception_fp_denorm_src 0
		.amdhsa_exception_fp_ieee_div_zero 0
		.amdhsa_exception_fp_ieee_overflow 0
		.amdhsa_exception_fp_ieee_underflow 0
		.amdhsa_exception_fp_ieee_inexact 0
		.amdhsa_exception_int_div_zero 0
	.end_amdhsa_kernel
	.section	.text._ZN2at6native12_GLOBAL__N_125multi_tensor_apply_kernelINS1_18TensorListMetadataILi1EEENS1_21BinaryOpScalarFunctorIN3c107complexIfEELi1ELi1ELi0EEEJSt10multipliesIS8_ES8_EEEvT_T0_DpT1_,"axG",@progbits,_ZN2at6native12_GLOBAL__N_125multi_tensor_apply_kernelINS1_18TensorListMetadataILi1EEENS1_21BinaryOpScalarFunctorIN3c107complexIfEELi1ELi1ELi0EEEJSt10multipliesIS8_ES8_EEEvT_T0_DpT1_,comdat
.Lfunc_end32:
	.size	_ZN2at6native12_GLOBAL__N_125multi_tensor_apply_kernelINS1_18TensorListMetadataILi1EEENS1_21BinaryOpScalarFunctorIN3c107complexIfEELi1ELi1ELi0EEEJSt10multipliesIS8_ES8_EEEvT_T0_DpT1_, .Lfunc_end32-_ZN2at6native12_GLOBAL__N_125multi_tensor_apply_kernelINS1_18TensorListMetadataILi1EEENS1_21BinaryOpScalarFunctorIN3c107complexIfEELi1ELi1ELi0EEEJSt10multipliesIS8_ES8_EEEvT_T0_DpT1_
                                        ; -- End function
	.set _ZN2at6native12_GLOBAL__N_125multi_tensor_apply_kernelINS1_18TensorListMetadataILi1EEENS1_21BinaryOpScalarFunctorIN3c107complexIfEELi1ELi1ELi0EEEJSt10multipliesIS8_ES8_EEEvT_T0_DpT1_.num_vgpr, 21
	.set _ZN2at6native12_GLOBAL__N_125multi_tensor_apply_kernelINS1_18TensorListMetadataILi1EEENS1_21BinaryOpScalarFunctorIN3c107complexIfEELi1ELi1ELi0EEEJSt10multipliesIS8_ES8_EEEvT_T0_DpT1_.num_agpr, 0
	.set _ZN2at6native12_GLOBAL__N_125multi_tensor_apply_kernelINS1_18TensorListMetadataILi1EEENS1_21BinaryOpScalarFunctorIN3c107complexIfEELi1ELi1ELi0EEEJSt10multipliesIS8_ES8_EEEvT_T0_DpT1_.numbered_sgpr, 24
	.set _ZN2at6native12_GLOBAL__N_125multi_tensor_apply_kernelINS1_18TensorListMetadataILi1EEENS1_21BinaryOpScalarFunctorIN3c107complexIfEELi1ELi1ELi0EEEJSt10multipliesIS8_ES8_EEEvT_T0_DpT1_.num_named_barrier, 0
	.set _ZN2at6native12_GLOBAL__N_125multi_tensor_apply_kernelINS1_18TensorListMetadataILi1EEENS1_21BinaryOpScalarFunctorIN3c107complexIfEELi1ELi1ELi0EEEJSt10multipliesIS8_ES8_EEEvT_T0_DpT1_.private_seg_size, 16
	.set _ZN2at6native12_GLOBAL__N_125multi_tensor_apply_kernelINS1_18TensorListMetadataILi1EEENS1_21BinaryOpScalarFunctorIN3c107complexIfEELi1ELi1ELi0EEEJSt10multipliesIS8_ES8_EEEvT_T0_DpT1_.uses_vcc, 1
	.set _ZN2at6native12_GLOBAL__N_125multi_tensor_apply_kernelINS1_18TensorListMetadataILi1EEENS1_21BinaryOpScalarFunctorIN3c107complexIfEELi1ELi1ELi0EEEJSt10multipliesIS8_ES8_EEEvT_T0_DpT1_.uses_flat_scratch, 0
	.set _ZN2at6native12_GLOBAL__N_125multi_tensor_apply_kernelINS1_18TensorListMetadataILi1EEENS1_21BinaryOpScalarFunctorIN3c107complexIfEELi1ELi1ELi0EEEJSt10multipliesIS8_ES8_EEEvT_T0_DpT1_.has_dyn_sized_stack, 0
	.set _ZN2at6native12_GLOBAL__N_125multi_tensor_apply_kernelINS1_18TensorListMetadataILi1EEENS1_21BinaryOpScalarFunctorIN3c107complexIfEELi1ELi1ELi0EEEJSt10multipliesIS8_ES8_EEEvT_T0_DpT1_.has_recursion, 0
	.set _ZN2at6native12_GLOBAL__N_125multi_tensor_apply_kernelINS1_18TensorListMetadataILi1EEENS1_21BinaryOpScalarFunctorIN3c107complexIfEELi1ELi1ELi0EEEJSt10multipliesIS8_ES8_EEEvT_T0_DpT1_.has_indirect_call, 0
	.section	.AMDGPU.csdata,"",@progbits
; Kernel info:
; codeLenInByte = 1380
; TotalNumSgprs: 26
; NumVgprs: 21
; ScratchSize: 16
; MemoryBound: 0
; FloatMode: 240
; IeeeMode: 1
; LDSByteSize: 0 bytes/workgroup (compile time only)
; SGPRBlocks: 0
; VGPRBlocks: 2
; NumSGPRsForWavesPerEU: 26
; NumVGPRsForWavesPerEU: 21
; Occupancy: 16
; WaveLimiterHint : 0
; COMPUTE_PGM_RSRC2:SCRATCH_EN: 1
; COMPUTE_PGM_RSRC2:USER_SGPR: 2
; COMPUTE_PGM_RSRC2:TRAP_HANDLER: 0
; COMPUTE_PGM_RSRC2:TGID_X_EN: 1
; COMPUTE_PGM_RSRC2:TGID_Y_EN: 0
; COMPUTE_PGM_RSRC2:TGID_Z_EN: 0
; COMPUTE_PGM_RSRC2:TIDIG_COMP_CNT: 0
	.section	.text._ZN2at6native12_GLOBAL__N_125multi_tensor_apply_kernelINS1_18TensorListMetadataILi1EEENS1_21BinaryOpScalarFunctorIbLi1ELi1ELi0EEEJSt10multipliesIbEbEEEvT_T0_DpT1_,"axG",@progbits,_ZN2at6native12_GLOBAL__N_125multi_tensor_apply_kernelINS1_18TensorListMetadataILi1EEENS1_21BinaryOpScalarFunctorIbLi1ELi1ELi0EEEJSt10multipliesIbEbEEEvT_T0_DpT1_,comdat
	.globl	_ZN2at6native12_GLOBAL__N_125multi_tensor_apply_kernelINS1_18TensorListMetadataILi1EEENS1_21BinaryOpScalarFunctorIbLi1ELi1ELi0EEEJSt10multipliesIbEbEEEvT_T0_DpT1_ ; -- Begin function _ZN2at6native12_GLOBAL__N_125multi_tensor_apply_kernelINS1_18TensorListMetadataILi1EEENS1_21BinaryOpScalarFunctorIbLi1ELi1ELi0EEEJSt10multipliesIbEbEEEvT_T0_DpT1_
	.p2align	8
	.type	_ZN2at6native12_GLOBAL__N_125multi_tensor_apply_kernelINS1_18TensorListMetadataILi1EEENS1_21BinaryOpScalarFunctorIbLi1ELi1ELi0EEEJSt10multipliesIbEbEEEvT_T0_DpT1_,@function
_ZN2at6native12_GLOBAL__N_125multi_tensor_apply_kernelINS1_18TensorListMetadataILi1EEENS1_21BinaryOpScalarFunctorIbLi1ELi1ELi0EEEJSt10multipliesIbEbEEEvT_T0_DpT1_: ; @_ZN2at6native12_GLOBAL__N_125multi_tensor_apply_kernelINS1_18TensorListMetadataILi1EEENS1_21BinaryOpScalarFunctorIbLi1ELi1ELi0EEEJSt10multipliesIbEbEEEvT_T0_DpT1_
; %bb.0:
	s_clause 0x1
	s_load_b32 s6, s[0:1], 0xd28
	s_load_u8 s7, s[0:1], ttmp9 offset:0x6e0
	s_mov_b32 s2, ttmp9
	s_mov_b32 s3, 0
	s_delay_alu instid0(SALU_CYCLE_1) | instskip(SKIP_1) | instid1(SALU_CYCLE_1)
	s_mul_u64 s[4:5], s[2:3], 3
	s_add_nc_u64 s[2:3], s[0:1], s[2:3]
	s_add_nc_u64 s[2:3], s[2:3], s[4:5]
	s_wait_kmcnt 0x0
	s_bitcmp1_b32 s6, 16
	s_cselect_b32 s20, -1, 0
	s_lshl_b32 s6, s7, 3
	s_clause 0x2
	s_load_b64 s[4:5], s[0:1], s6 offset:0x370
	s_load_b64 s[6:7], s[0:1], s6 offset:0x0
	s_load_b32 s2, s[2:3], 0x820
	s_wait_kmcnt 0x0
	s_or_b32 s8, s4, s6
	s_ashr_i32 s3, s2, 31
	s_and_b32 s10, s8, 3
	s_lshl_b64 s[8:9], s[2:3], 16
	s_cmp_eq_u32 s10, 0
	s_sub_nc_u64 s[10:11], s[4:5], s[8:9]
	s_cbranch_scc1 .LBB33_21
; %bb.1:
	v_cmp_lt_i64_e64 s2, s[10:11], 1
	s_and_b32 vcc_lo, exec_lo, s2
	s_cbranch_vccnz .LBB33_20
; %bb.2:
	s_load_b32 s2, s[0:1], 0xd3c
	v_cmp_gt_i64_e64 s4, 0x10000, s[10:11]
	s_mov_b32 s17, 0
	v_cmp_gt_u64_e64 s14, 0x10000, s[10:11]
	s_mov_b32 s5, s17
	v_add_co_u32 v11, s3, s8, v0
	s_and_b32 s4, s4, exec_lo
	s_cselect_b32 s13, s11, 0
	s_cselect_b32 s12, s10, 0x10000
	v_add_co_ci_u32_e64 v12, null, s9, 0, s3
	s_mov_b32 s3, s17
	v_add_co_u32 v1, vcc_lo, s6, v11
	s_delay_alu instid0(VALU_DEP_1)
	v_add_co_ci_u32_e64 v2, null, s7, v12, vcc_lo
	s_wait_kmcnt 0x0
	s_and_b32 s16, s2, 0xffff
	s_and_b32 s2, s14, exec_lo
	s_mul_i32 s4, s16, 3
	s_cselect_b32 s15, s11, 0
	s_add_nc_u64 s[18:19], s[8:9], s[4:5]
	s_cselect_b32 s14, s10, 0x10000
	s_add_nc_u64 s[18:19], s[6:7], s[18:19]
	s_lshl_b32 s2, s16, 1
	v_add_co_u32 v3, s5, s18, v0
	s_delay_alu instid0(VALU_DEP_1)
	v_add_co_ci_u32_e64 v4, null, s19, 0, s5
	s_wait_alu 0xfffe
	s_add_nc_u64 s[18:19], s[8:9], s[2:3]
	v_add_co_u32 v5, s3, s4, v0
	s_wait_alu 0xfffe
	s_add_nc_u64 s[4:5], s[6:7], s[18:19]
	v_add_co_ci_u32_e64 v6, null, 0, 0, s3
	s_wait_alu 0xfffe
	v_add_co_u32 v7, s3, s4, v0
	v_add_co_u32 v9, s2, s2, v0
	s_wait_alu 0xf1ff
	v_add_co_ci_u32_e64 v8, null, s5, 0, s3
	v_add_co_ci_u32_e64 v10, null, 0, 0, s2
	s_add_nc_u64 s[2:3], s[6:7], s[16:17]
	s_mov_b64 s[18:19], 0
	s_wait_alu 0xfffe
	v_add_co_u32 v11, vcc_lo, s2, v11
	v_add_co_u32 v13, s2, v0, s16
	s_wait_alu 0xfffd
	v_add_co_ci_u32_e64 v12, null, s3, v12, vcc_lo
	s_wait_alu 0xf1ff
	v_add_co_ci_u32_e64 v14, null, 0, 0, s2
	s_lshl_b32 s16, s16, 2
	s_branch .LBB33_4
.LBB33_3:                               ;   in Loop: Header=BB33_4 Depth=1
	s_wait_alu 0xfffe
	s_or_b32 exec_lo, exec_lo, s2
	s_add_nc_u64 s[18:19], s[18:19], s[16:17]
	s_wait_alu 0xfffe
	v_cmp_lt_i64_e64 s2, s[18:19], s[12:13]
	s_and_b32 vcc_lo, exec_lo, s2
	s_wait_alu 0xfffe
	s_cbranch_vccz .LBB33_20
.LBB33_4:                               ; =>This Inner Loop Header: Depth=1
	v_add_co_u32 v15, s2, v0, s18
	s_wait_alu 0xf1ff
	v_add_co_ci_u32_e64 v16, null, 0, s19, s2
	s_mov_b32 s22, 0
	v_cmp_gt_u64_e32 vcc_lo, s[14:15], v[15:16]
	s_and_saveexec_b32 s3, vcc_lo
	s_cbranch_execz .LBB33_6
; %bb.5:                                ;   in Loop: Header=BB33_4 Depth=1
	v_add_co_u32 v15, s2, v1, s18
	s_wait_alu 0xf1ff
	v_add_co_ci_u32_e64 v16, null, s19, v2, s2
	global_load_u8 v15, v[15:16], off
	s_wait_loadcnt 0x0
	v_cmp_ne_u16_e64 s2, 0, v15
	s_and_b32 s22, s2, exec_lo
.LBB33_6:                               ;   in Loop: Header=BB33_4 Depth=1
	s_wait_alu 0xfffe
	s_or_b32 exec_lo, exec_lo, s3
	v_add_co_u32 v15, s2, v13, s18
	s_wait_alu 0xf1ff
	v_add_co_ci_u32_e64 v16, null, s19, v14, s2
	s_mov_b32 s21, 0
	s_mov_b32 s23, 0
	v_cmp_gt_u64_e64 s2, s[14:15], v[15:16]
	s_and_saveexec_b32 s4, s2
	s_cbranch_execz .LBB33_8
; %bb.7:                                ;   in Loop: Header=BB33_4 Depth=1
	v_add_co_u32 v15, s3, v11, s18
	s_wait_alu 0xf1ff
	v_add_co_ci_u32_e64 v16, null, s19, v12, s3
	global_load_u8 v15, v[15:16], off
	s_wait_loadcnt 0x0
	v_cmp_ne_u16_e64 s3, 0, v15
	s_and_b32 s23, s3, exec_lo
.LBB33_8:                               ;   in Loop: Header=BB33_4 Depth=1
	s_wait_alu 0xfffe
	s_or_b32 exec_lo, exec_lo, s4
	v_add_co_u32 v15, s3, v9, s18
	s_wait_alu 0xf1ff
	v_add_co_ci_u32_e64 v16, null, s19, v10, s3
	s_delay_alu instid0(VALU_DEP_1)
	v_cmp_gt_u64_e64 s3, s[14:15], v[15:16]
	s_and_saveexec_b32 s5, s3
	s_cbranch_execz .LBB33_10
; %bb.9:                                ;   in Loop: Header=BB33_4 Depth=1
	v_add_co_u32 v15, s4, v7, s18
	s_wait_alu 0xf1ff
	v_add_co_ci_u32_e64 v16, null, s19, v8, s4
	global_load_u8 v15, v[15:16], off
	s_wait_loadcnt 0x0
	v_cmp_ne_u16_e64 s4, 0, v15
	s_and_b32 s21, s4, exec_lo
.LBB33_10:                              ;   in Loop: Header=BB33_4 Depth=1
	s_wait_alu 0xfffe
	s_or_b32 exec_lo, exec_lo, s5
	v_add_co_u32 v15, s4, v5, s18
	s_wait_alu 0xf1ff
	v_add_co_ci_u32_e64 v16, null, s19, v6, s4
	s_mov_b32 s5, 0
	v_cmp_gt_u64_e64 s4, s[14:15], v[15:16]
	s_and_saveexec_b32 s24, s4
	s_cbranch_execnz .LBB33_15
; %bb.11:                               ;   in Loop: Header=BB33_4 Depth=1
	s_or_b32 exec_lo, exec_lo, s24
	s_and_saveexec_b32 s24, vcc_lo
	s_cbranch_execnz .LBB33_16
.LBB33_12:                              ;   in Loop: Header=BB33_4 Depth=1
	s_or_b32 exec_lo, exec_lo, s24
	s_and_saveexec_b32 s22, s2
	s_cbranch_execnz .LBB33_17
.LBB33_13:                              ;   in Loop: Header=BB33_4 Depth=1
	s_wait_alu 0xfffe
	s_or_b32 exec_lo, exec_lo, s22
	s_and_saveexec_b32 s2, s3
	s_cbranch_execnz .LBB33_18
.LBB33_14:                              ;   in Loop: Header=BB33_4 Depth=1
	s_wait_alu 0xfffe
	s_or_b32 exec_lo, exec_lo, s2
	s_and_saveexec_b32 s2, s4
	s_cbranch_execz .LBB33_3
	s_branch .LBB33_19
.LBB33_15:                              ;   in Loop: Header=BB33_4 Depth=1
	v_add_co_u32 v15, s5, v3, s18
	s_wait_alu 0xf1fe
	v_add_co_ci_u32_e64 v16, null, s19, v4, s5
	global_load_u8 v15, v[15:16], off
	s_wait_loadcnt 0x0
	v_cmp_ne_u16_e64 s5, 0, v15
	s_and_b32 s5, s5, exec_lo
	s_or_b32 exec_lo, exec_lo, s24
	s_and_saveexec_b32 s24, vcc_lo
	s_cbranch_execz .LBB33_12
.LBB33_16:                              ;   in Loop: Header=BB33_4 Depth=1
	s_and_b32 s22, s20, s22
	v_add_co_u32 v15, vcc_lo, v1, s18
	s_wait_alu 0xfffe
	v_cndmask_b32_e64 v17, 0, 1, s22
	s_wait_alu 0xfffd
	v_add_co_ci_u32_e64 v16, null, s19, v2, vcc_lo
	global_store_b8 v[15:16], v17, off
	s_or_b32 exec_lo, exec_lo, s24
	s_and_saveexec_b32 s22, s2
	s_cbranch_execz .LBB33_13
.LBB33_17:                              ;   in Loop: Header=BB33_4 Depth=1
	s_and_b32 s2, s20, s23
	v_add_co_u32 v15, vcc_lo, v11, s18
	s_wait_alu 0xfffe
	v_cndmask_b32_e64 v17, 0, 1, s2
	s_wait_alu 0xfffd
	v_add_co_ci_u32_e64 v16, null, s19, v12, vcc_lo
	global_store_b8 v[15:16], v17, off
	s_or_b32 exec_lo, exec_lo, s22
	s_and_saveexec_b32 s2, s3
	s_cbranch_execz .LBB33_14
.LBB33_18:                              ;   in Loop: Header=BB33_4 Depth=1
	s_and_b32 s3, s20, s21
	v_add_co_u32 v15, vcc_lo, v7, s18
	s_wait_alu 0xfffe
	v_cndmask_b32_e64 v17, 0, 1, s3
	s_wait_alu 0xfffd
	v_add_co_ci_u32_e64 v16, null, s19, v8, vcc_lo
	global_store_b8 v[15:16], v17, off
	s_or_b32 exec_lo, exec_lo, s2
	s_and_saveexec_b32 s2, s4
	s_cbranch_execz .LBB33_3
.LBB33_19:                              ;   in Loop: Header=BB33_4 Depth=1
	s_and_b32 s3, s20, s5
	v_add_co_u32 v15, vcc_lo, v3, s18
	s_wait_alu 0xfffe
	v_cndmask_b32_e64 v17, 0, 1, s3
	s_wait_alu 0xfffd
	v_add_co_ci_u32_e64 v16, null, s19, v4, vcc_lo
	global_store_b8 v[15:16], v17, off
	s_branch .LBB33_3
.LBB33_20:
	s_cbranch_execz .LBB33_22
	s_branch .LBB33_25
.LBB33_21:
.LBB33_22:
	v_cmp_gt_i64_e64 s2, 0x10000, s[10:11]
	v_dual_mov_b32 v3, 0 :: v_dual_lshlrev_b32 v2, 2, v0
	s_mov_b32 s3, 0
	s_and_b32 s2, s2, exec_lo
	s_cselect_b32 s5, s11, 0
	s_cselect_b32 s4, s10, 0x10000
	s_mov_b32 s2, exec_lo
	s_wait_alu 0xfffe
	v_cmpx_gt_i64_e64 s[4:5], v[2:3]
	s_cbranch_execz .LBB33_25
; %bb.23:
	s_load_b32 s2, s[0:1], 0xd3c
	s_add_nc_u64 s[0:1], s[6:7], s[8:9]
	v_mov_b32_e32 v1, v3
	v_add_co_u32 v2, s0, s0, v2
	s_wait_alu 0xf1ff
	v_add_co_ci_u32_e64 v3, null, s1, 0, s0
	s_wait_kmcnt 0x0
	s_and_b32 s6, s2, 0xffff
	s_wait_alu 0xfffe
	s_lshl_b32 s7, s6, 2
.LBB33_24:                              ; =>This Inner Loop Header: Depth=1
	global_load_b32 v4, v[2:3], off
	s_wait_loadcnt 0x0
	v_and_b32_e32 v5, 0xff00, v4
	v_and_b32_e32 v6, 0xff, v4
	v_and_b32_e32 v7, 0xff0000, v4
	v_cmp_lt_u32_e32 vcc_lo, 0xffffff, v4
	s_delay_alu instid0(VALU_DEP_4) | instskip(NEXT) | instid1(VALU_DEP_4)
	v_cmp_ne_u32_e64 s0, 0, v5
	v_cmp_ne_u32_e64 s1, 0, v6
	s_delay_alu instid0(VALU_DEP_4)
	v_cmp_ne_u32_e64 s2, 0, v7
	s_and_b32 s8, s20, vcc_lo
	v_add_co_u32 v0, vcc_lo, v0, s6
	s_and_b32 s0, s20, s0
	s_wait_alu 0xfffe
	v_cndmask_b32_e64 v4, 0, 1, s8
	v_cndmask_b32_e64 v5, 0, 1, s0
	s_and_b32 s0, s20, s1
	s_wait_alu 0xfffd
	v_add_co_ci_u32_e64 v1, null, 0, v1, vcc_lo
	s_wait_alu 0xfffe
	v_cndmask_b32_e64 v6, 0, 1, s0
	s_and_b32 s0, s20, s2
	v_lshlrev_b16 v4, 8, v4
	s_wait_alu 0xfffe
	v_cndmask_b32_e64 v7, 0, 1, s0
	v_lshlrev_b16 v5, 8, v5
	s_delay_alu instid0(VALU_DEP_2) | instskip(NEXT) | instid1(VALU_DEP_2)
	v_or_b32_e32 v4, v7, v4
	v_or_b32_e32 v5, v6, v5
	s_delay_alu instid0(VALU_DEP_2) | instskip(NEXT) | instid1(VALU_DEP_2)
	v_lshlrev_b32_e32 v6, 16, v4
	v_and_b32_e32 v7, 0xffff, v5
	v_lshlrev_b64_e32 v[4:5], 2, v[0:1]
	s_delay_alu instid0(VALU_DEP_2) | instskip(NEXT) | instid1(VALU_DEP_2)
	v_or_b32_e32 v6, v7, v6
	v_cmp_le_i64_e32 vcc_lo, s[4:5], v[4:5]
	global_store_b32 v[2:3], v6, off
	v_add_co_u32 v2, s0, v2, s7
	s_wait_alu 0xf1ff
	v_add_co_ci_u32_e64 v3, null, 0, v3, s0
	s_or_b32 s3, vcc_lo, s3
	s_wait_alu 0xfffe
	s_and_not1_b32 exec_lo, exec_lo, s3
	s_cbranch_execnz .LBB33_24
.LBB33_25:
	s_endpgm
	.section	.rodata,"a",@progbits
	.p2align	6, 0x0
	.amdhsa_kernel _ZN2at6native12_GLOBAL__N_125multi_tensor_apply_kernelINS1_18TensorListMetadataILi1EEENS1_21BinaryOpScalarFunctorIbLi1ELi1ELi0EEEJSt10multipliesIbEbEEEvT_T0_DpT1_
		.amdhsa_group_segment_fixed_size 0
		.amdhsa_private_segment_fixed_size 0
		.amdhsa_kernarg_size 3632
		.amdhsa_user_sgpr_count 2
		.amdhsa_user_sgpr_dispatch_ptr 0
		.amdhsa_user_sgpr_queue_ptr 0
		.amdhsa_user_sgpr_kernarg_segment_ptr 1
		.amdhsa_user_sgpr_dispatch_id 0
		.amdhsa_user_sgpr_private_segment_size 0
		.amdhsa_wavefront_size32 1
		.amdhsa_uses_dynamic_stack 0
		.amdhsa_enable_private_segment 0
		.amdhsa_system_sgpr_workgroup_id_x 1
		.amdhsa_system_sgpr_workgroup_id_y 0
		.amdhsa_system_sgpr_workgroup_id_z 0
		.amdhsa_system_sgpr_workgroup_info 0
		.amdhsa_system_vgpr_workitem_id 0
		.amdhsa_next_free_vgpr 18
		.amdhsa_next_free_sgpr 25
		.amdhsa_reserve_vcc 1
		.amdhsa_float_round_mode_32 0
		.amdhsa_float_round_mode_16_64 0
		.amdhsa_float_denorm_mode_32 3
		.amdhsa_float_denorm_mode_16_64 3
		.amdhsa_fp16_overflow 0
		.amdhsa_workgroup_processor_mode 1
		.amdhsa_memory_ordered 1
		.amdhsa_forward_progress 1
		.amdhsa_inst_pref_size 13
		.amdhsa_round_robin_scheduling 0
		.amdhsa_exception_fp_ieee_invalid_op 0
		.amdhsa_exception_fp_denorm_src 0
		.amdhsa_exception_fp_ieee_div_zero 0
		.amdhsa_exception_fp_ieee_overflow 0
		.amdhsa_exception_fp_ieee_underflow 0
		.amdhsa_exception_fp_ieee_inexact 0
		.amdhsa_exception_int_div_zero 0
	.end_amdhsa_kernel
	.section	.text._ZN2at6native12_GLOBAL__N_125multi_tensor_apply_kernelINS1_18TensorListMetadataILi1EEENS1_21BinaryOpScalarFunctorIbLi1ELi1ELi0EEEJSt10multipliesIbEbEEEvT_T0_DpT1_,"axG",@progbits,_ZN2at6native12_GLOBAL__N_125multi_tensor_apply_kernelINS1_18TensorListMetadataILi1EEENS1_21BinaryOpScalarFunctorIbLi1ELi1ELi0EEEJSt10multipliesIbEbEEEvT_T0_DpT1_,comdat
.Lfunc_end33:
	.size	_ZN2at6native12_GLOBAL__N_125multi_tensor_apply_kernelINS1_18TensorListMetadataILi1EEENS1_21BinaryOpScalarFunctorIbLi1ELi1ELi0EEEJSt10multipliesIbEbEEEvT_T0_DpT1_, .Lfunc_end33-_ZN2at6native12_GLOBAL__N_125multi_tensor_apply_kernelINS1_18TensorListMetadataILi1EEENS1_21BinaryOpScalarFunctorIbLi1ELi1ELi0EEEJSt10multipliesIbEbEEEvT_T0_DpT1_
                                        ; -- End function
	.set _ZN2at6native12_GLOBAL__N_125multi_tensor_apply_kernelINS1_18TensorListMetadataILi1EEENS1_21BinaryOpScalarFunctorIbLi1ELi1ELi0EEEJSt10multipliesIbEbEEEvT_T0_DpT1_.num_vgpr, 18
	.set _ZN2at6native12_GLOBAL__N_125multi_tensor_apply_kernelINS1_18TensorListMetadataILi1EEENS1_21BinaryOpScalarFunctorIbLi1ELi1ELi0EEEJSt10multipliesIbEbEEEvT_T0_DpT1_.num_agpr, 0
	.set _ZN2at6native12_GLOBAL__N_125multi_tensor_apply_kernelINS1_18TensorListMetadataILi1EEENS1_21BinaryOpScalarFunctorIbLi1ELi1ELi0EEEJSt10multipliesIbEbEEEvT_T0_DpT1_.numbered_sgpr, 25
	.set _ZN2at6native12_GLOBAL__N_125multi_tensor_apply_kernelINS1_18TensorListMetadataILi1EEENS1_21BinaryOpScalarFunctorIbLi1ELi1ELi0EEEJSt10multipliesIbEbEEEvT_T0_DpT1_.num_named_barrier, 0
	.set _ZN2at6native12_GLOBAL__N_125multi_tensor_apply_kernelINS1_18TensorListMetadataILi1EEENS1_21BinaryOpScalarFunctorIbLi1ELi1ELi0EEEJSt10multipliesIbEbEEEvT_T0_DpT1_.private_seg_size, 0
	.set _ZN2at6native12_GLOBAL__N_125multi_tensor_apply_kernelINS1_18TensorListMetadataILi1EEENS1_21BinaryOpScalarFunctorIbLi1ELi1ELi0EEEJSt10multipliesIbEbEEEvT_T0_DpT1_.uses_vcc, 1
	.set _ZN2at6native12_GLOBAL__N_125multi_tensor_apply_kernelINS1_18TensorListMetadataILi1EEENS1_21BinaryOpScalarFunctorIbLi1ELi1ELi0EEEJSt10multipliesIbEbEEEvT_T0_DpT1_.uses_flat_scratch, 0
	.set _ZN2at6native12_GLOBAL__N_125multi_tensor_apply_kernelINS1_18TensorListMetadataILi1EEENS1_21BinaryOpScalarFunctorIbLi1ELi1ELi0EEEJSt10multipliesIbEbEEEvT_T0_DpT1_.has_dyn_sized_stack, 0
	.set _ZN2at6native12_GLOBAL__N_125multi_tensor_apply_kernelINS1_18TensorListMetadataILi1EEENS1_21BinaryOpScalarFunctorIbLi1ELi1ELi0EEEJSt10multipliesIbEbEEEvT_T0_DpT1_.has_recursion, 0
	.set _ZN2at6native12_GLOBAL__N_125multi_tensor_apply_kernelINS1_18TensorListMetadataILi1EEENS1_21BinaryOpScalarFunctorIbLi1ELi1ELi0EEEJSt10multipliesIbEbEEEvT_T0_DpT1_.has_indirect_call, 0
	.section	.AMDGPU.csdata,"",@progbits
; Kernel info:
; codeLenInByte = 1540
; TotalNumSgprs: 27
; NumVgprs: 18
; ScratchSize: 0
; MemoryBound: 0
; FloatMode: 240
; IeeeMode: 1
; LDSByteSize: 0 bytes/workgroup (compile time only)
; SGPRBlocks: 0
; VGPRBlocks: 2
; NumSGPRsForWavesPerEU: 27
; NumVGPRsForWavesPerEU: 18
; Occupancy: 16
; WaveLimiterHint : 0
; COMPUTE_PGM_RSRC2:SCRATCH_EN: 0
; COMPUTE_PGM_RSRC2:USER_SGPR: 2
; COMPUTE_PGM_RSRC2:TRAP_HANDLER: 0
; COMPUTE_PGM_RSRC2:TGID_X_EN: 1
; COMPUTE_PGM_RSRC2:TGID_Y_EN: 0
; COMPUTE_PGM_RSRC2:TGID_Z_EN: 0
; COMPUTE_PGM_RSRC2:TIDIG_COMP_CNT: 0
	.section	.text._ZN2at6native12_GLOBAL__N_125multi_tensor_apply_kernelINS1_18TensorListMetadataILi1EEENS1_21BinaryOpScalarFunctorIN3c104HalfELi1ELi1ELi0EEEJSt10multipliesIfEfEEEvT_T0_DpT1_,"axG",@progbits,_ZN2at6native12_GLOBAL__N_125multi_tensor_apply_kernelINS1_18TensorListMetadataILi1EEENS1_21BinaryOpScalarFunctorIN3c104HalfELi1ELi1ELi0EEEJSt10multipliesIfEfEEEvT_T0_DpT1_,comdat
	.globl	_ZN2at6native12_GLOBAL__N_125multi_tensor_apply_kernelINS1_18TensorListMetadataILi1EEENS1_21BinaryOpScalarFunctorIN3c104HalfELi1ELi1ELi0EEEJSt10multipliesIfEfEEEvT_T0_DpT1_ ; -- Begin function _ZN2at6native12_GLOBAL__N_125multi_tensor_apply_kernelINS1_18TensorListMetadataILi1EEENS1_21BinaryOpScalarFunctorIN3c104HalfELi1ELi1ELi0EEEJSt10multipliesIfEfEEEvT_T0_DpT1_
	.p2align	8
	.type	_ZN2at6native12_GLOBAL__N_125multi_tensor_apply_kernelINS1_18TensorListMetadataILi1EEENS1_21BinaryOpScalarFunctorIN3c104HalfELi1ELi1ELi0EEEJSt10multipliesIfEfEEEvT_T0_DpT1_,@function
_ZN2at6native12_GLOBAL__N_125multi_tensor_apply_kernelINS1_18TensorListMetadataILi1EEENS1_21BinaryOpScalarFunctorIN3c104HalfELi1ELi1ELi0EEEJSt10multipliesIfEfEEEvT_T0_DpT1_: ; @_ZN2at6native12_GLOBAL__N_125multi_tensor_apply_kernelINS1_18TensorListMetadataILi1EEENS1_21BinaryOpScalarFunctorIN3c104HalfELi1ELi1ELi0EEEJSt10multipliesIfEfEEEvT_T0_DpT1_
; %bb.0:
	s_load_u8 s8, s[0:1], ttmp9 offset:0x6e0
	s_mov_b32 s2, ttmp9
	s_mov_b32 s3, 0
	s_delay_alu instid0(SALU_CYCLE_1)
	s_mul_u64 s[4:5], s[2:3], 3
	s_add_nc_u64 s[6:7], s[0:1], s[2:3]
	s_mov_b32 s13, s3
	s_add_nc_u64 s[4:5], s[6:7], s[4:5]
	s_load_b32 s4, s[4:5], 0x820
	s_wait_kmcnt 0x0
	s_lshl_b32 s2, s8, 3
	s_clause 0x2
	s_load_b64 s[6:7], s[0:1], s2 offset:0x0
	s_load_b64 s[10:11], s[0:1], s2 offset:0x370
	s_load_b32 s22, s[0:1], 0xd2c
	s_ashr_i32 s5, s4, 31
	s_delay_alu instid0(SALU_CYCLE_1)
	s_lshl_b64 s[8:9], s[4:5], 17
	s_lshl_b64 s[4:5], s[4:5], 16
	s_wait_kmcnt 0x0
	s_and_b32 s2, s6, 7
	s_and_b32 s12, s10, 3
	s_sub_nc_u64 s[10:11], s[10:11], s[4:5]
	s_or_b64 s[2:3], s[2:3], s[12:13]
	s_delay_alu instid0(SALU_CYCLE_1)
	s_cmp_eq_u64 s[2:3], 0
	s_cbranch_scc1 .LBB34_21
; %bb.1:
	v_cmp_lt_i64_e64 s2, s[10:11], 1
	s_and_b32 vcc_lo, exec_lo, s2
	s_cbranch_vccnz .LBB34_20
; %bb.2:
	s_load_b32 s2, s[0:1], 0xd3c
	v_cmp_gt_i64_e64 s12, 0x10000, s[10:11]
	v_lshlrev_b32_e32 v1, 1, v0
	s_add_nc_u64 s[4:5], s[6:7], s[8:9]
	v_cmp_gt_u64_e64 s14, 0x10000, s[10:11]
	s_mov_b32 s3, 0
	v_add_co_u32 v1, s13, s4, v1
	s_and_b32 s12, s12, exec_lo
	v_add_co_ci_u32_e64 v2, null, s5, 0, s13
	s_cselect_b32 s13, s11, 0
	s_cselect_b32 s12, s10, 0x10000
	s_wait_kmcnt 0x0
	s_and_b32 s2, s2, 0xffff
	s_and_b32 s14, s14, exec_lo
	v_add_co_u32 v5, s21, v0, s2
	s_cselect_b32 s15, s11, 0
	s_cselect_b32 s14, s10, 0x10000
	s_lshl_b32 s17, s2, 1
	v_lshlrev_b32_e32 v3, 1, v5
	s_mul_i32 s20, s2, 3
	v_add_co_u32 v9, s17, s17, v0
	v_add_co_u32 v6, s20, s20, v0
	s_delay_alu instid0(VALU_DEP_3)
	v_add_co_u32 v3, s4, s4, v3
	s_wait_alu 0xf1ff
	v_add_co_ci_u32_e64 v7, null, 0, 0, s20
	v_add_co_ci_u32_e64 v8, null, 0, 0, s21
	;; [unrolled: 1-line block ×4, first 2 shown]
	s_lshl_b32 s16, s2, 2
	s_mul_u64 s[18:19], s[2:3], 6
	s_mov_b32 s17, s3
	s_lshl_b32 s23, s2, 3
	s_mov_b64 s[20:21], 0
	s_branch .LBB34_4
.LBB34_3:                               ;   in Loop: Header=BB34_4 Depth=1
	s_wait_alu 0xfffe
	s_or_b32 exec_lo, exec_lo, s2
	s_add_nc_u64 s[20:21], s[20:21], s[16:17]
	v_add_co_u32 v1, vcc_lo, v1, s23
	s_wait_alu 0xfffe
	v_cmp_lt_i64_e64 s2, s[20:21], s[12:13]
	s_wait_alu 0xfffd
	v_add_co_ci_u32_e64 v2, null, 0, v2, vcc_lo
	v_add_co_u32 v3, vcc_lo, v3, s23
	s_wait_alu 0xfffd
	v_add_co_ci_u32_e64 v4, null, 0, v4, vcc_lo
	s_and_b32 vcc_lo, exec_lo, s2
	s_wait_alu 0xfffe
	s_cbranch_vccz .LBB34_20
.LBB34_4:                               ; =>This Inner Loop Header: Depth=1
	s_wait_alu 0xfffe
	v_add_co_u32 v11, s2, v0, s20
	s_wait_alu 0xf1ff
	v_add_co_ci_u32_e64 v12, null, 0, s21, s2
	s_delay_alu instid0(VALU_DEP_1)
	v_cmp_gt_u64_e32 vcc_lo, s[14:15], v[11:12]
	v_mov_b32_e32 v11, 0
	s_and_saveexec_b32 s2, vcc_lo
	s_cbranch_execz .LBB34_6
; %bb.5:                                ;   in Loop: Header=BB34_4 Depth=1
	global_load_u16 v11, v[1:2], off
	s_wait_loadcnt 0x0
	v_cvt_f32_f16_e32 v11, v11
.LBB34_6:                               ;   in Loop: Header=BB34_4 Depth=1
	s_wait_alu 0xfffe
	s_or_b32 exec_lo, exec_lo, s2
	v_add_co_u32 v12, s2, v5, s20
	s_wait_alu 0xf1ff
	v_add_co_ci_u32_e64 v13, null, s21, v8, s2
	s_delay_alu instid0(VALU_DEP_1)
	v_cmp_gt_u64_e64 s2, s[14:15], v[12:13]
	v_dual_mov_b32 v12, 0 :: v_dual_mov_b32 v13, 0
	s_and_saveexec_b32 s3, s2
	s_cbranch_execz .LBB34_8
; %bb.7:                                ;   in Loop: Header=BB34_4 Depth=1
	global_load_u16 v13, v[3:4], off
	s_wait_loadcnt 0x0
	v_cvt_f32_f16_e32 v13, v13
.LBB34_8:                               ;   in Loop: Header=BB34_4 Depth=1
	s_wait_alu 0xfffe
	s_or_b32 exec_lo, exec_lo, s3
	v_add_co_u32 v14, s3, v9, s20
	s_wait_alu 0xf1ff
	v_add_co_ci_u32_e64 v15, null, s21, v10, s3
	s_delay_alu instid0(VALU_DEP_1)
	v_cmp_gt_u64_e64 s3, s[14:15], v[14:15]
	s_and_saveexec_b32 s5, s3
	s_cbranch_execz .LBB34_10
; %bb.9:                                ;   in Loop: Header=BB34_4 Depth=1
	v_add_co_u32 v14, s4, v1, s16
	s_wait_alu 0xf1ff
	v_add_co_ci_u32_e64 v15, null, 0, v2, s4
	global_load_u16 v12, v[14:15], off
	s_wait_loadcnt 0x0
	v_cvt_f32_f16_e32 v12, v12
.LBB34_10:                              ;   in Loop: Header=BB34_4 Depth=1
	s_wait_alu 0xfffe
	s_or_b32 exec_lo, exec_lo, s5
	v_add_co_u32 v14, s4, v6, s20
	s_wait_alu 0xf1ff
	v_add_co_ci_u32_e64 v15, null, s21, v7, s4
	s_delay_alu instid0(VALU_DEP_1)
	v_cmp_gt_u64_e64 s4, s[14:15], v[14:15]
	v_mov_b32_e32 v14, 0
	s_and_saveexec_b32 s24, s4
	s_cbranch_execnz .LBB34_15
; %bb.11:                               ;   in Loop: Header=BB34_4 Depth=1
	s_or_b32 exec_lo, exec_lo, s24
	s_and_saveexec_b32 s5, vcc_lo
	s_cbranch_execnz .LBB34_16
.LBB34_12:                              ;   in Loop: Header=BB34_4 Depth=1
	s_wait_alu 0xfffe
	s_or_b32 exec_lo, exec_lo, s5
	s_and_saveexec_b32 s5, s2
	s_cbranch_execnz .LBB34_17
.LBB34_13:                              ;   in Loop: Header=BB34_4 Depth=1
	s_wait_alu 0xfffe
	s_or_b32 exec_lo, exec_lo, s5
	s_and_saveexec_b32 s2, s3
	s_cbranch_execnz .LBB34_18
.LBB34_14:                              ;   in Loop: Header=BB34_4 Depth=1
	s_wait_alu 0xfffe
	s_or_b32 exec_lo, exec_lo, s2
	s_and_saveexec_b32 s2, s4
	s_cbranch_execz .LBB34_3
	s_branch .LBB34_19
.LBB34_15:                              ;   in Loop: Header=BB34_4 Depth=1
	v_add_co_u32 v14, s5, v1, s18
	s_wait_alu 0xf1ff
	v_add_co_ci_u32_e64 v15, null, s19, v2, s5
	global_load_u16 v14, v[14:15], off
	s_wait_loadcnt 0x0
	v_cvt_f32_f16_e32 v14, v14
	s_or_b32 exec_lo, exec_lo, s24
	s_and_saveexec_b32 s5, vcc_lo
	s_cbranch_execz .LBB34_12
.LBB34_16:                              ;   in Loop: Header=BB34_4 Depth=1
	v_fma_mixlo_f16 v11, s22, v11, 0
	global_store_b16 v[1:2], v11, off
	s_wait_alu 0xfffe
	s_or_b32 exec_lo, exec_lo, s5
	s_and_saveexec_b32 s5, s2
	s_cbranch_execz .LBB34_13
.LBB34_17:                              ;   in Loop: Header=BB34_4 Depth=1
	v_fma_mixlo_f16 v11, s22, v13, 0
	global_store_b16 v[3:4], v11, off
	s_wait_alu 0xfffe
	s_or_b32 exec_lo, exec_lo, s5
	s_and_saveexec_b32 s2, s3
	s_cbranch_execz .LBB34_14
.LBB34_18:                              ;   in Loop: Header=BB34_4 Depth=1
	v_add_co_u32 v11, vcc_lo, v1, s16
	v_fma_mixlo_f16 v13, s22, v12, 0
	s_wait_alu 0xfffd
	v_add_co_ci_u32_e64 v12, null, 0, v2, vcc_lo
	global_store_b16 v[11:12], v13, off
	s_wait_alu 0xfffe
	s_or_b32 exec_lo, exec_lo, s2
	s_and_saveexec_b32 s2, s4
	s_cbranch_execz .LBB34_3
.LBB34_19:                              ;   in Loop: Header=BB34_4 Depth=1
	v_add_co_u32 v11, vcc_lo, v1, s18
	v_fma_mixlo_f16 v13, s22, v14, 0
	s_wait_alu 0xfffd
	v_add_co_ci_u32_e64 v12, null, s19, v2, vcc_lo
	global_store_b16 v[11:12], v13, off
	s_branch .LBB34_3
.LBB34_20:
	s_cbranch_execz .LBB34_22
	s_branch .LBB34_25
.LBB34_21:
.LBB34_22:
	v_cmp_gt_i64_e64 s2, 0x10000, s[10:11]
	v_dual_mov_b32 v2, 0 :: v_dual_lshlrev_b32 v1, 2, v0
	s_mov_b32 s4, 0
	s_mov_b32 s5, exec_lo
	s_and_b32 s2, s2, exec_lo
	s_cselect_b32 s3, s11, 0
	s_cselect_b32 s2, s10, 0x10000
	s_wait_alu 0xfffe
	v_cmpx_gt_i64_e64 s[2:3], v[1:2]
	s_cbranch_execz .LBB34_25
; %bb.23:
	s_load_b32 s5, s[0:1], 0xd3c
	v_lshlrev_b32_e32 v1, 3, v0
	s_add_nc_u64 s[0:1], s[6:7], s[8:9]
	s_delay_alu instid0(VALU_DEP_1) | instid1(SALU_CYCLE_1)
	v_add_co_u32 v3, s0, s0, v1
	s_wait_alu 0xf1ff
	v_add_co_ci_u32_e64 v4, null, s1, 0, s0
	v_mov_b32_e32 v1, v2
	s_delay_alu instid0(VALU_DEP_3) | instskip(SKIP_1) | instid1(VALU_DEP_3)
	v_add_co_u32 v2, vcc_lo, v3, 6
	s_wait_alu 0xfffd
	v_add_co_ci_u32_e64 v3, null, 0, v4, vcc_lo
	s_wait_kmcnt 0x0
	s_and_b32 s1, s5, 0xffff
	s_mov_b32 s5, s22
	s_wait_alu 0xfffe
	s_lshl_b32 s6, s1, 3
.LBB34_24:                              ; =>This Inner Loop Header: Depth=1
	global_load_b64 v[4:5], v[2:3], off offset:-6
	v_add_co_u32 v0, vcc_lo, v0, s1
	s_wait_alu 0xfffd
	v_add_co_ci_u32_e64 v1, null, 0, v1, vcc_lo
	s_delay_alu instid0(VALU_DEP_1) | instskip(NEXT) | instid1(VALU_DEP_1)
	v_lshlrev_b64_e32 v[8:9], 2, v[0:1]
	v_cmp_le_i64_e32 vcc_lo, s[2:3], v[8:9]
	s_or_b32 s4, vcc_lo, s4
	s_wait_loadcnt 0x0
	v_fma_mixlo_f16 v7, s5, v5, 0 op_sel_hi:[0,1,0]
	v_fma_mixlo_f16 v6, s22, v4, 0 op_sel_hi:[0,1,0]
	s_delay_alu instid0(VALU_DEP_2) | instskip(NEXT) | instid1(VALU_DEP_2)
	v_fma_mixhi_f16 v7, s22, v5, 0 op_sel:[0,1,0] op_sel_hi:[0,1,0]
	v_fma_mixhi_f16 v6, s22, v4, 0 op_sel:[0,1,0] op_sel_hi:[0,1,0]
	global_store_b64 v[2:3], v[6:7], off offset:-6
	v_add_co_u32 v2, s0, v2, s6
	s_wait_alu 0xf1ff
	v_add_co_ci_u32_e64 v3, null, 0, v3, s0
	s_wait_alu 0xfffe
	s_and_not1_b32 exec_lo, exec_lo, s4
	s_cbranch_execnz .LBB34_24
.LBB34_25:
	s_endpgm
	.section	.rodata,"a",@progbits
	.p2align	6, 0x0
	.amdhsa_kernel _ZN2at6native12_GLOBAL__N_125multi_tensor_apply_kernelINS1_18TensorListMetadataILi1EEENS1_21BinaryOpScalarFunctorIN3c104HalfELi1ELi1ELi0EEEJSt10multipliesIfEfEEEvT_T0_DpT1_
		.amdhsa_group_segment_fixed_size 0
		.amdhsa_private_segment_fixed_size 0
		.amdhsa_kernarg_size 3632
		.amdhsa_user_sgpr_count 2
		.amdhsa_user_sgpr_dispatch_ptr 0
		.amdhsa_user_sgpr_queue_ptr 0
		.amdhsa_user_sgpr_kernarg_segment_ptr 1
		.amdhsa_user_sgpr_dispatch_id 0
		.amdhsa_user_sgpr_private_segment_size 0
		.amdhsa_wavefront_size32 1
		.amdhsa_uses_dynamic_stack 0
		.amdhsa_enable_private_segment 0
		.amdhsa_system_sgpr_workgroup_id_x 1
		.amdhsa_system_sgpr_workgroup_id_y 0
		.amdhsa_system_sgpr_workgroup_id_z 0
		.amdhsa_system_sgpr_workgroup_info 0
		.amdhsa_system_vgpr_workitem_id 0
		.amdhsa_next_free_vgpr 16
		.amdhsa_next_free_sgpr 25
		.amdhsa_reserve_vcc 1
		.amdhsa_float_round_mode_32 0
		.amdhsa_float_round_mode_16_64 0
		.amdhsa_float_denorm_mode_32 3
		.amdhsa_float_denorm_mode_16_64 3
		.amdhsa_fp16_overflow 0
		.amdhsa_workgroup_processor_mode 1
		.amdhsa_memory_ordered 1
		.amdhsa_forward_progress 1
		.amdhsa_inst_pref_size 11
		.amdhsa_round_robin_scheduling 0
		.amdhsa_exception_fp_ieee_invalid_op 0
		.amdhsa_exception_fp_denorm_src 0
		.amdhsa_exception_fp_ieee_div_zero 0
		.amdhsa_exception_fp_ieee_overflow 0
		.amdhsa_exception_fp_ieee_underflow 0
		.amdhsa_exception_fp_ieee_inexact 0
		.amdhsa_exception_int_div_zero 0
	.end_amdhsa_kernel
	.section	.text._ZN2at6native12_GLOBAL__N_125multi_tensor_apply_kernelINS1_18TensorListMetadataILi1EEENS1_21BinaryOpScalarFunctorIN3c104HalfELi1ELi1ELi0EEEJSt10multipliesIfEfEEEvT_T0_DpT1_,"axG",@progbits,_ZN2at6native12_GLOBAL__N_125multi_tensor_apply_kernelINS1_18TensorListMetadataILi1EEENS1_21BinaryOpScalarFunctorIN3c104HalfELi1ELi1ELi0EEEJSt10multipliesIfEfEEEvT_T0_DpT1_,comdat
.Lfunc_end34:
	.size	_ZN2at6native12_GLOBAL__N_125multi_tensor_apply_kernelINS1_18TensorListMetadataILi1EEENS1_21BinaryOpScalarFunctorIN3c104HalfELi1ELi1ELi0EEEJSt10multipliesIfEfEEEvT_T0_DpT1_, .Lfunc_end34-_ZN2at6native12_GLOBAL__N_125multi_tensor_apply_kernelINS1_18TensorListMetadataILi1EEENS1_21BinaryOpScalarFunctorIN3c104HalfELi1ELi1ELi0EEEJSt10multipliesIfEfEEEvT_T0_DpT1_
                                        ; -- End function
	.set _ZN2at6native12_GLOBAL__N_125multi_tensor_apply_kernelINS1_18TensorListMetadataILi1EEENS1_21BinaryOpScalarFunctorIN3c104HalfELi1ELi1ELi0EEEJSt10multipliesIfEfEEEvT_T0_DpT1_.num_vgpr, 16
	.set _ZN2at6native12_GLOBAL__N_125multi_tensor_apply_kernelINS1_18TensorListMetadataILi1EEENS1_21BinaryOpScalarFunctorIN3c104HalfELi1ELi1ELi0EEEJSt10multipliesIfEfEEEvT_T0_DpT1_.num_agpr, 0
	.set _ZN2at6native12_GLOBAL__N_125multi_tensor_apply_kernelINS1_18TensorListMetadataILi1EEENS1_21BinaryOpScalarFunctorIN3c104HalfELi1ELi1ELi0EEEJSt10multipliesIfEfEEEvT_T0_DpT1_.numbered_sgpr, 25
	.set _ZN2at6native12_GLOBAL__N_125multi_tensor_apply_kernelINS1_18TensorListMetadataILi1EEENS1_21BinaryOpScalarFunctorIN3c104HalfELi1ELi1ELi0EEEJSt10multipliesIfEfEEEvT_T0_DpT1_.num_named_barrier, 0
	.set _ZN2at6native12_GLOBAL__N_125multi_tensor_apply_kernelINS1_18TensorListMetadataILi1EEENS1_21BinaryOpScalarFunctorIN3c104HalfELi1ELi1ELi0EEEJSt10multipliesIfEfEEEvT_T0_DpT1_.private_seg_size, 0
	.set _ZN2at6native12_GLOBAL__N_125multi_tensor_apply_kernelINS1_18TensorListMetadataILi1EEENS1_21BinaryOpScalarFunctorIN3c104HalfELi1ELi1ELi0EEEJSt10multipliesIfEfEEEvT_T0_DpT1_.uses_vcc, 1
	.set _ZN2at6native12_GLOBAL__N_125multi_tensor_apply_kernelINS1_18TensorListMetadataILi1EEENS1_21BinaryOpScalarFunctorIN3c104HalfELi1ELi1ELi0EEEJSt10multipliesIfEfEEEvT_T0_DpT1_.uses_flat_scratch, 0
	.set _ZN2at6native12_GLOBAL__N_125multi_tensor_apply_kernelINS1_18TensorListMetadataILi1EEENS1_21BinaryOpScalarFunctorIN3c104HalfELi1ELi1ELi0EEEJSt10multipliesIfEfEEEvT_T0_DpT1_.has_dyn_sized_stack, 0
	.set _ZN2at6native12_GLOBAL__N_125multi_tensor_apply_kernelINS1_18TensorListMetadataILi1EEENS1_21BinaryOpScalarFunctorIN3c104HalfELi1ELi1ELi0EEEJSt10multipliesIfEfEEEvT_T0_DpT1_.has_recursion, 0
	.set _ZN2at6native12_GLOBAL__N_125multi_tensor_apply_kernelINS1_18TensorListMetadataILi1EEENS1_21BinaryOpScalarFunctorIN3c104HalfELi1ELi1ELi0EEEJSt10multipliesIfEfEEEvT_T0_DpT1_.has_indirect_call, 0
	.section	.AMDGPU.csdata,"",@progbits
; Kernel info:
; codeLenInByte = 1296
; TotalNumSgprs: 27
; NumVgprs: 16
; ScratchSize: 0
; MemoryBound: 0
; FloatMode: 240
; IeeeMode: 1
; LDSByteSize: 0 bytes/workgroup (compile time only)
; SGPRBlocks: 0
; VGPRBlocks: 1
; NumSGPRsForWavesPerEU: 27
; NumVGPRsForWavesPerEU: 16
; Occupancy: 16
; WaveLimiterHint : 0
; COMPUTE_PGM_RSRC2:SCRATCH_EN: 0
; COMPUTE_PGM_RSRC2:USER_SGPR: 2
; COMPUTE_PGM_RSRC2:TRAP_HANDLER: 0
; COMPUTE_PGM_RSRC2:TGID_X_EN: 1
; COMPUTE_PGM_RSRC2:TGID_Y_EN: 0
; COMPUTE_PGM_RSRC2:TGID_Z_EN: 0
; COMPUTE_PGM_RSRC2:TIDIG_COMP_CNT: 0
	.section	.text._ZN2at6native12_GLOBAL__N_125multi_tensor_apply_kernelINS1_18TensorListMetadataILi1EEENS1_21BinaryOpScalarFunctorIN3c108BFloat16ELi1ELi1ELi0EEEJSt10multipliesIfEfEEEvT_T0_DpT1_,"axG",@progbits,_ZN2at6native12_GLOBAL__N_125multi_tensor_apply_kernelINS1_18TensorListMetadataILi1EEENS1_21BinaryOpScalarFunctorIN3c108BFloat16ELi1ELi1ELi0EEEJSt10multipliesIfEfEEEvT_T0_DpT1_,comdat
	.globl	_ZN2at6native12_GLOBAL__N_125multi_tensor_apply_kernelINS1_18TensorListMetadataILi1EEENS1_21BinaryOpScalarFunctorIN3c108BFloat16ELi1ELi1ELi0EEEJSt10multipliesIfEfEEEvT_T0_DpT1_ ; -- Begin function _ZN2at6native12_GLOBAL__N_125multi_tensor_apply_kernelINS1_18TensorListMetadataILi1EEENS1_21BinaryOpScalarFunctorIN3c108BFloat16ELi1ELi1ELi0EEEJSt10multipliesIfEfEEEvT_T0_DpT1_
	.p2align	8
	.type	_ZN2at6native12_GLOBAL__N_125multi_tensor_apply_kernelINS1_18TensorListMetadataILi1EEENS1_21BinaryOpScalarFunctorIN3c108BFloat16ELi1ELi1ELi0EEEJSt10multipliesIfEfEEEvT_T0_DpT1_,@function
_ZN2at6native12_GLOBAL__N_125multi_tensor_apply_kernelINS1_18TensorListMetadataILi1EEENS1_21BinaryOpScalarFunctorIN3c108BFloat16ELi1ELi1ELi0EEEJSt10multipliesIfEfEEEvT_T0_DpT1_: ; @_ZN2at6native12_GLOBAL__N_125multi_tensor_apply_kernelINS1_18TensorListMetadataILi1EEENS1_21BinaryOpScalarFunctorIN3c108BFloat16ELi1ELi1ELi0EEEJSt10multipliesIfEfEEEvT_T0_DpT1_
; %bb.0:
	s_load_u8 s8, s[0:1], ttmp9 offset:0x6e0
	s_mov_b32 s2, ttmp9
	s_mov_b32 s3, 0
	s_delay_alu instid0(SALU_CYCLE_1)
	s_mul_u64 s[4:5], s[2:3], 3
	s_add_nc_u64 s[6:7], s[0:1], s[2:3]
	s_mov_b32 s13, s3
	s_add_nc_u64 s[4:5], s[6:7], s[4:5]
	s_load_b32 s4, s[4:5], 0x820
	s_wait_kmcnt 0x0
	s_lshl_b32 s2, s8, 3
	s_clause 0x2
	s_load_b64 s[6:7], s[0:1], s2 offset:0x0
	s_load_b64 s[10:11], s[0:1], s2 offset:0x370
	s_load_b32 s22, s[0:1], 0xd2c
	s_ashr_i32 s5, s4, 31
	s_delay_alu instid0(SALU_CYCLE_1)
	s_lshl_b64 s[8:9], s[4:5], 17
	s_lshl_b64 s[4:5], s[4:5], 16
	s_wait_kmcnt 0x0
	s_and_b32 s2, s6, 7
	s_and_b32 s12, s10, 3
	s_sub_nc_u64 s[10:11], s[10:11], s[4:5]
	s_or_b64 s[2:3], s[2:3], s[12:13]
	s_delay_alu instid0(SALU_CYCLE_1)
	s_cmp_eq_u64 s[2:3], 0
	s_cbranch_scc1 .LBB35_21
; %bb.1:
	v_cmp_lt_i64_e64 s2, s[10:11], 1
	s_and_b32 vcc_lo, exec_lo, s2
	s_cbranch_vccnz .LBB35_20
; %bb.2:
	s_load_b32 s2, s[0:1], 0xd3c
	v_cmp_gt_i64_e64 s12, 0x10000, s[10:11]
	v_lshlrev_b32_e32 v1, 1, v0
	s_add_nc_u64 s[4:5], s[6:7], s[8:9]
	v_cmp_gt_u64_e64 s14, 0x10000, s[10:11]
	s_mov_b32 s3, 0
	v_add_co_u32 v1, s13, s4, v1
	s_and_b32 s12, s12, exec_lo
	v_add_co_ci_u32_e64 v2, null, s5, 0, s13
	s_cselect_b32 s13, s11, 0
	s_cselect_b32 s12, s10, 0x10000
	s_wait_kmcnt 0x0
	s_and_b32 s2, s2, 0xffff
	s_and_b32 s14, s14, exec_lo
	v_add_co_u32 v5, s21, v0, s2
	s_cselect_b32 s15, s11, 0
	s_cselect_b32 s14, s10, 0x10000
	s_lshl_b32 s17, s2, 1
	v_lshlrev_b32_e32 v3, 1, v5
	s_mul_i32 s20, s2, 3
	v_add_co_u32 v9, s17, s17, v0
	v_add_co_u32 v6, s20, s20, v0
	s_delay_alu instid0(VALU_DEP_3)
	v_add_co_u32 v3, s4, s4, v3
	s_wait_alu 0xf1ff
	v_add_co_ci_u32_e64 v7, null, 0, 0, s20
	v_add_co_ci_u32_e64 v8, null, 0, 0, s21
	;; [unrolled: 1-line block ×4, first 2 shown]
	s_lshl_b32 s16, s2, 2
	s_mul_u64 s[18:19], s[2:3], 6
	s_mov_b32 s17, s3
	s_lshl_b32 s23, s2, 3
	s_mov_b64 s[20:21], 0
	s_branch .LBB35_4
.LBB35_3:                               ;   in Loop: Header=BB35_4 Depth=1
	s_wait_alu 0xfffe
	s_or_b32 exec_lo, exec_lo, s2
	s_add_nc_u64 s[20:21], s[20:21], s[16:17]
	v_add_co_u32 v1, vcc_lo, v1, s23
	s_wait_alu 0xfffe
	v_cmp_lt_i64_e64 s2, s[20:21], s[12:13]
	s_wait_alu 0xfffd
	v_add_co_ci_u32_e64 v2, null, 0, v2, vcc_lo
	v_add_co_u32 v3, vcc_lo, v3, s23
	s_wait_alu 0xfffd
	v_add_co_ci_u32_e64 v4, null, 0, v4, vcc_lo
	s_and_b32 vcc_lo, exec_lo, s2
	s_wait_alu 0xfffe
	s_cbranch_vccz .LBB35_20
.LBB35_4:                               ; =>This Inner Loop Header: Depth=1
	s_wait_alu 0xfffe
	v_add_co_u32 v11, s2, v0, s20
	s_wait_alu 0xf1ff
	v_add_co_ci_u32_e64 v12, null, 0, s21, s2
	s_delay_alu instid0(VALU_DEP_1)
	v_cmp_gt_u64_e32 vcc_lo, s[14:15], v[11:12]
	v_mov_b32_e32 v12, 0
	s_and_saveexec_b32 s2, vcc_lo
	s_cbranch_execz .LBB35_6
; %bb.5:                                ;   in Loop: Header=BB35_4 Depth=1
	global_load_u16 v11, v[1:2], off
	s_wait_loadcnt 0x0
	v_lshlrev_b32_e32 v12, 16, v11
.LBB35_6:                               ;   in Loop: Header=BB35_4 Depth=1
	s_wait_alu 0xfffe
	s_or_b32 exec_lo, exec_lo, s2
	v_add_co_u32 v13, s2, v5, s20
	s_wait_alu 0xf1ff
	v_add_co_ci_u32_e64 v14, null, s21, v8, s2
	v_mov_b32_e32 v11, 0
	s_delay_alu instid0(VALU_DEP_2)
	v_cmp_gt_u64_e64 s2, s[14:15], v[13:14]
	v_mov_b32_e32 v13, 0
	s_and_saveexec_b32 s3, s2
	s_cbranch_execz .LBB35_8
; %bb.7:                                ;   in Loop: Header=BB35_4 Depth=1
	global_load_u16 v13, v[3:4], off
	s_wait_loadcnt 0x0
	v_lshlrev_b32_e32 v13, 16, v13
.LBB35_8:                               ;   in Loop: Header=BB35_4 Depth=1
	s_wait_alu 0xfffe
	s_or_b32 exec_lo, exec_lo, s3
	v_add_co_u32 v14, s3, v9, s20
	s_wait_alu 0xf1ff
	v_add_co_ci_u32_e64 v15, null, s21, v10, s3
	s_delay_alu instid0(VALU_DEP_1)
	v_cmp_gt_u64_e64 s3, s[14:15], v[14:15]
	s_and_saveexec_b32 s5, s3
	s_cbranch_execz .LBB35_10
; %bb.9:                                ;   in Loop: Header=BB35_4 Depth=1
	v_add_co_u32 v14, s4, v1, s16
	s_wait_alu 0xf1ff
	v_add_co_ci_u32_e64 v15, null, 0, v2, s4
	global_load_u16 v11, v[14:15], off
	s_wait_loadcnt 0x0
	v_lshlrev_b32_e32 v11, 16, v11
.LBB35_10:                              ;   in Loop: Header=BB35_4 Depth=1
	s_wait_alu 0xfffe
	s_or_b32 exec_lo, exec_lo, s5
	v_add_co_u32 v14, s4, v6, s20
	s_wait_alu 0xf1ff
	v_add_co_ci_u32_e64 v15, null, s21, v7, s4
	s_delay_alu instid0(VALU_DEP_1)
	v_cmp_gt_u64_e64 s4, s[14:15], v[14:15]
	v_mov_b32_e32 v14, 0
	s_and_saveexec_b32 s24, s4
	s_cbranch_execnz .LBB35_15
; %bb.11:                               ;   in Loop: Header=BB35_4 Depth=1
	s_or_b32 exec_lo, exec_lo, s24
	s_and_saveexec_b32 s5, vcc_lo
	s_cbranch_execnz .LBB35_16
.LBB35_12:                              ;   in Loop: Header=BB35_4 Depth=1
	s_wait_alu 0xfffe
	s_or_b32 exec_lo, exec_lo, s5
	s_and_saveexec_b32 s5, s2
	s_cbranch_execnz .LBB35_17
.LBB35_13:                              ;   in Loop: Header=BB35_4 Depth=1
	s_wait_alu 0xfffe
	s_or_b32 exec_lo, exec_lo, s5
	s_and_saveexec_b32 s2, s3
	s_cbranch_execnz .LBB35_18
.LBB35_14:                              ;   in Loop: Header=BB35_4 Depth=1
	s_wait_alu 0xfffe
	s_or_b32 exec_lo, exec_lo, s2
	s_and_saveexec_b32 s2, s4
	s_cbranch_execz .LBB35_3
	s_branch .LBB35_19
.LBB35_15:                              ;   in Loop: Header=BB35_4 Depth=1
	v_add_co_u32 v14, s5, v1, s18
	s_wait_alu 0xf1ff
	v_add_co_ci_u32_e64 v15, null, s19, v2, s5
	global_load_u16 v14, v[14:15], off
	s_wait_loadcnt 0x0
	v_lshlrev_b32_e32 v14, 16, v14
	s_or_b32 exec_lo, exec_lo, s24
	s_and_saveexec_b32 s5, vcc_lo
	s_cbranch_execz .LBB35_12
.LBB35_16:                              ;   in Loop: Header=BB35_4 Depth=1
	v_mul_f32_e32 v12, s22, v12
	s_delay_alu instid0(VALU_DEP_1) | instskip(SKIP_1) | instid1(VALU_DEP_2)
	v_bfe_u32 v15, v12, 16, 1
	v_cmp_o_f32_e32 vcc_lo, v12, v12
	v_add3_u32 v15, v12, v15, 0x7fff
	s_delay_alu instid0(VALU_DEP_1) | instskip(SKIP_1) | instid1(VALU_DEP_1)
	v_lshrrev_b32_e32 v15, 16, v15
	s_wait_alu 0xfffd
	v_cndmask_b32_e32 v12, 0x7fc0, v15, vcc_lo
	global_store_b16 v[1:2], v12, off
	s_wait_alu 0xfffe
	s_or_b32 exec_lo, exec_lo, s5
	s_and_saveexec_b32 s5, s2
	s_cbranch_execz .LBB35_13
.LBB35_17:                              ;   in Loop: Header=BB35_4 Depth=1
	v_mul_f32_e32 v12, s22, v13
	s_delay_alu instid0(VALU_DEP_1) | instskip(SKIP_1) | instid1(VALU_DEP_2)
	v_bfe_u32 v13, v12, 16, 1
	v_cmp_o_f32_e32 vcc_lo, v12, v12
	v_add3_u32 v13, v12, v13, 0x7fff
	s_delay_alu instid0(VALU_DEP_1) | instskip(SKIP_1) | instid1(VALU_DEP_1)
	v_lshrrev_b32_e32 v13, 16, v13
	s_wait_alu 0xfffd
	v_cndmask_b32_e32 v12, 0x7fc0, v13, vcc_lo
	global_store_b16 v[3:4], v12, off
	s_wait_alu 0xfffe
	s_or_b32 exec_lo, exec_lo, s5
	s_and_saveexec_b32 s2, s3
	s_cbranch_execz .LBB35_14
.LBB35_18:                              ;   in Loop: Header=BB35_4 Depth=1
	v_mul_f32_e32 v11, s22, v11
	s_delay_alu instid0(VALU_DEP_1) | instskip(SKIP_1) | instid1(VALU_DEP_2)
	v_bfe_u32 v12, v11, 16, 1
	v_cmp_o_f32_e32 vcc_lo, v11, v11
	v_add3_u32 v12, v11, v12, 0x7fff
	s_delay_alu instid0(VALU_DEP_1) | instskip(SKIP_1) | instid1(VALU_DEP_1)
	v_lshrrev_b32_e32 v12, 16, v12
	s_wait_alu 0xfffd
	v_cndmask_b32_e32 v13, 0x7fc0, v12, vcc_lo
	v_add_co_u32 v11, vcc_lo, v1, s16
	s_wait_alu 0xfffd
	v_add_co_ci_u32_e64 v12, null, 0, v2, vcc_lo
	global_store_b16 v[11:12], v13, off
	s_wait_alu 0xfffe
	s_or_b32 exec_lo, exec_lo, s2
	s_and_saveexec_b32 s2, s4
	s_cbranch_execz .LBB35_3
.LBB35_19:                              ;   in Loop: Header=BB35_4 Depth=1
	v_mul_f32_e32 v11, s22, v14
	s_delay_alu instid0(VALU_DEP_1) | instskip(SKIP_1) | instid1(VALU_DEP_2)
	v_bfe_u32 v12, v11, 16, 1
	v_cmp_o_f32_e32 vcc_lo, v11, v11
	v_add3_u32 v12, v11, v12, 0x7fff
	s_delay_alu instid0(VALU_DEP_1) | instskip(SKIP_1) | instid1(VALU_DEP_1)
	v_lshrrev_b32_e32 v12, 16, v12
	s_wait_alu 0xfffd
	v_cndmask_b32_e32 v13, 0x7fc0, v12, vcc_lo
	v_add_co_u32 v11, vcc_lo, v1, s18
	s_wait_alu 0xfffd
	v_add_co_ci_u32_e64 v12, null, s19, v2, vcc_lo
	global_store_b16 v[11:12], v13, off
	s_branch .LBB35_3
.LBB35_20:
	s_cbranch_execz .LBB35_22
	s_branch .LBB35_25
.LBB35_21:
.LBB35_22:
	v_cmp_gt_i64_e64 s2, 0x10000, s[10:11]
	v_dual_mov_b32 v2, 0 :: v_dual_lshlrev_b32 v1, 2, v0
	s_mov_b32 s4, 0
	s_mov_b32 s5, exec_lo
	s_and_b32 s2, s2, exec_lo
	s_cselect_b32 s3, s11, 0
	s_cselect_b32 s2, s10, 0x10000
	s_wait_alu 0xfffe
	v_cmpx_gt_i64_e64 s[2:3], v[1:2]
	s_cbranch_execz .LBB35_25
; %bb.23:
	s_load_b32 s5, s[0:1], 0xd3c
	v_lshlrev_b32_e32 v3, 3, v0
	s_add_nc_u64 s[0:1], s[6:7], s[8:9]
	v_mov_b32_e32 v1, v2
	s_delay_alu instid0(VALU_DEP_2)
	v_add_co_u32 v2, s0, s0, v3
	s_wait_alu 0xf1ff
	v_add_co_ci_u32_e64 v3, null, s1, 0, s0
	s_wait_kmcnt 0x0
	s_and_b32 s1, s5, 0xffff
	s_wait_alu 0xfffe
	s_lshl_b32 s5, s1, 3
.LBB35_24:                              ; =>This Inner Loop Header: Depth=1
	global_load_b64 v[4:5], v[2:3], off
	v_add_co_u32 v0, vcc_lo, v0, s1
	s_wait_alu 0xfffd
	v_add_co_ci_u32_e64 v1, null, 0, v1, vcc_lo
	s_wait_loadcnt 0x0
	v_alignbit_b32 v6, v5, v4, 16
	s_delay_alu instid0(VALU_DEP_1) | instskip(NEXT) | instid1(VALU_DEP_1)
	v_and_b32_e32 v6, 0xffff0000, v6
	v_dual_mul_f32 v6, s22, v6 :: v_dual_lshlrev_b32 v7, 16, v4
	s_delay_alu instid0(VALU_DEP_1) | instskip(SKIP_1) | instid1(VALU_DEP_3)
	v_dual_mul_f32 v7, s22, v7 :: v_dual_and_b32 v4, 0xffff0000, v4
	v_and_b32_e32 v5, 0xffff0000, v5
	v_bfe_u32 v11, v6, 16, 1
	s_delay_alu instid0(VALU_DEP_3) | instskip(NEXT) | instid1(VALU_DEP_4)
	v_mul_f32_e32 v4, s22, v4
	v_bfe_u32 v8, v7, 16, 1
	s_delay_alu instid0(VALU_DEP_4) | instskip(NEXT) | instid1(VALU_DEP_4)
	v_mul_f32_e32 v5, s22, v5
	v_add3_u32 v11, v6, v11, 0x7fff
	s_delay_alu instid0(VALU_DEP_4) | instskip(NEXT) | instid1(VALU_DEP_4)
	v_bfe_u32 v9, v4, 16, 1
	v_add3_u32 v8, v7, v8, 0x7fff
	s_delay_alu instid0(VALU_DEP_4)
	v_bfe_u32 v10, v5, 16, 1
	v_cmp_o_f32_e32 vcc_lo, v4, v4
	v_lshrrev_b32_e32 v11, 16, v11
	v_add3_u32 v9, v4, v9, 0x7fff
	v_lshrrev_b32_e32 v8, 16, v8
	v_add3_u32 v10, v5, v10, 0x7fff
	s_delay_alu instid0(VALU_DEP_3) | instskip(NEXT) | instid1(VALU_DEP_2)
	v_and_b32_e32 v9, 0xffff0000, v9
	v_and_b32_e32 v10, 0xffff0000, v10
	s_wait_alu 0xfffd
	s_delay_alu instid0(VALU_DEP_2) | instskip(SKIP_4) | instid1(VALU_DEP_2)
	v_cndmask_b32_e32 v4, 0x7fc00000, v9, vcc_lo
	v_cmp_o_f32_e32 vcc_lo, v7, v7
	s_wait_alu 0xfffd
	v_cndmask_b32_e32 v7, 0x7fc0, v8, vcc_lo
	v_cmp_o_f32_e32 vcc_lo, v5, v5
	v_or_b32_e32 v9, v7, v4
	s_wait_alu 0xfffd
	v_cndmask_b32_e32 v8, 0x7fc00000, v10, vcc_lo
	v_cmp_o_f32_e32 vcc_lo, v6, v6
	v_lshlrev_b64_e32 v[4:5], 2, v[0:1]
	s_wait_alu 0xfffd
	v_cndmask_b32_e32 v6, 0x7fc0, v11, vcc_lo
	s_delay_alu instid0(VALU_DEP_2) | instskip(NEXT) | instid1(VALU_DEP_2)
	v_cmp_le_i64_e32 vcc_lo, s[2:3], v[4:5]
	v_or3_b32 v7, 0, v6, v8
	v_or3_b32 v6, v9, 0, 0
	s_or_b32 s4, vcc_lo, s4
	global_store_b64 v[2:3], v[6:7], off
	s_wait_alu 0xfffe
	v_add_co_u32 v2, s0, v2, s5
	s_wait_alu 0xf1ff
	v_add_co_ci_u32_e64 v3, null, 0, v3, s0
	s_and_not1_b32 exec_lo, exec_lo, s4
	s_cbranch_execnz .LBB35_24
.LBB35_25:
	s_endpgm
	.section	.rodata,"a",@progbits
	.p2align	6, 0x0
	.amdhsa_kernel _ZN2at6native12_GLOBAL__N_125multi_tensor_apply_kernelINS1_18TensorListMetadataILi1EEENS1_21BinaryOpScalarFunctorIN3c108BFloat16ELi1ELi1ELi0EEEJSt10multipliesIfEfEEEvT_T0_DpT1_
		.amdhsa_group_segment_fixed_size 0
		.amdhsa_private_segment_fixed_size 0
		.amdhsa_kernarg_size 3632
		.amdhsa_user_sgpr_count 2
		.amdhsa_user_sgpr_dispatch_ptr 0
		.amdhsa_user_sgpr_queue_ptr 0
		.amdhsa_user_sgpr_kernarg_segment_ptr 1
		.amdhsa_user_sgpr_dispatch_id 0
		.amdhsa_user_sgpr_private_segment_size 0
		.amdhsa_wavefront_size32 1
		.amdhsa_uses_dynamic_stack 0
		.amdhsa_enable_private_segment 0
		.amdhsa_system_sgpr_workgroup_id_x 1
		.amdhsa_system_sgpr_workgroup_id_y 0
		.amdhsa_system_sgpr_workgroup_id_z 0
		.amdhsa_system_sgpr_workgroup_info 0
		.amdhsa_system_vgpr_workitem_id 0
		.amdhsa_next_free_vgpr 16
		.amdhsa_next_free_sgpr 25
		.amdhsa_reserve_vcc 1
		.amdhsa_float_round_mode_32 0
		.amdhsa_float_round_mode_16_64 0
		.amdhsa_float_denorm_mode_32 3
		.amdhsa_float_denorm_mode_16_64 3
		.amdhsa_fp16_overflow 0
		.amdhsa_workgroup_processor_mode 1
		.amdhsa_memory_ordered 1
		.amdhsa_forward_progress 1
		.amdhsa_inst_pref_size 14
		.amdhsa_round_robin_scheduling 0
		.amdhsa_exception_fp_ieee_invalid_op 0
		.amdhsa_exception_fp_denorm_src 0
		.amdhsa_exception_fp_ieee_div_zero 0
		.amdhsa_exception_fp_ieee_overflow 0
		.amdhsa_exception_fp_ieee_underflow 0
		.amdhsa_exception_fp_ieee_inexact 0
		.amdhsa_exception_int_div_zero 0
	.end_amdhsa_kernel
	.section	.text._ZN2at6native12_GLOBAL__N_125multi_tensor_apply_kernelINS1_18TensorListMetadataILi1EEENS1_21BinaryOpScalarFunctorIN3c108BFloat16ELi1ELi1ELi0EEEJSt10multipliesIfEfEEEvT_T0_DpT1_,"axG",@progbits,_ZN2at6native12_GLOBAL__N_125multi_tensor_apply_kernelINS1_18TensorListMetadataILi1EEENS1_21BinaryOpScalarFunctorIN3c108BFloat16ELi1ELi1ELi0EEEJSt10multipliesIfEfEEEvT_T0_DpT1_,comdat
.Lfunc_end35:
	.size	_ZN2at6native12_GLOBAL__N_125multi_tensor_apply_kernelINS1_18TensorListMetadataILi1EEENS1_21BinaryOpScalarFunctorIN3c108BFloat16ELi1ELi1ELi0EEEJSt10multipliesIfEfEEEvT_T0_DpT1_, .Lfunc_end35-_ZN2at6native12_GLOBAL__N_125multi_tensor_apply_kernelINS1_18TensorListMetadataILi1EEENS1_21BinaryOpScalarFunctorIN3c108BFloat16ELi1ELi1ELi0EEEJSt10multipliesIfEfEEEvT_T0_DpT1_
                                        ; -- End function
	.set _ZN2at6native12_GLOBAL__N_125multi_tensor_apply_kernelINS1_18TensorListMetadataILi1EEENS1_21BinaryOpScalarFunctorIN3c108BFloat16ELi1ELi1ELi0EEEJSt10multipliesIfEfEEEvT_T0_DpT1_.num_vgpr, 16
	.set _ZN2at6native12_GLOBAL__N_125multi_tensor_apply_kernelINS1_18TensorListMetadataILi1EEENS1_21BinaryOpScalarFunctorIN3c108BFloat16ELi1ELi1ELi0EEEJSt10multipliesIfEfEEEvT_T0_DpT1_.num_agpr, 0
	.set _ZN2at6native12_GLOBAL__N_125multi_tensor_apply_kernelINS1_18TensorListMetadataILi1EEENS1_21BinaryOpScalarFunctorIN3c108BFloat16ELi1ELi1ELi0EEEJSt10multipliesIfEfEEEvT_T0_DpT1_.numbered_sgpr, 25
	.set _ZN2at6native12_GLOBAL__N_125multi_tensor_apply_kernelINS1_18TensorListMetadataILi1EEENS1_21BinaryOpScalarFunctorIN3c108BFloat16ELi1ELi1ELi0EEEJSt10multipliesIfEfEEEvT_T0_DpT1_.num_named_barrier, 0
	.set _ZN2at6native12_GLOBAL__N_125multi_tensor_apply_kernelINS1_18TensorListMetadataILi1EEENS1_21BinaryOpScalarFunctorIN3c108BFloat16ELi1ELi1ELi0EEEJSt10multipliesIfEfEEEvT_T0_DpT1_.private_seg_size, 0
	.set _ZN2at6native12_GLOBAL__N_125multi_tensor_apply_kernelINS1_18TensorListMetadataILi1EEENS1_21BinaryOpScalarFunctorIN3c108BFloat16ELi1ELi1ELi0EEEJSt10multipliesIfEfEEEvT_T0_DpT1_.uses_vcc, 1
	.set _ZN2at6native12_GLOBAL__N_125multi_tensor_apply_kernelINS1_18TensorListMetadataILi1EEENS1_21BinaryOpScalarFunctorIN3c108BFloat16ELi1ELi1ELi0EEEJSt10multipliesIfEfEEEvT_T0_DpT1_.uses_flat_scratch, 0
	.set _ZN2at6native12_GLOBAL__N_125multi_tensor_apply_kernelINS1_18TensorListMetadataILi1EEENS1_21BinaryOpScalarFunctorIN3c108BFloat16ELi1ELi1ELi0EEEJSt10multipliesIfEfEEEvT_T0_DpT1_.has_dyn_sized_stack, 0
	.set _ZN2at6native12_GLOBAL__N_125multi_tensor_apply_kernelINS1_18TensorListMetadataILi1EEENS1_21BinaryOpScalarFunctorIN3c108BFloat16ELi1ELi1ELi0EEEJSt10multipliesIfEfEEEvT_T0_DpT1_.has_recursion, 0
	.set _ZN2at6native12_GLOBAL__N_125multi_tensor_apply_kernelINS1_18TensorListMetadataILi1EEENS1_21BinaryOpScalarFunctorIN3c108BFloat16ELi1ELi1ELi0EEEJSt10multipliesIfEfEEEvT_T0_DpT1_.has_indirect_call, 0
	.section	.AMDGPU.csdata,"",@progbits
; Kernel info:
; codeLenInByte = 1680
; TotalNumSgprs: 27
; NumVgprs: 16
; ScratchSize: 0
; MemoryBound: 0
; FloatMode: 240
; IeeeMode: 1
; LDSByteSize: 0 bytes/workgroup (compile time only)
; SGPRBlocks: 0
; VGPRBlocks: 1
; NumSGPRsForWavesPerEU: 27
; NumVGPRsForWavesPerEU: 16
; Occupancy: 16
; WaveLimiterHint : 0
; COMPUTE_PGM_RSRC2:SCRATCH_EN: 0
; COMPUTE_PGM_RSRC2:USER_SGPR: 2
; COMPUTE_PGM_RSRC2:TRAP_HANDLER: 0
; COMPUTE_PGM_RSRC2:TGID_X_EN: 1
; COMPUTE_PGM_RSRC2:TGID_Y_EN: 0
; COMPUTE_PGM_RSRC2:TGID_Z_EN: 0
; COMPUTE_PGM_RSRC2:TIDIG_COMP_CNT: 0
	.section	.text._ZN2at6native12_GLOBAL__N_125multi_tensor_apply_kernelINS1_18TensorListMetadataILi2EEENS1_21BinaryOpScalarFunctorIhLi2ELi1ELi1EEEJSt10multipliesIhEhEEEvT_T0_DpT1_,"axG",@progbits,_ZN2at6native12_GLOBAL__N_125multi_tensor_apply_kernelINS1_18TensorListMetadataILi2EEENS1_21BinaryOpScalarFunctorIhLi2ELi1ELi1EEEJSt10multipliesIhEhEEEvT_T0_DpT1_,comdat
	.globl	_ZN2at6native12_GLOBAL__N_125multi_tensor_apply_kernelINS1_18TensorListMetadataILi2EEENS1_21BinaryOpScalarFunctorIhLi2ELi1ELi1EEEJSt10multipliesIhEhEEEvT_T0_DpT1_ ; -- Begin function _ZN2at6native12_GLOBAL__N_125multi_tensor_apply_kernelINS1_18TensorListMetadataILi2EEENS1_21BinaryOpScalarFunctorIhLi2ELi1ELi1EEEJSt10multipliesIhEhEEEvT_T0_DpT1_
	.p2align	8
	.type	_ZN2at6native12_GLOBAL__N_125multi_tensor_apply_kernelINS1_18TensorListMetadataILi2EEENS1_21BinaryOpScalarFunctorIhLi2ELi1ELi1EEEJSt10multipliesIhEhEEEvT_T0_DpT1_,@function
_ZN2at6native12_GLOBAL__N_125multi_tensor_apply_kernelINS1_18TensorListMetadataILi2EEENS1_21BinaryOpScalarFunctorIhLi2ELi1ELi1EEEJSt10multipliesIhEhEEEvT_T0_DpT1_: ; @_ZN2at6native12_GLOBAL__N_125multi_tensor_apply_kernelINS1_18TensorListMetadataILi2EEENS1_21BinaryOpScalarFunctorIhLi2ELi1ELi1EEEJSt10multipliesIhEhEEEvT_T0_DpT1_
; %bb.0:
	s_load_u8 s6, s[0:1], ttmp9 offset:0x600
	s_mov_b32 s2, ttmp9
	s_mov_b32 s3, 0
	s_delay_alu instid0(SALU_CYCLE_1) | instskip(SKIP_1) | instid1(SALU_CYCLE_1)
	s_mul_u64 s[4:5], s[2:3], 3
	s_add_nc_u64 s[2:3], s[0:1], s[2:3]
	s_add_nc_u64 s[2:3], s[2:3], s[4:5]
	s_load_b32 s2, s[2:3], 0x740
	s_wait_kmcnt 0x0
	s_lshl_b32 s3, s6, 3
	s_clause 0x3
	s_load_b64 s[4:5], s[0:1], s3 offset:0x400
	s_load_b64 s[6:7], s[0:1], s3 offset:0x0
	;; [unrolled: 1-line block ×3, first 2 shown]
	s_load_b32 s22, s[0:1], 0xc48
	s_ashr_i32 s3, s2, 31
	s_delay_alu instid0(SALU_CYCLE_1) | instskip(SKIP_4) | instid1(SALU_CYCLE_1)
	s_lshl_b64 s[10:11], s[2:3], 16
	s_wait_kmcnt 0x0
	s_sub_nc_u64 s[12:13], s[4:5], s[10:11]
	s_add_nc_u64 s[2:3], s[6:7], s[10:11]
	s_or_b32 s3, s4, s8
	s_or_b32 s2, s3, s2
	s_delay_alu instid0(SALU_CYCLE_1) | instskip(NEXT) | instid1(SALU_CYCLE_1)
	s_and_b32 s2, s2, 3
	s_cmp_eq_u32 s2, 0
	s_mov_b32 s2, -1
	s_cbranch_scc1 .LBB36_21
; %bb.1:
	v_cmp_lt_i64_e64 s2, s[12:13], 1
	s_and_b32 vcc_lo, exec_lo, s2
	s_cbranch_vccnz .LBB36_20
; %bb.2:
	s_load_b32 s2, s[0:1], 0xc5c
	v_cmp_gt_i64_e64 s4, 0x10000, s[12:13]
	v_cmp_gt_u64_e64 s16, 0x10000, s[12:13]
	s_mov_b32 s3, 0
	v_add_co_u32 v15, s5, s10, v0
	s_delay_alu instid0(VALU_DEP_1)
	v_add_co_ci_u32_e64 v16, null, s11, 0, s5
	s_and_b32 s4, s4, exec_lo
	s_cselect_b32 s15, s13, 0
	s_cselect_b32 s14, s12, 0x10000
	s_mov_b32 s5, s3
	v_add_co_u32 v1, vcc_lo, s6, v15
	s_delay_alu instid0(VALU_DEP_1)
	v_add_co_ci_u32_e64 v2, null, s7, v16, vcc_lo
	v_add_co_u32 v3, vcc_lo, s8, v15
	s_wait_alu 0xfffd
	v_add_co_ci_u32_e64 v4, null, s9, v16, vcc_lo
	s_wait_kmcnt 0x0
	s_and_b32 s19, s2, 0xffff
	s_and_b32 s2, s16, exec_lo
	s_mul_i32 s4, s19, 3
	s_cselect_b32 s17, s13, 0
	s_wait_alu 0xfffe
	s_add_nc_u64 s[20:21], s[10:11], s[4:5]
	s_cselect_b32 s16, s12, 0x10000
	s_lshl_b32 s2, s19, 1
	v_add_co_u32 v7, s5, s20, v0
	s_wait_alu 0xf1ff
	v_add_co_ci_u32_e64 v8, null, s21, 0, s5
	s_add_nc_u64 s[20:21], s[10:11], s[2:3]
	v_add_co_u32 v5, vcc_lo, s6, v7
	s_wait_alu 0xfffe
	v_add_co_u32 v13, s5, s20, v0
	s_wait_alu 0xf1ff
	v_add_co_ci_u32_e64 v14, null, s21, 0, s5
	s_wait_alu 0xfffd
	v_add_co_ci_u32_e64 v6, null, s7, v8, vcc_lo
	v_add_co_u32 v7, vcc_lo, s8, v7
	s_wait_alu 0xfffd
	v_add_co_ci_u32_e64 v8, null, s9, v8, vcc_lo
	v_add_co_u32 v11, vcc_lo, s6, v13
	;; [unrolled: 3-line block ×4, first 2 shown]
	s_wait_alu 0xfffd
	v_add_co_ci_u32_e64 v20, null, 0, v16, vcc_lo
	v_add_co_u32 v15, s2, s2, v0
	s_delay_alu instid0(VALU_DEP_3)
	v_add_co_u32 v17, vcc_lo, s6, v19
	v_add_co_u32 v9, s4, s4, v0
	s_wait_alu 0xf1ff
	v_add_co_ci_u32_e64 v16, null, 0, 0, s2
	s_wait_alu 0xfffd
	v_add_co_ci_u32_e64 v18, null, s7, v20, vcc_lo
	v_add_co_u32 v19, vcc_lo, s8, v19
	v_add_co_u32 v21, s2, v0, s19
	v_add_co_ci_u32_e64 v10, null, 0, 0, s4
	s_wait_alu 0xfffd
	v_add_co_ci_u32_e64 v20, null, s9, v20, vcc_lo
	s_wait_alu 0xf1ff
	v_add_co_ci_u32_e64 v22, null, 0, 0, s2
	s_lshl_b32 s18, s19, 2
	s_mov_b32 s19, s3
	s_mov_b64 s[20:21], 0
	s_lshr_b32 s23, s22, 16
	s_branch .LBB36_4
.LBB36_3:                               ;   in Loop: Header=BB36_4 Depth=1
	s_wait_alu 0xfffe
	s_or_b32 exec_lo, exec_lo, s2
	s_add_nc_u64 s[20:21], s[20:21], s[18:19]
	s_wait_alu 0xfffe
	v_cmp_lt_i64_e64 s2, s[20:21], s[14:15]
	s_and_b32 vcc_lo, exec_lo, s2
	s_wait_alu 0xfffe
	s_cbranch_vccz .LBB36_20
.LBB36_4:                               ; =>This Inner Loop Header: Depth=1
	s_wait_loadcnt 0x0
	s_wait_alu 0xfffe
	v_add_co_u32 v23, s2, v0, s20
	s_wait_alu 0xf1ff
	v_add_co_ci_u32_e64 v24, null, 0, s21, s2
	s_delay_alu instid0(VALU_DEP_1)
	v_cmp_gt_u64_e32 vcc_lo, s[16:17], v[23:24]
	v_mov_b32_e32 v24, 0
	s_and_saveexec_b32 s3, vcc_lo
	s_cbranch_execz .LBB36_6
; %bb.5:                                ;   in Loop: Header=BB36_4 Depth=1
	v_add_co_u32 v23, s2, v1, s20
	s_wait_alu 0xf1ff
	v_add_co_ci_u32_e64 v24, null, s21, v2, s2
	global_load_u8 v24, v[23:24], off
.LBB36_6:                               ;   in Loop: Header=BB36_4 Depth=1
	s_wait_alu 0xfffe
	s_or_b32 exec_lo, exec_lo, s3
	v_add_co_u32 v25, s2, v21, s20
	s_wait_alu 0xf1ff
	v_add_co_ci_u32_e64 v26, null, s21, v22, s2
	v_mov_b32_e32 v23, 0
	s_delay_alu instid0(VALU_DEP_2)
	v_cmp_gt_u64_e64 s2, s[16:17], v[25:26]
	v_mov_b32_e32 v25, 0
	s_and_saveexec_b32 s4, s2
	s_cbranch_execz .LBB36_8
; %bb.7:                                ;   in Loop: Header=BB36_4 Depth=1
	v_add_co_u32 v25, s3, v17, s20
	s_wait_alu 0xf1ff
	v_add_co_ci_u32_e64 v26, null, s21, v18, s3
	global_load_u8 v25, v[25:26], off
.LBB36_8:                               ;   in Loop: Header=BB36_4 Depth=1
	s_wait_alu 0xfffe
	s_or_b32 exec_lo, exec_lo, s4
	v_add_co_u32 v26, s3, v15, s20
	s_wait_alu 0xf1ff
	v_add_co_ci_u32_e64 v27, null, s21, v16, s3
	s_delay_alu instid0(VALU_DEP_1)
	v_cmp_gt_u64_e64 s3, s[16:17], v[26:27]
	s_and_saveexec_b32 s5, s3
	s_cbranch_execz .LBB36_10
; %bb.9:                                ;   in Loop: Header=BB36_4 Depth=1
	v_add_co_u32 v26, s4, v11, s20
	s_wait_alu 0xf1ff
	v_add_co_ci_u32_e64 v27, null, s21, v12, s4
	global_load_u8 v23, v[26:27], off
.LBB36_10:                              ;   in Loop: Header=BB36_4 Depth=1
	s_wait_alu 0xfffe
	s_or_b32 exec_lo, exec_lo, s5
	v_add_co_u32 v26, s4, v9, s20
	s_wait_alu 0xf1ff
	v_add_co_ci_u32_e64 v27, null, s21, v10, s4
	s_delay_alu instid0(VALU_DEP_1)
	v_cmp_gt_u64_e64 s4, s[16:17], v[26:27]
	v_mov_b32_e32 v26, 0
	s_and_saveexec_b32 s24, s4
	s_cbranch_execnz .LBB36_15
; %bb.11:                               ;   in Loop: Header=BB36_4 Depth=1
	s_or_b32 exec_lo, exec_lo, s24
	s_and_saveexec_b32 s5, vcc_lo
	s_cbranch_execnz .LBB36_16
.LBB36_12:                              ;   in Loop: Header=BB36_4 Depth=1
	s_wait_alu 0xfffe
	s_or_b32 exec_lo, exec_lo, s5
	s_and_saveexec_b32 s5, s2
	s_cbranch_execnz .LBB36_17
.LBB36_13:                              ;   in Loop: Header=BB36_4 Depth=1
	s_wait_alu 0xfffe
	s_or_b32 exec_lo, exec_lo, s5
	s_and_saveexec_b32 s2, s3
	s_cbranch_execnz .LBB36_18
.LBB36_14:                              ;   in Loop: Header=BB36_4 Depth=1
	s_wait_alu 0xfffe
	s_or_b32 exec_lo, exec_lo, s2
	s_and_saveexec_b32 s2, s4
	s_cbranch_execz .LBB36_3
	s_branch .LBB36_19
.LBB36_15:                              ;   in Loop: Header=BB36_4 Depth=1
	v_add_co_u32 v26, s5, v5, s20
	s_wait_alu 0xf1ff
	v_add_co_ci_u32_e64 v27, null, s21, v6, s5
	global_load_u8 v26, v[26:27], off
	s_or_b32 exec_lo, exec_lo, s24
	s_and_saveexec_b32 s5, vcc_lo
	s_cbranch_execz .LBB36_12
.LBB36_16:                              ;   in Loop: Header=BB36_4 Depth=1
	v_add_co_u32 v27, vcc_lo, v3, s20
	s_wait_loadcnt 0x0
	v_mul_lo_u16 v24, v24, s23
	s_wait_alu 0xfffd
	v_add_co_ci_u32_e64 v28, null, s21, v4, vcc_lo
	global_store_b8 v[27:28], v24, off
	s_wait_alu 0xfffe
	s_or_b32 exec_lo, exec_lo, s5
	s_and_saveexec_b32 s5, s2
	s_cbranch_execz .LBB36_13
.LBB36_17:                              ;   in Loop: Header=BB36_4 Depth=1
	s_wait_loadcnt 0x0
	v_add_co_u32 v24, vcc_lo, v19, s20
	v_mul_lo_u16 v27, v25, s23
	s_wait_alu 0xfffd
	v_add_co_ci_u32_e64 v25, null, s21, v20, vcc_lo
	global_store_b8 v[24:25], v27, off
	s_wait_alu 0xfffe
	s_or_b32 exec_lo, exec_lo, s5
	s_and_saveexec_b32 s2, s3
	s_cbranch_execz .LBB36_14
.LBB36_18:                              ;   in Loop: Header=BB36_4 Depth=1
	s_wait_loadcnt 0x0
	v_mul_lo_u16 v25, v23, s23
	v_add_co_u32 v23, vcc_lo, v13, s20
	s_wait_alu 0xfffd
	v_add_co_ci_u32_e64 v24, null, s21, v14, vcc_lo
	global_store_b8 v[23:24], v25, off
	s_wait_alu 0xfffe
	s_or_b32 exec_lo, exec_lo, s2
	s_and_saveexec_b32 s2, s4
	s_cbranch_execz .LBB36_3
.LBB36_19:                              ;   in Loop: Header=BB36_4 Depth=1
	s_wait_loadcnt 0x0
	v_add_co_u32 v23, vcc_lo, v7, s20
	v_mul_lo_u16 v25, v26, s23
	s_wait_alu 0xfffd
	v_add_co_ci_u32_e64 v24, null, s21, v8, vcc_lo
	global_store_b8 v[23:24], v25, off
	s_branch .LBB36_3
.LBB36_20:
	s_mov_b32 s2, 0
.LBB36_21:
	s_wait_alu 0xfffe
	s_and_not1_b32 vcc_lo, exec_lo, s2
	s_wait_alu 0xfffe
	s_cbranch_vccnz .LBB36_25
; %bb.22:
	v_cmp_gt_i64_e64 s2, 0x10000, s[12:13]
	v_dual_mov_b32 v3, 0 :: v_dual_lshlrev_b32 v2, 2, v0
	s_mov_b32 s4, 0
	s_mov_b32 s5, exec_lo
	s_and_b32 s2, s2, exec_lo
	s_cselect_b32 s3, s13, 0
	s_cselect_b32 s2, s12, 0x10000
	s_wait_alu 0xfffe
	v_cmpx_gt_i64_e64 s[2:3], v[2:3]
	s_cbranch_execz .LBB36_25
; %bb.23:
	s_load_b32 s0, s[0:1], 0xc5c
	v_add_co_u32 v2, s1, s10, v2
	v_mov_b32_e32 v1, v3
	v_add_co_ci_u32_e64 v3, null, s11, 0, s1
	s_lshr_b32 s10, s22, 16
	s_wait_kmcnt 0x0
	s_and_b32 s1, s0, 0xffff
	s_wait_alu 0xfffe
	s_lshl_b32 s5, s1, 2
.LBB36_24:                              ; =>This Inner Loop Header: Depth=1
	v_add_co_u32 v4, vcc_lo, s6, v2
	s_wait_alu 0xfffd
	v_add_co_ci_u32_e64 v5, null, s7, v3, vcc_lo
	v_add_co_u32 v0, vcc_lo, v0, s1
	s_wait_alu 0xfffd
	v_add_co_ci_u32_e64 v1, null, 0, v1, vcc_lo
	global_load_b32 v4, v[4:5], off
	s_wait_loadcnt 0x0
	v_lshrrev_b32_e32 v5, 8, v4
	v_lshrrev_b32_e32 v6, 24, v4
	;; [unrolled: 1-line block ×3, first 2 shown]
	v_mul_lo_u16 v4, s10, v4
	s_delay_alu instid0(VALU_DEP_4) | instskip(NEXT) | instid1(VALU_DEP_4)
	v_mul_lo_u16 v5, s10, v5
	v_mul_lo_u16 v6, s10, v6
	s_delay_alu instid0(VALU_DEP_4) | instskip(NEXT) | instid1(VALU_DEP_4)
	v_mul_lo_u16 v7, s10, v7
	v_and_b32_e32 v8, 0xff, v4
	v_add_co_u32 v4, vcc_lo, s8, v2
	v_lshlrev_b16 v5, 8, v5
	v_lshlrev_b16 v9, 8, v6
	v_and_b32_e32 v10, 0xff, v7
	v_lshlrev_b64_e32 v[6:7], 2, v[0:1]
	s_wait_alu 0xfffe
	v_add_co_u32 v2, s0, v2, s5
	v_or_b32_e32 v8, v8, v5
	v_or_b32_e32 v9, v10, v9
	s_wait_alu 0xfffd
	v_add_co_ci_u32_e64 v5, null, s9, v3, vcc_lo
	v_cmp_le_i64_e32 vcc_lo, s[2:3], v[6:7]
	v_and_b32_e32 v8, 0xffff, v8
	v_lshlrev_b32_e32 v9, 16, v9
	s_wait_alu 0xf1ff
	v_add_co_ci_u32_e64 v3, null, 0, v3, s0
	s_or_b32 s4, vcc_lo, s4
	v_or_b32_e32 v6, v8, v9
	global_store_b32 v[4:5], v6, off
	s_wait_alu 0xfffe
	s_and_not1_b32 exec_lo, exec_lo, s4
	s_cbranch_execnz .LBB36_24
.LBB36_25:
	s_endpgm
	.section	.rodata,"a",@progbits
	.p2align	6, 0x0
	.amdhsa_kernel _ZN2at6native12_GLOBAL__N_125multi_tensor_apply_kernelINS1_18TensorListMetadataILi2EEENS1_21BinaryOpScalarFunctorIhLi2ELi1ELi1EEEJSt10multipliesIhEhEEEvT_T0_DpT1_
		.amdhsa_group_segment_fixed_size 0
		.amdhsa_private_segment_fixed_size 0
		.amdhsa_kernarg_size 3408
		.amdhsa_user_sgpr_count 2
		.amdhsa_user_sgpr_dispatch_ptr 0
		.amdhsa_user_sgpr_queue_ptr 0
		.amdhsa_user_sgpr_kernarg_segment_ptr 1
		.amdhsa_user_sgpr_dispatch_id 0
		.amdhsa_user_sgpr_private_segment_size 0
		.amdhsa_wavefront_size32 1
		.amdhsa_uses_dynamic_stack 0
		.amdhsa_enable_private_segment 0
		.amdhsa_system_sgpr_workgroup_id_x 1
		.amdhsa_system_sgpr_workgroup_id_y 0
		.amdhsa_system_sgpr_workgroup_id_z 0
		.amdhsa_system_sgpr_workgroup_info 0
		.amdhsa_system_vgpr_workitem_id 0
		.amdhsa_next_free_vgpr 29
		.amdhsa_next_free_sgpr 25
		.amdhsa_reserve_vcc 1
		.amdhsa_float_round_mode_32 0
		.amdhsa_float_round_mode_16_64 0
		.amdhsa_float_denorm_mode_32 3
		.amdhsa_float_denorm_mode_16_64 3
		.amdhsa_fp16_overflow 0
		.amdhsa_workgroup_processor_mode 1
		.amdhsa_memory_ordered 1
		.amdhsa_forward_progress 1
		.amdhsa_inst_pref_size 13
		.amdhsa_round_robin_scheduling 0
		.amdhsa_exception_fp_ieee_invalid_op 0
		.amdhsa_exception_fp_denorm_src 0
		.amdhsa_exception_fp_ieee_div_zero 0
		.amdhsa_exception_fp_ieee_overflow 0
		.amdhsa_exception_fp_ieee_underflow 0
		.amdhsa_exception_fp_ieee_inexact 0
		.amdhsa_exception_int_div_zero 0
	.end_amdhsa_kernel
	.section	.text._ZN2at6native12_GLOBAL__N_125multi_tensor_apply_kernelINS1_18TensorListMetadataILi2EEENS1_21BinaryOpScalarFunctorIhLi2ELi1ELi1EEEJSt10multipliesIhEhEEEvT_T0_DpT1_,"axG",@progbits,_ZN2at6native12_GLOBAL__N_125multi_tensor_apply_kernelINS1_18TensorListMetadataILi2EEENS1_21BinaryOpScalarFunctorIhLi2ELi1ELi1EEEJSt10multipliesIhEhEEEvT_T0_DpT1_,comdat
.Lfunc_end36:
	.size	_ZN2at6native12_GLOBAL__N_125multi_tensor_apply_kernelINS1_18TensorListMetadataILi2EEENS1_21BinaryOpScalarFunctorIhLi2ELi1ELi1EEEJSt10multipliesIhEhEEEvT_T0_DpT1_, .Lfunc_end36-_ZN2at6native12_GLOBAL__N_125multi_tensor_apply_kernelINS1_18TensorListMetadataILi2EEENS1_21BinaryOpScalarFunctorIhLi2ELi1ELi1EEEJSt10multipliesIhEhEEEvT_T0_DpT1_
                                        ; -- End function
	.set _ZN2at6native12_GLOBAL__N_125multi_tensor_apply_kernelINS1_18TensorListMetadataILi2EEENS1_21BinaryOpScalarFunctorIhLi2ELi1ELi1EEEJSt10multipliesIhEhEEEvT_T0_DpT1_.num_vgpr, 29
	.set _ZN2at6native12_GLOBAL__N_125multi_tensor_apply_kernelINS1_18TensorListMetadataILi2EEENS1_21BinaryOpScalarFunctorIhLi2ELi1ELi1EEEJSt10multipliesIhEhEEEvT_T0_DpT1_.num_agpr, 0
	.set _ZN2at6native12_GLOBAL__N_125multi_tensor_apply_kernelINS1_18TensorListMetadataILi2EEENS1_21BinaryOpScalarFunctorIhLi2ELi1ELi1EEEJSt10multipliesIhEhEEEvT_T0_DpT1_.numbered_sgpr, 25
	.set _ZN2at6native12_GLOBAL__N_125multi_tensor_apply_kernelINS1_18TensorListMetadataILi2EEENS1_21BinaryOpScalarFunctorIhLi2ELi1ELi1EEEJSt10multipliesIhEhEEEvT_T0_DpT1_.num_named_barrier, 0
	.set _ZN2at6native12_GLOBAL__N_125multi_tensor_apply_kernelINS1_18TensorListMetadataILi2EEENS1_21BinaryOpScalarFunctorIhLi2ELi1ELi1EEEJSt10multipliesIhEhEEEvT_T0_DpT1_.private_seg_size, 0
	.set _ZN2at6native12_GLOBAL__N_125multi_tensor_apply_kernelINS1_18TensorListMetadataILi2EEENS1_21BinaryOpScalarFunctorIhLi2ELi1ELi1EEEJSt10multipliesIhEhEEEvT_T0_DpT1_.uses_vcc, 1
	.set _ZN2at6native12_GLOBAL__N_125multi_tensor_apply_kernelINS1_18TensorListMetadataILi2EEENS1_21BinaryOpScalarFunctorIhLi2ELi1ELi1EEEJSt10multipliesIhEhEEEvT_T0_DpT1_.uses_flat_scratch, 0
	.set _ZN2at6native12_GLOBAL__N_125multi_tensor_apply_kernelINS1_18TensorListMetadataILi2EEENS1_21BinaryOpScalarFunctorIhLi2ELi1ELi1EEEJSt10multipliesIhEhEEEvT_T0_DpT1_.has_dyn_sized_stack, 0
	.set _ZN2at6native12_GLOBAL__N_125multi_tensor_apply_kernelINS1_18TensorListMetadataILi2EEENS1_21BinaryOpScalarFunctorIhLi2ELi1ELi1EEEJSt10multipliesIhEhEEEvT_T0_DpT1_.has_recursion, 0
	.set _ZN2at6native12_GLOBAL__N_125multi_tensor_apply_kernelINS1_18TensorListMetadataILi2EEENS1_21BinaryOpScalarFunctorIhLi2ELi1ELi1EEEJSt10multipliesIhEhEEEvT_T0_DpT1_.has_indirect_call, 0
	.section	.AMDGPU.csdata,"",@progbits
; Kernel info:
; codeLenInByte = 1632
; TotalNumSgprs: 27
; NumVgprs: 29
; ScratchSize: 0
; MemoryBound: 0
; FloatMode: 240
; IeeeMode: 1
; LDSByteSize: 0 bytes/workgroup (compile time only)
; SGPRBlocks: 0
; VGPRBlocks: 3
; NumSGPRsForWavesPerEU: 27
; NumVGPRsForWavesPerEU: 29
; Occupancy: 16
; WaveLimiterHint : 0
; COMPUTE_PGM_RSRC2:SCRATCH_EN: 0
; COMPUTE_PGM_RSRC2:USER_SGPR: 2
; COMPUTE_PGM_RSRC2:TRAP_HANDLER: 0
; COMPUTE_PGM_RSRC2:TGID_X_EN: 1
; COMPUTE_PGM_RSRC2:TGID_Y_EN: 0
; COMPUTE_PGM_RSRC2:TGID_Z_EN: 0
; COMPUTE_PGM_RSRC2:TIDIG_COMP_CNT: 0
	.section	.text._ZN2at6native12_GLOBAL__N_125multi_tensor_apply_kernelINS1_18TensorListMetadataILi2EEENS1_21BinaryOpScalarFunctorIaLi2ELi1ELi1EEEJSt10multipliesIaEaEEEvT_T0_DpT1_,"axG",@progbits,_ZN2at6native12_GLOBAL__N_125multi_tensor_apply_kernelINS1_18TensorListMetadataILi2EEENS1_21BinaryOpScalarFunctorIaLi2ELi1ELi1EEEJSt10multipliesIaEaEEEvT_T0_DpT1_,comdat
	.globl	_ZN2at6native12_GLOBAL__N_125multi_tensor_apply_kernelINS1_18TensorListMetadataILi2EEENS1_21BinaryOpScalarFunctorIaLi2ELi1ELi1EEEJSt10multipliesIaEaEEEvT_T0_DpT1_ ; -- Begin function _ZN2at6native12_GLOBAL__N_125multi_tensor_apply_kernelINS1_18TensorListMetadataILi2EEENS1_21BinaryOpScalarFunctorIaLi2ELi1ELi1EEEJSt10multipliesIaEaEEEvT_T0_DpT1_
	.p2align	8
	.type	_ZN2at6native12_GLOBAL__N_125multi_tensor_apply_kernelINS1_18TensorListMetadataILi2EEENS1_21BinaryOpScalarFunctorIaLi2ELi1ELi1EEEJSt10multipliesIaEaEEEvT_T0_DpT1_,@function
_ZN2at6native12_GLOBAL__N_125multi_tensor_apply_kernelINS1_18TensorListMetadataILi2EEENS1_21BinaryOpScalarFunctorIaLi2ELi1ELi1EEEJSt10multipliesIaEaEEEvT_T0_DpT1_: ; @_ZN2at6native12_GLOBAL__N_125multi_tensor_apply_kernelINS1_18TensorListMetadataILi2EEENS1_21BinaryOpScalarFunctorIaLi2ELi1ELi1EEEJSt10multipliesIaEaEEEvT_T0_DpT1_
; %bb.0:
	s_load_u8 s6, s[0:1], ttmp9 offset:0x600
	s_mov_b32 s2, ttmp9
	s_mov_b32 s3, 0
	s_delay_alu instid0(SALU_CYCLE_1) | instskip(SKIP_1) | instid1(SALU_CYCLE_1)
	s_mul_u64 s[4:5], s[2:3], 3
	s_add_nc_u64 s[2:3], s[0:1], s[2:3]
	s_add_nc_u64 s[2:3], s[2:3], s[4:5]
	s_load_b32 s2, s[2:3], 0x740
	s_wait_kmcnt 0x0
	s_lshl_b32 s3, s6, 3
	s_clause 0x3
	s_load_b64 s[4:5], s[0:1], s3 offset:0x400
	s_load_b64 s[6:7], s[0:1], s3 offset:0x0
	;; [unrolled: 1-line block ×3, first 2 shown]
	s_load_b32 s22, s[0:1], 0xc48
	s_ashr_i32 s3, s2, 31
	s_delay_alu instid0(SALU_CYCLE_1) | instskip(SKIP_4) | instid1(SALU_CYCLE_1)
	s_lshl_b64 s[10:11], s[2:3], 16
	s_wait_kmcnt 0x0
	s_sub_nc_u64 s[12:13], s[4:5], s[10:11]
	s_add_nc_u64 s[2:3], s[6:7], s[10:11]
	s_or_b32 s3, s4, s8
	s_or_b32 s2, s3, s2
	s_delay_alu instid0(SALU_CYCLE_1) | instskip(NEXT) | instid1(SALU_CYCLE_1)
	s_and_b32 s2, s2, 3
	s_cmp_eq_u32 s2, 0
	s_mov_b32 s2, -1
	s_cbranch_scc1 .LBB37_21
; %bb.1:
	v_cmp_lt_i64_e64 s2, s[12:13], 1
	s_and_b32 vcc_lo, exec_lo, s2
	s_cbranch_vccnz .LBB37_20
; %bb.2:
	s_load_b32 s2, s[0:1], 0xc5c
	v_cmp_gt_i64_e64 s4, 0x10000, s[12:13]
	v_cmp_gt_u64_e64 s16, 0x10000, s[12:13]
	s_mov_b32 s3, 0
	v_add_co_u32 v15, s5, s10, v0
	s_delay_alu instid0(VALU_DEP_1)
	v_add_co_ci_u32_e64 v16, null, s11, 0, s5
	s_and_b32 s4, s4, exec_lo
	s_cselect_b32 s15, s13, 0
	s_cselect_b32 s14, s12, 0x10000
	s_mov_b32 s5, s3
	v_add_co_u32 v1, vcc_lo, s6, v15
	s_delay_alu instid0(VALU_DEP_1)
	v_add_co_ci_u32_e64 v2, null, s7, v16, vcc_lo
	v_add_co_u32 v3, vcc_lo, s8, v15
	s_wait_alu 0xfffd
	v_add_co_ci_u32_e64 v4, null, s9, v16, vcc_lo
	s_wait_kmcnt 0x0
	s_and_b32 s19, s2, 0xffff
	s_and_b32 s2, s16, exec_lo
	s_mul_i32 s4, s19, 3
	s_cselect_b32 s17, s13, 0
	s_wait_alu 0xfffe
	s_add_nc_u64 s[20:21], s[10:11], s[4:5]
	s_cselect_b32 s16, s12, 0x10000
	s_lshl_b32 s2, s19, 1
	v_add_co_u32 v7, s5, s20, v0
	s_wait_alu 0xf1ff
	v_add_co_ci_u32_e64 v8, null, s21, 0, s5
	s_add_nc_u64 s[20:21], s[10:11], s[2:3]
	v_add_co_u32 v5, vcc_lo, s6, v7
	s_wait_alu 0xfffe
	v_add_co_u32 v13, s5, s20, v0
	s_wait_alu 0xf1ff
	v_add_co_ci_u32_e64 v14, null, s21, 0, s5
	s_wait_alu 0xfffd
	v_add_co_ci_u32_e64 v6, null, s7, v8, vcc_lo
	v_add_co_u32 v7, vcc_lo, s8, v7
	s_wait_alu 0xfffd
	v_add_co_ci_u32_e64 v8, null, s9, v8, vcc_lo
	v_add_co_u32 v11, vcc_lo, s6, v13
	;; [unrolled: 3-line block ×4, first 2 shown]
	s_wait_alu 0xfffd
	v_add_co_ci_u32_e64 v20, null, 0, v16, vcc_lo
	v_add_co_u32 v15, s2, s2, v0
	s_delay_alu instid0(VALU_DEP_3)
	v_add_co_u32 v17, vcc_lo, s6, v19
	v_add_co_u32 v9, s4, s4, v0
	s_wait_alu 0xf1ff
	v_add_co_ci_u32_e64 v16, null, 0, 0, s2
	s_wait_alu 0xfffd
	v_add_co_ci_u32_e64 v18, null, s7, v20, vcc_lo
	v_add_co_u32 v19, vcc_lo, s8, v19
	v_add_co_u32 v21, s2, v0, s19
	v_add_co_ci_u32_e64 v10, null, 0, 0, s4
	s_wait_alu 0xfffd
	v_add_co_ci_u32_e64 v20, null, s9, v20, vcc_lo
	s_wait_alu 0xf1ff
	v_add_co_ci_u32_e64 v22, null, 0, 0, s2
	s_lshl_b32 s18, s19, 2
	s_mov_b32 s19, s3
	s_mov_b64 s[20:21], 0
	s_lshr_b32 s23, s22, 16
	s_branch .LBB37_4
.LBB37_3:                               ;   in Loop: Header=BB37_4 Depth=1
	s_wait_alu 0xfffe
	s_or_b32 exec_lo, exec_lo, s2
	s_add_nc_u64 s[20:21], s[20:21], s[18:19]
	s_wait_alu 0xfffe
	v_cmp_lt_i64_e64 s2, s[20:21], s[14:15]
	s_and_b32 vcc_lo, exec_lo, s2
	s_wait_alu 0xfffe
	s_cbranch_vccz .LBB37_20
.LBB37_4:                               ; =>This Inner Loop Header: Depth=1
	s_wait_loadcnt 0x0
	s_wait_alu 0xfffe
	v_add_co_u32 v23, s2, v0, s20
	s_wait_alu 0xf1ff
	v_add_co_ci_u32_e64 v24, null, 0, s21, s2
	s_delay_alu instid0(VALU_DEP_1)
	v_cmp_gt_u64_e32 vcc_lo, s[16:17], v[23:24]
	v_mov_b32_e32 v24, 0
	s_and_saveexec_b32 s3, vcc_lo
	s_cbranch_execz .LBB37_6
; %bb.5:                                ;   in Loop: Header=BB37_4 Depth=1
	v_add_co_u32 v23, s2, v1, s20
	s_wait_alu 0xf1ff
	v_add_co_ci_u32_e64 v24, null, s21, v2, s2
	global_load_u8 v24, v[23:24], off
.LBB37_6:                               ;   in Loop: Header=BB37_4 Depth=1
	s_wait_alu 0xfffe
	s_or_b32 exec_lo, exec_lo, s3
	v_add_co_u32 v25, s2, v21, s20
	s_wait_alu 0xf1ff
	v_add_co_ci_u32_e64 v26, null, s21, v22, s2
	v_mov_b32_e32 v23, 0
	s_delay_alu instid0(VALU_DEP_2)
	v_cmp_gt_u64_e64 s2, s[16:17], v[25:26]
	v_mov_b32_e32 v25, 0
	s_and_saveexec_b32 s4, s2
	s_cbranch_execz .LBB37_8
; %bb.7:                                ;   in Loop: Header=BB37_4 Depth=1
	v_add_co_u32 v25, s3, v17, s20
	s_wait_alu 0xf1ff
	v_add_co_ci_u32_e64 v26, null, s21, v18, s3
	global_load_u8 v25, v[25:26], off
.LBB37_8:                               ;   in Loop: Header=BB37_4 Depth=1
	s_wait_alu 0xfffe
	s_or_b32 exec_lo, exec_lo, s4
	v_add_co_u32 v26, s3, v15, s20
	s_wait_alu 0xf1ff
	v_add_co_ci_u32_e64 v27, null, s21, v16, s3
	s_delay_alu instid0(VALU_DEP_1)
	v_cmp_gt_u64_e64 s3, s[16:17], v[26:27]
	s_and_saveexec_b32 s5, s3
	s_cbranch_execz .LBB37_10
; %bb.9:                                ;   in Loop: Header=BB37_4 Depth=1
	v_add_co_u32 v26, s4, v11, s20
	s_wait_alu 0xf1ff
	v_add_co_ci_u32_e64 v27, null, s21, v12, s4
	global_load_u8 v23, v[26:27], off
.LBB37_10:                              ;   in Loop: Header=BB37_4 Depth=1
	s_wait_alu 0xfffe
	s_or_b32 exec_lo, exec_lo, s5
	v_add_co_u32 v26, s4, v9, s20
	s_wait_alu 0xf1ff
	v_add_co_ci_u32_e64 v27, null, s21, v10, s4
	s_delay_alu instid0(VALU_DEP_1)
	v_cmp_gt_u64_e64 s4, s[16:17], v[26:27]
	v_mov_b32_e32 v26, 0
	s_and_saveexec_b32 s24, s4
	s_cbranch_execnz .LBB37_15
; %bb.11:                               ;   in Loop: Header=BB37_4 Depth=1
	s_or_b32 exec_lo, exec_lo, s24
	s_and_saveexec_b32 s5, vcc_lo
	s_cbranch_execnz .LBB37_16
.LBB37_12:                              ;   in Loop: Header=BB37_4 Depth=1
	s_wait_alu 0xfffe
	s_or_b32 exec_lo, exec_lo, s5
	s_and_saveexec_b32 s5, s2
	s_cbranch_execnz .LBB37_17
.LBB37_13:                              ;   in Loop: Header=BB37_4 Depth=1
	s_wait_alu 0xfffe
	s_or_b32 exec_lo, exec_lo, s5
	s_and_saveexec_b32 s2, s3
	s_cbranch_execnz .LBB37_18
.LBB37_14:                              ;   in Loop: Header=BB37_4 Depth=1
	s_wait_alu 0xfffe
	s_or_b32 exec_lo, exec_lo, s2
	s_and_saveexec_b32 s2, s4
	s_cbranch_execz .LBB37_3
	s_branch .LBB37_19
.LBB37_15:                              ;   in Loop: Header=BB37_4 Depth=1
	v_add_co_u32 v26, s5, v5, s20
	s_wait_alu 0xf1ff
	v_add_co_ci_u32_e64 v27, null, s21, v6, s5
	global_load_u8 v26, v[26:27], off
	s_or_b32 exec_lo, exec_lo, s24
	s_and_saveexec_b32 s5, vcc_lo
	s_cbranch_execz .LBB37_12
.LBB37_16:                              ;   in Loop: Header=BB37_4 Depth=1
	v_add_co_u32 v27, vcc_lo, v3, s20
	s_wait_loadcnt 0x0
	v_mul_lo_u16 v24, v24, s23
	s_wait_alu 0xfffd
	v_add_co_ci_u32_e64 v28, null, s21, v4, vcc_lo
	global_store_b8 v[27:28], v24, off
	s_wait_alu 0xfffe
	s_or_b32 exec_lo, exec_lo, s5
	s_and_saveexec_b32 s5, s2
	s_cbranch_execz .LBB37_13
.LBB37_17:                              ;   in Loop: Header=BB37_4 Depth=1
	s_wait_loadcnt 0x0
	v_add_co_u32 v24, vcc_lo, v19, s20
	v_mul_lo_u16 v27, v25, s23
	s_wait_alu 0xfffd
	v_add_co_ci_u32_e64 v25, null, s21, v20, vcc_lo
	global_store_b8 v[24:25], v27, off
	s_wait_alu 0xfffe
	s_or_b32 exec_lo, exec_lo, s5
	s_and_saveexec_b32 s2, s3
	s_cbranch_execz .LBB37_14
.LBB37_18:                              ;   in Loop: Header=BB37_4 Depth=1
	s_wait_loadcnt 0x0
	v_mul_lo_u16 v25, v23, s23
	v_add_co_u32 v23, vcc_lo, v13, s20
	s_wait_alu 0xfffd
	v_add_co_ci_u32_e64 v24, null, s21, v14, vcc_lo
	global_store_b8 v[23:24], v25, off
	s_wait_alu 0xfffe
	s_or_b32 exec_lo, exec_lo, s2
	s_and_saveexec_b32 s2, s4
	s_cbranch_execz .LBB37_3
.LBB37_19:                              ;   in Loop: Header=BB37_4 Depth=1
	s_wait_loadcnt 0x0
	v_add_co_u32 v23, vcc_lo, v7, s20
	v_mul_lo_u16 v25, v26, s23
	s_wait_alu 0xfffd
	v_add_co_ci_u32_e64 v24, null, s21, v8, vcc_lo
	global_store_b8 v[23:24], v25, off
	s_branch .LBB37_3
.LBB37_20:
	s_mov_b32 s2, 0
.LBB37_21:
	s_wait_alu 0xfffe
	s_and_not1_b32 vcc_lo, exec_lo, s2
	s_wait_alu 0xfffe
	s_cbranch_vccnz .LBB37_25
; %bb.22:
	v_cmp_gt_i64_e64 s2, 0x10000, s[12:13]
	v_dual_mov_b32 v3, 0 :: v_dual_lshlrev_b32 v2, 2, v0
	s_mov_b32 s4, 0
	s_mov_b32 s5, exec_lo
	s_and_b32 s2, s2, exec_lo
	s_cselect_b32 s3, s13, 0
	s_cselect_b32 s2, s12, 0x10000
	s_wait_alu 0xfffe
	v_cmpx_gt_i64_e64 s[2:3], v[2:3]
	s_cbranch_execz .LBB37_25
; %bb.23:
	s_load_b32 s0, s[0:1], 0xc5c
	v_add_co_u32 v2, s1, s10, v2
	v_mov_b32_e32 v1, v3
	v_add_co_ci_u32_e64 v3, null, s11, 0, s1
	s_lshr_b32 s10, s22, 16
	s_wait_kmcnt 0x0
	s_and_b32 s1, s0, 0xffff
	s_wait_alu 0xfffe
	s_lshl_b32 s5, s1, 2
.LBB37_24:                              ; =>This Inner Loop Header: Depth=1
	v_add_co_u32 v4, vcc_lo, s6, v2
	s_wait_alu 0xfffd
	v_add_co_ci_u32_e64 v5, null, s7, v3, vcc_lo
	v_add_co_u32 v0, vcc_lo, v0, s1
	s_wait_alu 0xfffd
	v_add_co_ci_u32_e64 v1, null, 0, v1, vcc_lo
	global_load_b32 v4, v[4:5], off
	s_wait_loadcnt 0x0
	v_lshrrev_b32_e32 v5, 8, v4
	v_lshrrev_b32_e32 v6, 24, v4
	;; [unrolled: 1-line block ×3, first 2 shown]
	v_mul_lo_u16 v4, s10, v4
	s_delay_alu instid0(VALU_DEP_4) | instskip(NEXT) | instid1(VALU_DEP_4)
	v_mul_lo_u16 v5, s10, v5
	v_mul_lo_u16 v6, s10, v6
	s_delay_alu instid0(VALU_DEP_4) | instskip(NEXT) | instid1(VALU_DEP_4)
	v_mul_lo_u16 v7, s10, v7
	v_and_b32_e32 v8, 0xff, v4
	v_add_co_u32 v4, vcc_lo, s8, v2
	v_lshlrev_b16 v5, 8, v5
	v_lshlrev_b16 v9, 8, v6
	v_and_b32_e32 v10, 0xff, v7
	v_lshlrev_b64_e32 v[6:7], 2, v[0:1]
	s_wait_alu 0xfffe
	v_add_co_u32 v2, s0, v2, s5
	v_or_b32_e32 v8, v8, v5
	v_or_b32_e32 v9, v10, v9
	s_wait_alu 0xfffd
	v_add_co_ci_u32_e64 v5, null, s9, v3, vcc_lo
	v_cmp_le_i64_e32 vcc_lo, s[2:3], v[6:7]
	v_and_b32_e32 v8, 0xffff, v8
	v_lshlrev_b32_e32 v9, 16, v9
	s_wait_alu 0xf1ff
	v_add_co_ci_u32_e64 v3, null, 0, v3, s0
	s_or_b32 s4, vcc_lo, s4
	v_or_b32_e32 v6, v8, v9
	global_store_b32 v[4:5], v6, off
	s_wait_alu 0xfffe
	s_and_not1_b32 exec_lo, exec_lo, s4
	s_cbranch_execnz .LBB37_24
.LBB37_25:
	s_endpgm
	.section	.rodata,"a",@progbits
	.p2align	6, 0x0
	.amdhsa_kernel _ZN2at6native12_GLOBAL__N_125multi_tensor_apply_kernelINS1_18TensorListMetadataILi2EEENS1_21BinaryOpScalarFunctorIaLi2ELi1ELi1EEEJSt10multipliesIaEaEEEvT_T0_DpT1_
		.amdhsa_group_segment_fixed_size 0
		.amdhsa_private_segment_fixed_size 0
		.amdhsa_kernarg_size 3408
		.amdhsa_user_sgpr_count 2
		.amdhsa_user_sgpr_dispatch_ptr 0
		.amdhsa_user_sgpr_queue_ptr 0
		.amdhsa_user_sgpr_kernarg_segment_ptr 1
		.amdhsa_user_sgpr_dispatch_id 0
		.amdhsa_user_sgpr_private_segment_size 0
		.amdhsa_wavefront_size32 1
		.amdhsa_uses_dynamic_stack 0
		.amdhsa_enable_private_segment 0
		.amdhsa_system_sgpr_workgroup_id_x 1
		.amdhsa_system_sgpr_workgroup_id_y 0
		.amdhsa_system_sgpr_workgroup_id_z 0
		.amdhsa_system_sgpr_workgroup_info 0
		.amdhsa_system_vgpr_workitem_id 0
		.amdhsa_next_free_vgpr 29
		.amdhsa_next_free_sgpr 25
		.amdhsa_reserve_vcc 1
		.amdhsa_float_round_mode_32 0
		.amdhsa_float_round_mode_16_64 0
		.amdhsa_float_denorm_mode_32 3
		.amdhsa_float_denorm_mode_16_64 3
		.amdhsa_fp16_overflow 0
		.amdhsa_workgroup_processor_mode 1
		.amdhsa_memory_ordered 1
		.amdhsa_forward_progress 1
		.amdhsa_inst_pref_size 13
		.amdhsa_round_robin_scheduling 0
		.amdhsa_exception_fp_ieee_invalid_op 0
		.amdhsa_exception_fp_denorm_src 0
		.amdhsa_exception_fp_ieee_div_zero 0
		.amdhsa_exception_fp_ieee_overflow 0
		.amdhsa_exception_fp_ieee_underflow 0
		.amdhsa_exception_fp_ieee_inexact 0
		.amdhsa_exception_int_div_zero 0
	.end_amdhsa_kernel
	.section	.text._ZN2at6native12_GLOBAL__N_125multi_tensor_apply_kernelINS1_18TensorListMetadataILi2EEENS1_21BinaryOpScalarFunctorIaLi2ELi1ELi1EEEJSt10multipliesIaEaEEEvT_T0_DpT1_,"axG",@progbits,_ZN2at6native12_GLOBAL__N_125multi_tensor_apply_kernelINS1_18TensorListMetadataILi2EEENS1_21BinaryOpScalarFunctorIaLi2ELi1ELi1EEEJSt10multipliesIaEaEEEvT_T0_DpT1_,comdat
.Lfunc_end37:
	.size	_ZN2at6native12_GLOBAL__N_125multi_tensor_apply_kernelINS1_18TensorListMetadataILi2EEENS1_21BinaryOpScalarFunctorIaLi2ELi1ELi1EEEJSt10multipliesIaEaEEEvT_T0_DpT1_, .Lfunc_end37-_ZN2at6native12_GLOBAL__N_125multi_tensor_apply_kernelINS1_18TensorListMetadataILi2EEENS1_21BinaryOpScalarFunctorIaLi2ELi1ELi1EEEJSt10multipliesIaEaEEEvT_T0_DpT1_
                                        ; -- End function
	.set _ZN2at6native12_GLOBAL__N_125multi_tensor_apply_kernelINS1_18TensorListMetadataILi2EEENS1_21BinaryOpScalarFunctorIaLi2ELi1ELi1EEEJSt10multipliesIaEaEEEvT_T0_DpT1_.num_vgpr, 29
	.set _ZN2at6native12_GLOBAL__N_125multi_tensor_apply_kernelINS1_18TensorListMetadataILi2EEENS1_21BinaryOpScalarFunctorIaLi2ELi1ELi1EEEJSt10multipliesIaEaEEEvT_T0_DpT1_.num_agpr, 0
	.set _ZN2at6native12_GLOBAL__N_125multi_tensor_apply_kernelINS1_18TensorListMetadataILi2EEENS1_21BinaryOpScalarFunctorIaLi2ELi1ELi1EEEJSt10multipliesIaEaEEEvT_T0_DpT1_.numbered_sgpr, 25
	.set _ZN2at6native12_GLOBAL__N_125multi_tensor_apply_kernelINS1_18TensorListMetadataILi2EEENS1_21BinaryOpScalarFunctorIaLi2ELi1ELi1EEEJSt10multipliesIaEaEEEvT_T0_DpT1_.num_named_barrier, 0
	.set _ZN2at6native12_GLOBAL__N_125multi_tensor_apply_kernelINS1_18TensorListMetadataILi2EEENS1_21BinaryOpScalarFunctorIaLi2ELi1ELi1EEEJSt10multipliesIaEaEEEvT_T0_DpT1_.private_seg_size, 0
	.set _ZN2at6native12_GLOBAL__N_125multi_tensor_apply_kernelINS1_18TensorListMetadataILi2EEENS1_21BinaryOpScalarFunctorIaLi2ELi1ELi1EEEJSt10multipliesIaEaEEEvT_T0_DpT1_.uses_vcc, 1
	.set _ZN2at6native12_GLOBAL__N_125multi_tensor_apply_kernelINS1_18TensorListMetadataILi2EEENS1_21BinaryOpScalarFunctorIaLi2ELi1ELi1EEEJSt10multipliesIaEaEEEvT_T0_DpT1_.uses_flat_scratch, 0
	.set _ZN2at6native12_GLOBAL__N_125multi_tensor_apply_kernelINS1_18TensorListMetadataILi2EEENS1_21BinaryOpScalarFunctorIaLi2ELi1ELi1EEEJSt10multipliesIaEaEEEvT_T0_DpT1_.has_dyn_sized_stack, 0
	.set _ZN2at6native12_GLOBAL__N_125multi_tensor_apply_kernelINS1_18TensorListMetadataILi2EEENS1_21BinaryOpScalarFunctorIaLi2ELi1ELi1EEEJSt10multipliesIaEaEEEvT_T0_DpT1_.has_recursion, 0
	.set _ZN2at6native12_GLOBAL__N_125multi_tensor_apply_kernelINS1_18TensorListMetadataILi2EEENS1_21BinaryOpScalarFunctorIaLi2ELi1ELi1EEEJSt10multipliesIaEaEEEvT_T0_DpT1_.has_indirect_call, 0
	.section	.AMDGPU.csdata,"",@progbits
; Kernel info:
; codeLenInByte = 1632
; TotalNumSgprs: 27
; NumVgprs: 29
; ScratchSize: 0
; MemoryBound: 0
; FloatMode: 240
; IeeeMode: 1
; LDSByteSize: 0 bytes/workgroup (compile time only)
; SGPRBlocks: 0
; VGPRBlocks: 3
; NumSGPRsForWavesPerEU: 27
; NumVGPRsForWavesPerEU: 29
; Occupancy: 16
; WaveLimiterHint : 0
; COMPUTE_PGM_RSRC2:SCRATCH_EN: 0
; COMPUTE_PGM_RSRC2:USER_SGPR: 2
; COMPUTE_PGM_RSRC2:TRAP_HANDLER: 0
; COMPUTE_PGM_RSRC2:TGID_X_EN: 1
; COMPUTE_PGM_RSRC2:TGID_Y_EN: 0
; COMPUTE_PGM_RSRC2:TGID_Z_EN: 0
; COMPUTE_PGM_RSRC2:TIDIG_COMP_CNT: 0
	.section	.text._ZN2at6native12_GLOBAL__N_125multi_tensor_apply_kernelINS1_18TensorListMetadataILi2EEENS1_21BinaryOpScalarFunctorIiLi2ELi1ELi1EEEJSt10multipliesIiEiEEEvT_T0_DpT1_,"axG",@progbits,_ZN2at6native12_GLOBAL__N_125multi_tensor_apply_kernelINS1_18TensorListMetadataILi2EEENS1_21BinaryOpScalarFunctorIiLi2ELi1ELi1EEEJSt10multipliesIiEiEEEvT_T0_DpT1_,comdat
	.globl	_ZN2at6native12_GLOBAL__N_125multi_tensor_apply_kernelINS1_18TensorListMetadataILi2EEENS1_21BinaryOpScalarFunctorIiLi2ELi1ELi1EEEJSt10multipliesIiEiEEEvT_T0_DpT1_ ; -- Begin function _ZN2at6native12_GLOBAL__N_125multi_tensor_apply_kernelINS1_18TensorListMetadataILi2EEENS1_21BinaryOpScalarFunctorIiLi2ELi1ELi1EEEJSt10multipliesIiEiEEEvT_T0_DpT1_
	.p2align	8
	.type	_ZN2at6native12_GLOBAL__N_125multi_tensor_apply_kernelINS1_18TensorListMetadataILi2EEENS1_21BinaryOpScalarFunctorIiLi2ELi1ELi1EEEJSt10multipliesIiEiEEEvT_T0_DpT1_,@function
_ZN2at6native12_GLOBAL__N_125multi_tensor_apply_kernelINS1_18TensorListMetadataILi2EEENS1_21BinaryOpScalarFunctorIiLi2ELi1ELi1EEEJSt10multipliesIiEiEEEvT_T0_DpT1_: ; @_ZN2at6native12_GLOBAL__N_125multi_tensor_apply_kernelINS1_18TensorListMetadataILi2EEENS1_21BinaryOpScalarFunctorIiLi2ELi1ELi1EEEJSt10multipliesIiEiEEEvT_T0_DpT1_
; %bb.0:
	s_load_u8 s8, s[0:1], ttmp9 offset:0x600
	s_mov_b32 s2, ttmp9
	s_mov_b32 s3, 0
	s_delay_alu instid0(SALU_CYCLE_1)
	s_mul_u64 s[4:5], s[2:3], 3
	s_add_nc_u64 s[6:7], s[0:1], s[2:3]
	s_mov_b32 s15, s3
	s_add_nc_u64 s[4:5], s[6:7], s[4:5]
	s_mov_b32 s17, s3
	s_load_b32 s4, s[4:5], 0x740
	s_wait_kmcnt 0x0
	s_lshl_b32 s2, s8, 3
	s_clause 0x3
	s_load_b64 s[6:7], s[0:1], s2 offset:0x0
	s_load_b64 s[8:9], s[0:1], s2 offset:0x200
	;; [unrolled: 1-line block ×3, first 2 shown]
	s_load_b32 s22, s[0:1], 0xc4c
	s_ashr_i32 s5, s4, 31
	s_delay_alu instid0(SALU_CYCLE_1)
	s_lshl_b64 s[10:11], s[4:5], 18
	s_lshl_b64 s[4:5], s[4:5], 16
	s_wait_kmcnt 0x0
	s_add_nc_u64 s[18:19], s[6:7], s[10:11]
	s_and_b32 s14, s8, 15
	s_and_b32 s16, s12, 3
	s_and_b32 s2, s18, 15
	s_or_b64 s[14:15], s[14:15], s[16:17]
	s_sub_nc_u64 s[12:13], s[12:13], s[4:5]
	s_or_b64 s[2:3], s[14:15], s[2:3]
	s_delay_alu instid0(SALU_CYCLE_1)
	s_cmp_eq_u64 s[2:3], 0
	s_mov_b32 s2, -1
	s_cbranch_scc1 .LBB38_21
; %bb.1:
	v_cmp_lt_i64_e64 s2, s[12:13], 1
	s_and_b32 vcc_lo, exec_lo, s2
	s_cbranch_vccnz .LBB38_20
; %bb.2:
	s_load_b32 s2, s[0:1], 0xc5c
	v_cmp_gt_i64_e64 s3, 0x10000, s[12:13]
	v_dual_mov_b32 v10, 0 :: v_dual_lshlrev_b32 v9, 2, v0
	v_cmp_gt_u64_e64 s4, 0x10000, s[12:13]
	s_mov_b32 s15, 0
	s_mov_b64 s[20:21], 0
	s_and_b32 s3, s3, exec_lo
	v_add_co_u32 v3, s3, s8, v9
	v_add_co_u32 v1, s5, s6, v9
	s_cselect_b32 s17, s13, 0
	s_cselect_b32 s16, s12, 0x10000
	v_add_co_ci_u32_e64 v4, null, s9, 0, s3
	v_add_co_ci_u32_e64 v2, null, s7, 0, s5
	s_wait_kmcnt 0x0
	s_and_b32 s2, s2, 0xffff
	s_and_b32 s3, s4, exec_lo
	s_cselect_b32 s19, s13, 0
	s_cselect_b32 s18, s12, 0x10000
	s_wait_alu 0xfffe
	s_mul_i32 s4, s2, 3
	s_lshl_b32 s5, s2, 3
	v_mad_co_u64_u32 v[7:8], null, s2, 12, v[9:10]
	s_wait_alu 0xfffe
	v_add_co_u32 v14, s5, s5, v9
	v_add_co_u32 v9, s4, s4, v0
	s_wait_alu 0xf1ff
	v_add_co_ci_u32_e64 v10, null, 0, 0, s4
	v_add_co_u32 v13, s4, v0, s2
	s_lshl_b32 s3, s2, 1
	v_add_co_u32 v5, vcc_lo, s6, v7
	v_lshlrev_b32_e32 v21, 2, v13
	v_add_co_ci_u32_e64 v15, null, 0, 0, s5
	v_add_co_ci_u32_e64 v6, null, s7, v8, vcc_lo
	v_add_co_u32 v7, vcc_lo, s8, v7
	s_wait_alu 0xfffe
	v_add_co_u32 v17, s3, s3, v0
	s_wait_alu 0xfffd
	v_add_co_ci_u32_e64 v8, null, s9, v8, vcc_lo
	v_add_co_u32 v11, vcc_lo, s6, v14
	s_wait_alu 0xf1ff
	v_add_co_ci_u32_e64 v18, null, 0, 0, s3
	v_add_co_u32 v19, s3, s6, v21
	s_wait_alu 0xfffd
	v_add_co_ci_u32_e64 v12, null, s7, v15, vcc_lo
	v_add_co_u32 v14, vcc_lo, s8, v14
	s_wait_alu 0xf1ff
	v_add_co_ci_u32_e64 v20, null, s7, 0, s3
	v_add_co_u32 v21, s3, s8, v21
	s_wait_alu 0xfffd
	v_add_co_ci_u32_e64 v15, null, s9, v15, vcc_lo
	v_add_co_ci_u32_e64 v16, null, 0, 0, s4
	s_wait_alu 0xf1ff
	v_add_co_ci_u32_e64 v22, null, s9, 0, s3
	s_lshl_b32 s14, s2, 2
	s_lshl_b32 s23, s2, 4
	s_branch .LBB38_4
.LBB38_3:                               ;   in Loop: Header=BB38_4 Depth=1
	s_wait_alu 0xfffe
	s_or_b32 exec_lo, exec_lo, s2
	v_add_co_u32 v1, vcc_lo, v1, s23
	s_wait_alu 0xfffd
	v_add_co_ci_u32_e64 v2, null, 0, v2, vcc_lo
	v_add_co_u32 v3, vcc_lo, v3, s23
	s_wait_alu 0xfffd
	v_add_co_ci_u32_e64 v4, null, 0, v4, vcc_lo
	;; [unrolled: 3-line block ×5, first 2 shown]
	v_add_co_u32 v14, vcc_lo, v14, s23
	s_add_nc_u64 s[20:21], s[20:21], s[14:15]
	s_wait_alu 0xfffd
	v_add_co_ci_u32_e64 v15, null, 0, v15, vcc_lo
	v_add_co_u32 v19, vcc_lo, v19, s23
	s_wait_alu 0xfffe
	v_cmp_lt_i64_e64 s2, s[20:21], s[16:17]
	s_wait_alu 0xfffd
	v_add_co_ci_u32_e64 v20, null, 0, v20, vcc_lo
	v_add_co_u32 v21, vcc_lo, v21, s23
	s_wait_alu 0xfffd
	v_add_co_ci_u32_e64 v22, null, 0, v22, vcc_lo
	s_and_b32 vcc_lo, exec_lo, s2
	s_wait_alu 0xfffe
	s_cbranch_vccz .LBB38_20
.LBB38_4:                               ; =>This Inner Loop Header: Depth=1
	s_wait_loadcnt 0x0
	v_add_co_u32 v23, s2, v0, s20
	s_wait_alu 0xf1ff
	v_add_co_ci_u32_e64 v24, null, 0, s21, s2
	s_delay_alu instid0(VALU_DEP_1)
	v_cmp_gt_u64_e32 vcc_lo, s[18:19], v[23:24]
	v_mov_b32_e32 v24, 0
	s_and_saveexec_b32 s3, vcc_lo
	s_cbranch_execz .LBB38_6
; %bb.5:                                ;   in Loop: Header=BB38_4 Depth=1
	v_add_co_u32 v23, s2, v1, s10
	s_wait_alu 0xf1ff
	v_add_co_ci_u32_e64 v24, null, s11, v2, s2
	global_load_b32 v24, v[23:24], off
.LBB38_6:                               ;   in Loop: Header=BB38_4 Depth=1
	s_wait_alu 0xfffe
	s_or_b32 exec_lo, exec_lo, s3
	v_add_co_u32 v25, s2, v13, s20
	s_wait_alu 0xf1ff
	v_add_co_ci_u32_e64 v26, null, s21, v16, s2
	v_mov_b32_e32 v23, 0
	s_delay_alu instid0(VALU_DEP_2)
	v_cmp_gt_u64_e64 s2, s[18:19], v[25:26]
	v_mov_b32_e32 v25, 0
	s_and_saveexec_b32 s4, s2
	s_cbranch_execz .LBB38_8
; %bb.7:                                ;   in Loop: Header=BB38_4 Depth=1
	v_add_co_u32 v25, s3, v19, s10
	s_wait_alu 0xf1ff
	v_add_co_ci_u32_e64 v26, null, s11, v20, s3
	global_load_b32 v25, v[25:26], off
.LBB38_8:                               ;   in Loop: Header=BB38_4 Depth=1
	s_wait_alu 0xfffe
	s_or_b32 exec_lo, exec_lo, s4
	v_add_co_u32 v26, s3, v17, s20
	s_wait_alu 0xf1ff
	v_add_co_ci_u32_e64 v27, null, s21, v18, s3
	s_delay_alu instid0(VALU_DEP_1)
	v_cmp_gt_u64_e64 s3, s[18:19], v[26:27]
	s_and_saveexec_b32 s5, s3
	s_cbranch_execz .LBB38_10
; %bb.9:                                ;   in Loop: Header=BB38_4 Depth=1
	v_add_co_u32 v26, s4, v11, s10
	s_wait_alu 0xf1ff
	v_add_co_ci_u32_e64 v27, null, s11, v12, s4
	global_load_b32 v23, v[26:27], off
.LBB38_10:                              ;   in Loop: Header=BB38_4 Depth=1
	s_wait_alu 0xfffe
	s_or_b32 exec_lo, exec_lo, s5
	v_add_co_u32 v26, s4, v9, s20
	s_wait_alu 0xf1ff
	v_add_co_ci_u32_e64 v27, null, s21, v10, s4
	s_delay_alu instid0(VALU_DEP_1)
	v_cmp_gt_u64_e64 s4, s[18:19], v[26:27]
	v_mov_b32_e32 v26, 0
	s_and_saveexec_b32 s24, s4
	s_cbranch_execnz .LBB38_15
; %bb.11:                               ;   in Loop: Header=BB38_4 Depth=1
	s_or_b32 exec_lo, exec_lo, s24
	s_and_saveexec_b32 s5, vcc_lo
	s_cbranch_execnz .LBB38_16
.LBB38_12:                              ;   in Loop: Header=BB38_4 Depth=1
	s_wait_alu 0xfffe
	s_or_b32 exec_lo, exec_lo, s5
	s_and_saveexec_b32 s5, s2
	s_cbranch_execnz .LBB38_17
.LBB38_13:                              ;   in Loop: Header=BB38_4 Depth=1
	s_wait_alu 0xfffe
	s_or_b32 exec_lo, exec_lo, s5
	s_and_saveexec_b32 s2, s3
	s_cbranch_execnz .LBB38_18
.LBB38_14:                              ;   in Loop: Header=BB38_4 Depth=1
	s_wait_alu 0xfffe
	s_or_b32 exec_lo, exec_lo, s2
	s_and_saveexec_b32 s2, s4
	s_cbranch_execz .LBB38_3
	s_branch .LBB38_19
.LBB38_15:                              ;   in Loop: Header=BB38_4 Depth=1
	v_add_co_u32 v26, s5, v5, s10
	s_wait_alu 0xf1ff
	v_add_co_ci_u32_e64 v27, null, s11, v6, s5
	global_load_b32 v26, v[26:27], off
	s_or_b32 exec_lo, exec_lo, s24
	s_and_saveexec_b32 s5, vcc_lo
	s_cbranch_execz .LBB38_12
.LBB38_16:                              ;   in Loop: Header=BB38_4 Depth=1
	s_wait_loadcnt 0x0
	v_mul_lo_u32 v24, v24, s22
	v_add_co_u32 v27, vcc_lo, v3, s10
	s_wait_alu 0xfffd
	v_add_co_ci_u32_e64 v28, null, s11, v4, vcc_lo
	global_store_b32 v[27:28], v24, off
	s_wait_alu 0xfffe
	s_or_b32 exec_lo, exec_lo, s5
	s_and_saveexec_b32 s5, s2
	s_cbranch_execz .LBB38_13
.LBB38_17:                              ;   in Loop: Header=BB38_4 Depth=1
	s_wait_loadcnt 0x0
	v_mul_lo_u32 v27, v25, s22
	v_add_co_u32 v24, vcc_lo, v21, s10
	s_wait_alu 0xfffd
	v_add_co_ci_u32_e64 v25, null, s11, v22, vcc_lo
	global_store_b32 v[24:25], v27, off
	s_wait_alu 0xfffe
	s_or_b32 exec_lo, exec_lo, s5
	s_and_saveexec_b32 s2, s3
	s_cbranch_execz .LBB38_14
.LBB38_18:                              ;   in Loop: Header=BB38_4 Depth=1
	s_wait_loadcnt 0x0
	v_mul_lo_u32 v25, v23, s22
	v_add_co_u32 v23, vcc_lo, v14, s10
	s_wait_alu 0xfffd
	v_add_co_ci_u32_e64 v24, null, s11, v15, vcc_lo
	global_store_b32 v[23:24], v25, off
	s_wait_alu 0xfffe
	s_or_b32 exec_lo, exec_lo, s2
	s_and_saveexec_b32 s2, s4
	s_cbranch_execz .LBB38_3
.LBB38_19:                              ;   in Loop: Header=BB38_4 Depth=1
	s_wait_loadcnt 0x0
	v_mul_lo_u32 v25, v26, s22
	v_add_co_u32 v23, vcc_lo, v7, s10
	s_wait_alu 0xfffd
	v_add_co_ci_u32_e64 v24, null, s11, v8, vcc_lo
	global_store_b32 v[23:24], v25, off
	s_branch .LBB38_3
.LBB38_20:
	s_mov_b32 s2, 0
.LBB38_21:
	s_wait_alu 0xfffe
	s_and_not1_b32 vcc_lo, exec_lo, s2
	s_wait_alu 0xfffe
	s_cbranch_vccnz .LBB38_25
; %bb.22:
	v_cmp_gt_i64_e64 s2, 0x10000, s[12:13]
	v_dual_mov_b32 v2, 0 :: v_dual_lshlrev_b32 v1, 2, v0
	s_mov_b32 s4, 0
	s_mov_b32 s5, exec_lo
	s_and_b32 s2, s2, exec_lo
	s_cselect_b32 s3, s13, 0
	s_cselect_b32 s2, s12, 0x10000
	s_wait_alu 0xfffe
	v_cmpx_gt_i64_e64 s[2:3], v[1:2]
	s_cbranch_execz .LBB38_25
; %bb.23:
	s_load_b32 s0, s[0:1], 0xc5c
	v_lshlrev_b32_e32 v3, 4, v0
	v_mov_b32_e32 v1, v2
	s_delay_alu instid0(VALU_DEP_2) | instskip(NEXT) | instid1(VALU_DEP_1)
	v_add_co_u32 v2, s1, s10, v3
	v_add_co_ci_u32_e64 v3, null, s11, 0, s1
	s_wait_kmcnt 0x0
	s_and_b32 s1, s0, 0xffff
	s_wait_alu 0xfffe
	s_lshl_b32 s5, s1, 4
.LBB38_24:                              ; =>This Inner Loop Header: Depth=1
	v_add_co_u32 v4, vcc_lo, s6, v2
	s_wait_alu 0xfffd
	v_add_co_ci_u32_e64 v5, null, s7, v3, vcc_lo
	v_add_co_u32 v0, vcc_lo, v0, s1
	s_wait_alu 0xfffd
	v_add_co_ci_u32_e64 v1, null, 0, v1, vcc_lo
	global_load_b128 v[4:7], v[4:5], off
	v_add_co_u32 v8, vcc_lo, s8, v2
	v_lshlrev_b64_e32 v[10:11], 2, v[0:1]
	s_wait_alu 0xfffd
	v_add_co_ci_u32_e64 v9, null, s9, v3, vcc_lo
	s_wait_alu 0xfffe
	v_add_co_u32 v2, s0, v2, s5
	s_wait_alu 0xf1ff
	v_add_co_ci_u32_e64 v3, null, 0, v3, s0
	v_cmp_le_i64_e32 vcc_lo, s[2:3], v[10:11]
	s_or_b32 s4, vcc_lo, s4
	s_wait_loadcnt 0x0
	v_mul_lo_u32 v4, v4, s22
	v_mul_lo_u32 v5, v5, s22
	v_mul_lo_u32 v6, v6, s22
	v_mul_lo_u32 v7, v7, s22
	global_store_b128 v[8:9], v[4:7], off
	s_wait_alu 0xfffe
	s_and_not1_b32 exec_lo, exec_lo, s4
	s_cbranch_execnz .LBB38_24
.LBB38_25:
	s_endpgm
	.section	.rodata,"a",@progbits
	.p2align	6, 0x0
	.amdhsa_kernel _ZN2at6native12_GLOBAL__N_125multi_tensor_apply_kernelINS1_18TensorListMetadataILi2EEENS1_21BinaryOpScalarFunctorIiLi2ELi1ELi1EEEJSt10multipliesIiEiEEEvT_T0_DpT1_
		.amdhsa_group_segment_fixed_size 0
		.amdhsa_private_segment_fixed_size 0
		.amdhsa_kernarg_size 3408
		.amdhsa_user_sgpr_count 2
		.amdhsa_user_sgpr_dispatch_ptr 0
		.amdhsa_user_sgpr_queue_ptr 0
		.amdhsa_user_sgpr_kernarg_segment_ptr 1
		.amdhsa_user_sgpr_dispatch_id 0
		.amdhsa_user_sgpr_private_segment_size 0
		.amdhsa_wavefront_size32 1
		.amdhsa_uses_dynamic_stack 0
		.amdhsa_enable_private_segment 0
		.amdhsa_system_sgpr_workgroup_id_x 1
		.amdhsa_system_sgpr_workgroup_id_y 0
		.amdhsa_system_sgpr_workgroup_id_z 0
		.amdhsa_system_sgpr_workgroup_info 0
		.amdhsa_system_vgpr_workitem_id 0
		.amdhsa_next_free_vgpr 29
		.amdhsa_next_free_sgpr 25
		.amdhsa_reserve_vcc 1
		.amdhsa_float_round_mode_32 0
		.amdhsa_float_round_mode_16_64 0
		.amdhsa_float_denorm_mode_32 3
		.amdhsa_float_denorm_mode_16_64 3
		.amdhsa_fp16_overflow 0
		.amdhsa_workgroup_processor_mode 1
		.amdhsa_memory_ordered 1
		.amdhsa_forward_progress 1
		.amdhsa_inst_pref_size 14
		.amdhsa_round_robin_scheduling 0
		.amdhsa_exception_fp_ieee_invalid_op 0
		.amdhsa_exception_fp_denorm_src 0
		.amdhsa_exception_fp_ieee_div_zero 0
		.amdhsa_exception_fp_ieee_overflow 0
		.amdhsa_exception_fp_ieee_underflow 0
		.amdhsa_exception_fp_ieee_inexact 0
		.amdhsa_exception_int_div_zero 0
	.end_amdhsa_kernel
	.section	.text._ZN2at6native12_GLOBAL__N_125multi_tensor_apply_kernelINS1_18TensorListMetadataILi2EEENS1_21BinaryOpScalarFunctorIiLi2ELi1ELi1EEEJSt10multipliesIiEiEEEvT_T0_DpT1_,"axG",@progbits,_ZN2at6native12_GLOBAL__N_125multi_tensor_apply_kernelINS1_18TensorListMetadataILi2EEENS1_21BinaryOpScalarFunctorIiLi2ELi1ELi1EEEJSt10multipliesIiEiEEEvT_T0_DpT1_,comdat
.Lfunc_end38:
	.size	_ZN2at6native12_GLOBAL__N_125multi_tensor_apply_kernelINS1_18TensorListMetadataILi2EEENS1_21BinaryOpScalarFunctorIiLi2ELi1ELi1EEEJSt10multipliesIiEiEEEvT_T0_DpT1_, .Lfunc_end38-_ZN2at6native12_GLOBAL__N_125multi_tensor_apply_kernelINS1_18TensorListMetadataILi2EEENS1_21BinaryOpScalarFunctorIiLi2ELi1ELi1EEEJSt10multipliesIiEiEEEvT_T0_DpT1_
                                        ; -- End function
	.set _ZN2at6native12_GLOBAL__N_125multi_tensor_apply_kernelINS1_18TensorListMetadataILi2EEENS1_21BinaryOpScalarFunctorIiLi2ELi1ELi1EEEJSt10multipliesIiEiEEEvT_T0_DpT1_.num_vgpr, 29
	.set _ZN2at6native12_GLOBAL__N_125multi_tensor_apply_kernelINS1_18TensorListMetadataILi2EEENS1_21BinaryOpScalarFunctorIiLi2ELi1ELi1EEEJSt10multipliesIiEiEEEvT_T0_DpT1_.num_agpr, 0
	.set _ZN2at6native12_GLOBAL__N_125multi_tensor_apply_kernelINS1_18TensorListMetadataILi2EEENS1_21BinaryOpScalarFunctorIiLi2ELi1ELi1EEEJSt10multipliesIiEiEEEvT_T0_DpT1_.numbered_sgpr, 25
	.set _ZN2at6native12_GLOBAL__N_125multi_tensor_apply_kernelINS1_18TensorListMetadataILi2EEENS1_21BinaryOpScalarFunctorIiLi2ELi1ELi1EEEJSt10multipliesIiEiEEEvT_T0_DpT1_.num_named_barrier, 0
	.set _ZN2at6native12_GLOBAL__N_125multi_tensor_apply_kernelINS1_18TensorListMetadataILi2EEENS1_21BinaryOpScalarFunctorIiLi2ELi1ELi1EEEJSt10multipliesIiEiEEEvT_T0_DpT1_.private_seg_size, 0
	.set _ZN2at6native12_GLOBAL__N_125multi_tensor_apply_kernelINS1_18TensorListMetadataILi2EEENS1_21BinaryOpScalarFunctorIiLi2ELi1ELi1EEEJSt10multipliesIiEiEEEvT_T0_DpT1_.uses_vcc, 1
	.set _ZN2at6native12_GLOBAL__N_125multi_tensor_apply_kernelINS1_18TensorListMetadataILi2EEENS1_21BinaryOpScalarFunctorIiLi2ELi1ELi1EEEJSt10multipliesIiEiEEEvT_T0_DpT1_.uses_flat_scratch, 0
	.set _ZN2at6native12_GLOBAL__N_125multi_tensor_apply_kernelINS1_18TensorListMetadataILi2EEENS1_21BinaryOpScalarFunctorIiLi2ELi1ELi1EEEJSt10multipliesIiEiEEEvT_T0_DpT1_.has_dyn_sized_stack, 0
	.set _ZN2at6native12_GLOBAL__N_125multi_tensor_apply_kernelINS1_18TensorListMetadataILi2EEENS1_21BinaryOpScalarFunctorIiLi2ELi1ELi1EEEJSt10multipliesIiEiEEEvT_T0_DpT1_.has_recursion, 0
	.set _ZN2at6native12_GLOBAL__N_125multi_tensor_apply_kernelINS1_18TensorListMetadataILi2EEENS1_21BinaryOpScalarFunctorIiLi2ELi1ELi1EEEJSt10multipliesIiEiEEEvT_T0_DpT1_.has_indirect_call, 0
	.section	.AMDGPU.csdata,"",@progbits
; Kernel info:
; codeLenInByte = 1668
; TotalNumSgprs: 27
; NumVgprs: 29
; ScratchSize: 0
; MemoryBound: 0
; FloatMode: 240
; IeeeMode: 1
; LDSByteSize: 0 bytes/workgroup (compile time only)
; SGPRBlocks: 0
; VGPRBlocks: 3
; NumSGPRsForWavesPerEU: 27
; NumVGPRsForWavesPerEU: 29
; Occupancy: 16
; WaveLimiterHint : 0
; COMPUTE_PGM_RSRC2:SCRATCH_EN: 0
; COMPUTE_PGM_RSRC2:USER_SGPR: 2
; COMPUTE_PGM_RSRC2:TRAP_HANDLER: 0
; COMPUTE_PGM_RSRC2:TGID_X_EN: 1
; COMPUTE_PGM_RSRC2:TGID_Y_EN: 0
; COMPUTE_PGM_RSRC2:TGID_Z_EN: 0
; COMPUTE_PGM_RSRC2:TIDIG_COMP_CNT: 0
	.section	.text._ZN2at6native12_GLOBAL__N_125multi_tensor_apply_kernelINS1_18TensorListMetadataILi2EEENS1_21BinaryOpScalarFunctorIlLi2ELi1ELi1EEEJSt10multipliesIlElEEEvT_T0_DpT1_,"axG",@progbits,_ZN2at6native12_GLOBAL__N_125multi_tensor_apply_kernelINS1_18TensorListMetadataILi2EEENS1_21BinaryOpScalarFunctorIlLi2ELi1ELi1EEEJSt10multipliesIlElEEEvT_T0_DpT1_,comdat
	.globl	_ZN2at6native12_GLOBAL__N_125multi_tensor_apply_kernelINS1_18TensorListMetadataILi2EEENS1_21BinaryOpScalarFunctorIlLi2ELi1ELi1EEEJSt10multipliesIlElEEEvT_T0_DpT1_ ; -- Begin function _ZN2at6native12_GLOBAL__N_125multi_tensor_apply_kernelINS1_18TensorListMetadataILi2EEENS1_21BinaryOpScalarFunctorIlLi2ELi1ELi1EEEJSt10multipliesIlElEEEvT_T0_DpT1_
	.p2align	8
	.type	_ZN2at6native12_GLOBAL__N_125multi_tensor_apply_kernelINS1_18TensorListMetadataILi2EEENS1_21BinaryOpScalarFunctorIlLi2ELi1ELi1EEEJSt10multipliesIlElEEEvT_T0_DpT1_,@function
_ZN2at6native12_GLOBAL__N_125multi_tensor_apply_kernelINS1_18TensorListMetadataILi2EEENS1_21BinaryOpScalarFunctorIlLi2ELi1ELi1EEEJSt10multipliesIlElEEEvT_T0_DpT1_: ; @_ZN2at6native12_GLOBAL__N_125multi_tensor_apply_kernelINS1_18TensorListMetadataILi2EEENS1_21BinaryOpScalarFunctorIlLi2ELi1ELi1EEEJSt10multipliesIlElEEEvT_T0_DpT1_
; %bb.0:
	s_load_u8 s8, s[0:1], ttmp9 offset:0x600
	s_mov_b32 s2, ttmp9
	s_mov_b32 s3, 0
	s_delay_alu instid0(SALU_CYCLE_1)
	s_mul_u64 s[4:5], s[2:3], 3
	s_add_nc_u64 s[6:7], s[0:1], s[2:3]
	s_mov_b32 s17, s3
	s_add_nc_u64 s[4:5], s[6:7], s[4:5]
	s_mov_b32 s19, s3
	s_load_b32 s4, s[4:5], 0x740
	s_wait_kmcnt 0x0
	s_lshl_b32 s2, s8, 3
	s_clause 0x3
	s_load_b64 s[6:7], s[0:1], s2 offset:0x0
	s_load_b64 s[8:9], s[0:1], s2 offset:0x200
	s_load_b64 s[14:15], s[0:1], s2 offset:0x400
	s_load_b64 s[10:11], s[0:1], 0xc50
	s_ashr_i32 s5, s4, 31
	s_delay_alu instid0(SALU_CYCLE_1)
	s_lshl_b64 s[12:13], s[4:5], 19
	s_lshl_b64 s[4:5], s[4:5], 16
	s_wait_kmcnt 0x0
	s_add_nc_u64 s[20:21], s[6:7], s[12:13]
	s_and_b32 s16, s8, 31
	s_and_b32 s18, s14, 3
	;; [unrolled: 1-line block ×3, first 2 shown]
	s_or_b64 s[16:17], s[16:17], s[18:19]
	s_sub_nc_u64 s[14:15], s[14:15], s[4:5]
	s_or_b64 s[2:3], s[16:17], s[2:3]
	s_delay_alu instid0(SALU_CYCLE_1)
	s_cmp_eq_u64 s[2:3], 0
	s_mov_b32 s2, -1
	s_cbranch_scc1 .LBB39_21
; %bb.1:
	v_cmp_lt_i64_e64 s2, s[14:15], 1
	s_and_b32 vcc_lo, exec_lo, s2
	s_cbranch_vccnz .LBB39_20
; %bb.2:
	s_load_b32 s2, s[0:1], 0xc64
	v_cmp_gt_i64_e64 s3, 0x10000, s[14:15]
	v_dual_mov_b32 v2, 0 :: v_dual_lshlrev_b32 v1, 3, v0
	v_cmp_gt_u64_e64 s4, 0x10000, s[14:15]
	s_mov_b32 s17, 0
	s_mov_b64 s[22:23], 0
	s_and_b32 s3, s3, exec_lo
	s_cselect_b32 s19, s15, 0
	s_cselect_b32 s18, s14, 0x10000
	v_add_co_u32 v11, s3, s8, v1
	v_add_co_u32 v9, s5, s6, v1
	v_add_co_ci_u32_e64 v12, null, s9, 0, s3
	v_add_co_ci_u32_e64 v10, null, s7, 0, s5
	s_wait_kmcnt 0x0
	s_and_b32 s2, s2, 0xffff
	s_and_b32 s3, s4, exec_lo
	s_wait_alu 0xfffe
	v_mad_co_u64_u32 v[2:3], null, s2, 24, v[1:2]
	s_cselect_b32 s21, s15, 0
	s_cselect_b32 s20, s14, 0x10000
	s_mul_i32 s4, s2, 3
	s_lshl_b32 s5, s2, 4
	s_wait_alu 0xfffe
	v_add_co_u32 v17, s4, s4, v0
	v_add_co_u32 v13, vcc_lo, s6, v2
	v_add_co_u32 v1, s5, s5, v1
	v_add_co_ci_u32_e64 v14, null, s7, v3, vcc_lo
	v_add_co_u32 v15, vcc_lo, s8, v2
	s_wait_alu 0xf1ff
	v_add_co_ci_u32_e64 v2, null, 0, 0, s5
	v_add_co_ci_u32_e64 v18, null, 0, 0, s4
	v_add_co_u32 v21, s4, v0, s2
	s_wait_alu 0xfffd
	v_add_co_ci_u32_e64 v16, null, s9, v3, vcc_lo
	v_add_co_u32 v19, vcc_lo, s6, v1
	s_wait_alu 0xfffd
	v_add_co_ci_u32_e64 v20, null, s7, v2, vcc_lo
	v_add_co_u32 v22, vcc_lo, s8, v1
	v_lshlrev_b32_e32 v1, 3, v21
	s_lshl_b32 s3, s2, 1
	s_wait_alu 0xfffd
	v_add_co_ci_u32_e64 v23, null, s9, v2, vcc_lo
	s_wait_alu 0xfffe
	v_add_co_u32 v25, s3, s3, v0
	s_wait_alu 0xf1ff
	v_add_co_ci_u32_e64 v26, null, 0, 0, s3
	v_add_co_u32 v27, s3, s6, v1
	s_wait_alu 0xf1ff
	v_add_co_ci_u32_e64 v28, null, s7, 0, s3
	v_add_co_u32 v29, s3, s8, v1
	v_add_co_ci_u32_e64 v24, null, 0, 0, s4
	s_wait_alu 0xf1ff
	v_add_co_ci_u32_e64 v30, null, s9, 0, s3
	s_lshl_b32 s16, s2, 2
	s_lshl_b32 s24, s2, 5
	s_branch .LBB39_4
.LBB39_3:                               ;   in Loop: Header=BB39_4 Depth=1
	s_wait_alu 0xfffe
	s_or_b32 exec_lo, exec_lo, s2
	v_add_co_u32 v9, vcc_lo, v9, s24
	s_wait_alu 0xfffd
	v_add_co_ci_u32_e64 v10, null, 0, v10, vcc_lo
	v_add_co_u32 v11, vcc_lo, v11, s24
	s_wait_alu 0xfffd
	v_add_co_ci_u32_e64 v12, null, 0, v12, vcc_lo
	;; [unrolled: 3-line block ×5, first 2 shown]
	v_add_co_u32 v22, vcc_lo, v22, s24
	s_add_nc_u64 s[22:23], s[22:23], s[16:17]
	s_wait_alu 0xfffd
	v_add_co_ci_u32_e64 v23, null, 0, v23, vcc_lo
	v_add_co_u32 v27, vcc_lo, v27, s24
	s_wait_alu 0xfffe
	v_cmp_lt_i64_e64 s2, s[22:23], s[18:19]
	s_wait_alu 0xfffd
	v_add_co_ci_u32_e64 v28, null, 0, v28, vcc_lo
	v_add_co_u32 v29, vcc_lo, v29, s24
	s_wait_alu 0xfffd
	v_add_co_ci_u32_e64 v30, null, 0, v30, vcc_lo
	s_and_b32 vcc_lo, exec_lo, s2
	s_wait_alu 0xfffe
	s_cbranch_vccz .LBB39_20
.LBB39_4:                               ; =>This Inner Loop Header: Depth=1
	s_wait_loadcnt 0x0
	v_add_co_u32 v3, s2, v0, s22
	s_wait_alu 0xf1ff
	v_add_co_ci_u32_e64 v4, null, 0, s23, s2
	v_mov_b32_e32 v1, 0
	v_dual_mov_b32 v2, 0 :: v_dual_mov_b32 v5, 0
	s_delay_alu instid0(VALU_DEP_3)
	v_cmp_gt_u64_e32 vcc_lo, s[20:21], v[3:4]
	v_mov_b32_e32 v6, 0
	s_and_saveexec_b32 s3, vcc_lo
	s_cbranch_execz .LBB39_6
; %bb.5:                                ;   in Loop: Header=BB39_4 Depth=1
	v_add_co_u32 v3, s2, v9, s12
	s_wait_alu 0xf1ff
	v_add_co_ci_u32_e64 v4, null, s13, v10, s2
	global_load_b64 v[5:6], v[3:4], off
.LBB39_6:                               ;   in Loop: Header=BB39_4 Depth=1
	s_wait_alu 0xfffe
	s_or_b32 exec_lo, exec_lo, s3
	v_add_co_u32 v3, s2, v21, s22
	s_wait_alu 0xf1ff
	v_add_co_ci_u32_e64 v4, null, s23, v24, s2
	s_delay_alu instid0(VALU_DEP_1)
	v_cmp_gt_u64_e64 s2, s[20:21], v[3:4]
	s_and_saveexec_b32 s4, s2
	s_cbranch_execz .LBB39_8
; %bb.7:                                ;   in Loop: Header=BB39_4 Depth=1
	v_add_co_u32 v1, s3, v27, s12
	s_wait_alu 0xf1ff
	v_add_co_ci_u32_e64 v2, null, s13, v28, s3
	global_load_b64 v[1:2], v[1:2], off
.LBB39_8:                               ;   in Loop: Header=BB39_4 Depth=1
	s_wait_alu 0xfffe
	s_or_b32 exec_lo, exec_lo, s4
	v_add_co_u32 v7, s3, v25, s22
	s_wait_alu 0xf1ff
	v_add_co_ci_u32_e64 v8, null, s23, v26, s3
	v_mov_b32_e32 v3, 0
	v_mov_b32_e32 v4, 0
	s_delay_alu instid0(VALU_DEP_3)
	v_cmp_gt_u64_e64 s3, s[20:21], v[7:8]
	v_mov_b32_e32 v7, 0
	v_mov_b32_e32 v8, 0
	s_and_saveexec_b32 s5, s3
	s_cbranch_execz .LBB39_10
; %bb.9:                                ;   in Loop: Header=BB39_4 Depth=1
	v_add_co_u32 v7, s4, v19, s12
	s_wait_alu 0xf1ff
	v_add_co_ci_u32_e64 v8, null, s13, v20, s4
	global_load_b64 v[7:8], v[7:8], off
.LBB39_10:                              ;   in Loop: Header=BB39_4 Depth=1
	s_wait_alu 0xfffe
	s_or_b32 exec_lo, exec_lo, s5
	v_add_co_u32 v31, s4, v17, s22
	s_wait_alu 0xf1ff
	v_add_co_ci_u32_e64 v32, null, s23, v18, s4
	s_delay_alu instid0(VALU_DEP_1)
	v_cmp_gt_u64_e64 s4, s[20:21], v[31:32]
	s_and_saveexec_b32 s25, s4
	s_cbranch_execnz .LBB39_15
; %bb.11:                               ;   in Loop: Header=BB39_4 Depth=1
	s_wait_alu 0xfffe
	s_or_b32 exec_lo, exec_lo, s25
	s_and_saveexec_b32 s5, vcc_lo
	s_cbranch_execnz .LBB39_16
.LBB39_12:                              ;   in Loop: Header=BB39_4 Depth=1
	s_wait_alu 0xfffe
	s_or_b32 exec_lo, exec_lo, s5
	s_and_saveexec_b32 s5, s2
	s_cbranch_execnz .LBB39_17
.LBB39_13:                              ;   in Loop: Header=BB39_4 Depth=1
	s_wait_alu 0xfffe
	s_or_b32 exec_lo, exec_lo, s5
	s_and_saveexec_b32 s2, s3
	s_cbranch_execnz .LBB39_18
.LBB39_14:                              ;   in Loop: Header=BB39_4 Depth=1
	s_wait_alu 0xfffe
	s_or_b32 exec_lo, exec_lo, s2
	s_and_saveexec_b32 s2, s4
	s_cbranch_execz .LBB39_3
	s_branch .LBB39_19
.LBB39_15:                              ;   in Loop: Header=BB39_4 Depth=1
	v_add_co_u32 v3, s5, v13, s12
	s_wait_alu 0xf1ff
	v_add_co_ci_u32_e64 v4, null, s13, v14, s5
	global_load_b64 v[3:4], v[3:4], off
	s_wait_alu 0xfffe
	s_or_b32 exec_lo, exec_lo, s25
	s_and_saveexec_b32 s5, vcc_lo
	s_cbranch_execz .LBB39_12
.LBB39_16:                              ;   in Loop: Header=BB39_4 Depth=1
	s_wait_loadcnt 0x0
	v_mul_lo_u32 v33, v6, s10
	v_mul_lo_u32 v34, v5, s11
	v_mad_co_u64_u32 v[5:6], null, v5, s10, 0
	v_add_co_u32 v31, vcc_lo, v11, s12
	s_wait_alu 0xfffd
	v_add_co_ci_u32_e64 v32, null, s13, v12, vcc_lo
	s_delay_alu instid0(VALU_DEP_3)
	v_add3_u32 v6, v6, v34, v33
	global_store_b64 v[31:32], v[5:6], off
	s_wait_alu 0xfffe
	s_or_b32 exec_lo, exec_lo, s5
	s_and_saveexec_b32 s5, s2
	s_cbranch_execz .LBB39_13
.LBB39_17:                              ;   in Loop: Header=BB39_4 Depth=1
	s_wait_loadcnt 0x0
	v_mul_lo_u32 v5, v2, s10
	v_mul_lo_u32 v6, v1, s11
	v_mad_co_u64_u32 v[1:2], null, v1, s10, 0
	s_delay_alu instid0(VALU_DEP_1)
	v_add3_u32 v2, v2, v6, v5
	v_add_co_u32 v5, vcc_lo, v29, s12
	s_wait_alu 0xfffd
	v_add_co_ci_u32_e64 v6, null, s13, v30, vcc_lo
	global_store_b64 v[5:6], v[1:2], off
	s_wait_alu 0xfffe
	s_or_b32 exec_lo, exec_lo, s5
	s_and_saveexec_b32 s2, s3
	s_cbranch_execz .LBB39_14
.LBB39_18:                              ;   in Loop: Header=BB39_4 Depth=1
	s_wait_loadcnt 0x0
	v_mul_lo_u32 v5, v8, s10
	v_mul_lo_u32 v6, v7, s11
	v_mad_co_u64_u32 v[1:2], null, v7, s10, 0
	s_delay_alu instid0(VALU_DEP_1)
	v_add3_u32 v2, v2, v6, v5
	v_add_co_u32 v5, vcc_lo, v22, s12
	s_wait_alu 0xfffd
	v_add_co_ci_u32_e64 v6, null, s13, v23, vcc_lo
	global_store_b64 v[5:6], v[1:2], off
	s_wait_alu 0xfffe
	s_or_b32 exec_lo, exec_lo, s2
	s_and_saveexec_b32 s2, s4
	s_cbranch_execz .LBB39_3
.LBB39_19:                              ;   in Loop: Header=BB39_4 Depth=1
	s_wait_loadcnt 0x0
	v_mul_lo_u32 v4, v4, s10
	v_mul_lo_u32 v5, v3, s11
	v_mad_co_u64_u32 v[1:2], null, v3, s10, 0
	v_add_co_u32 v3, vcc_lo, v15, s12
	s_delay_alu instid0(VALU_DEP_2)
	v_add3_u32 v2, v2, v5, v4
	s_wait_alu 0xfffd
	v_add_co_ci_u32_e64 v4, null, s13, v16, vcc_lo
	global_store_b64 v[3:4], v[1:2], off
	s_branch .LBB39_3
.LBB39_20:
	s_mov_b32 s2, 0
.LBB39_21:
	s_wait_alu 0xfffe
	s_and_not1_b32 vcc_lo, exec_lo, s2
	s_wait_alu 0xfffe
	s_cbranch_vccnz .LBB39_25
; %bb.22:
	v_cmp_gt_i64_e64 s2, 0x10000, s[14:15]
	s_wait_loadcnt 0x0
	v_dual_mov_b32 v2, 0 :: v_dual_lshlrev_b32 v1, 2, v0
	s_mov_b32 s4, 0
	s_mov_b32 s5, exec_lo
	s_and_b32 s2, s2, exec_lo
	s_cselect_b32 s3, s15, 0
	s_cselect_b32 s2, s14, 0x10000
	s_wait_alu 0xfffe
	v_cmpx_gt_i64_e64 s[2:3], v[1:2]
	s_cbranch_execz .LBB39_25
; %bb.23:
	s_load_b32 s0, s[0:1], 0xc64
	v_lshlrev_b32_e32 v3, 5, v0
	v_mov_b32_e32 v1, v2
	s_delay_alu instid0(VALU_DEP_2) | instskip(NEXT) | instid1(VALU_DEP_1)
	v_add_co_u32 v2, s1, s12, v3
	v_add_co_ci_u32_e64 v3, null, s13, 0, s1
	s_wait_kmcnt 0x0
	s_and_b32 s1, s0, 0xffff
	s_wait_alu 0xfffe
	s_lshl_b32 s5, s1, 5
.LBB39_24:                              ; =>This Inner Loop Header: Depth=1
	v_add_co_u32 v8, vcc_lo, s6, v2
	s_wait_alu 0xfffd
	v_add_co_ci_u32_e64 v9, null, s7, v3, vcc_lo
	v_add_co_u32 v0, vcc_lo, v0, s1
	s_wait_alu 0xfffd
	v_add_co_ci_u32_e64 v1, null, 0, v1, vcc_lo
	s_clause 0x1
	global_load_b128 v[4:7], v[8:9], off
	global_load_b128 v[8:11], v[8:9], off offset:16
	v_add_co_u32 v12, vcc_lo, s8, v2
	v_lshlrev_b64_e32 v[14:15], 2, v[0:1]
	s_wait_alu 0xfffd
	v_add_co_ci_u32_e64 v13, null, s9, v3, vcc_lo
	s_wait_alu 0xfffe
	v_add_co_u32 v2, vcc_lo, v2, s5
	s_wait_alu 0xfffd
	v_add_co_ci_u32_e64 v3, null, 0, v3, vcc_lo
	v_cmp_le_i64_e64 s0, s[2:3], v[14:15]
	s_or_b32 s4, s0, s4
	s_wait_loadcnt 0x1
	v_mul_lo_u32 v16, v5, s10
	v_mul_lo_u32 v17, v4, s11
	v_mad_co_u64_u32 v[4:5], null, v4, s10, 0
	v_mul_lo_u32 v18, v7, s10
	v_mul_lo_u32 v19, v6, s11
	v_mad_co_u64_u32 v[6:7], null, v6, s10, 0
	s_wait_loadcnt 0x0
	v_mul_lo_u32 v20, v9, s10
	v_mul_lo_u32 v21, v8, s11
	v_mad_co_u64_u32 v[8:9], null, v8, s10, 0
	v_mul_lo_u32 v22, v11, s10
	v_mul_lo_u32 v23, v10, s11
	v_mad_co_u64_u32 v[10:11], null, v10, s10, 0
	v_add3_u32 v5, v5, v17, v16
	v_add3_u32 v7, v7, v19, v18
	;; [unrolled: 1-line block ×3, first 2 shown]
	s_delay_alu instid0(VALU_DEP_4)
	v_add3_u32 v11, v11, v23, v22
	s_clause 0x1
	global_store_b128 v[12:13], v[4:7], off
	global_store_b128 v[12:13], v[8:11], off offset:16
	s_wait_alu 0xfffe
	s_and_not1_b32 exec_lo, exec_lo, s4
	s_cbranch_execnz .LBB39_24
.LBB39_25:
	s_endpgm
	.section	.rodata,"a",@progbits
	.p2align	6, 0x0
	.amdhsa_kernel _ZN2at6native12_GLOBAL__N_125multi_tensor_apply_kernelINS1_18TensorListMetadataILi2EEENS1_21BinaryOpScalarFunctorIlLi2ELi1ELi1EEEJSt10multipliesIlElEEEvT_T0_DpT1_
		.amdhsa_group_segment_fixed_size 0
		.amdhsa_private_segment_fixed_size 0
		.amdhsa_kernarg_size 3416
		.amdhsa_user_sgpr_count 2
		.amdhsa_user_sgpr_dispatch_ptr 0
		.amdhsa_user_sgpr_queue_ptr 0
		.amdhsa_user_sgpr_kernarg_segment_ptr 1
		.amdhsa_user_sgpr_dispatch_id 0
		.amdhsa_user_sgpr_private_segment_size 0
		.amdhsa_wavefront_size32 1
		.amdhsa_uses_dynamic_stack 0
		.amdhsa_enable_private_segment 0
		.amdhsa_system_sgpr_workgroup_id_x 1
		.amdhsa_system_sgpr_workgroup_id_y 0
		.amdhsa_system_sgpr_workgroup_id_z 0
		.amdhsa_system_sgpr_workgroup_info 0
		.amdhsa_system_vgpr_workitem_id 0
		.amdhsa_next_free_vgpr 35
		.amdhsa_next_free_sgpr 26
		.amdhsa_reserve_vcc 1
		.amdhsa_float_round_mode_32 0
		.amdhsa_float_round_mode_16_64 0
		.amdhsa_float_denorm_mode_32 3
		.amdhsa_float_denorm_mode_16_64 3
		.amdhsa_fp16_overflow 0
		.amdhsa_workgroup_processor_mode 1
		.amdhsa_memory_ordered 1
		.amdhsa_forward_progress 1
		.amdhsa_inst_pref_size 16
		.amdhsa_round_robin_scheduling 0
		.amdhsa_exception_fp_ieee_invalid_op 0
		.amdhsa_exception_fp_denorm_src 0
		.amdhsa_exception_fp_ieee_div_zero 0
		.amdhsa_exception_fp_ieee_overflow 0
		.amdhsa_exception_fp_ieee_underflow 0
		.amdhsa_exception_fp_ieee_inexact 0
		.amdhsa_exception_int_div_zero 0
	.end_amdhsa_kernel
	.section	.text._ZN2at6native12_GLOBAL__N_125multi_tensor_apply_kernelINS1_18TensorListMetadataILi2EEENS1_21BinaryOpScalarFunctorIlLi2ELi1ELi1EEEJSt10multipliesIlElEEEvT_T0_DpT1_,"axG",@progbits,_ZN2at6native12_GLOBAL__N_125multi_tensor_apply_kernelINS1_18TensorListMetadataILi2EEENS1_21BinaryOpScalarFunctorIlLi2ELi1ELi1EEEJSt10multipliesIlElEEEvT_T0_DpT1_,comdat
.Lfunc_end39:
	.size	_ZN2at6native12_GLOBAL__N_125multi_tensor_apply_kernelINS1_18TensorListMetadataILi2EEENS1_21BinaryOpScalarFunctorIlLi2ELi1ELi1EEEJSt10multipliesIlElEEEvT_T0_DpT1_, .Lfunc_end39-_ZN2at6native12_GLOBAL__N_125multi_tensor_apply_kernelINS1_18TensorListMetadataILi2EEENS1_21BinaryOpScalarFunctorIlLi2ELi1ELi1EEEJSt10multipliesIlElEEEvT_T0_DpT1_
                                        ; -- End function
	.set _ZN2at6native12_GLOBAL__N_125multi_tensor_apply_kernelINS1_18TensorListMetadataILi2EEENS1_21BinaryOpScalarFunctorIlLi2ELi1ELi1EEEJSt10multipliesIlElEEEvT_T0_DpT1_.num_vgpr, 35
	.set _ZN2at6native12_GLOBAL__N_125multi_tensor_apply_kernelINS1_18TensorListMetadataILi2EEENS1_21BinaryOpScalarFunctorIlLi2ELi1ELi1EEEJSt10multipliesIlElEEEvT_T0_DpT1_.num_agpr, 0
	.set _ZN2at6native12_GLOBAL__N_125multi_tensor_apply_kernelINS1_18TensorListMetadataILi2EEENS1_21BinaryOpScalarFunctorIlLi2ELi1ELi1EEEJSt10multipliesIlElEEEvT_T0_DpT1_.numbered_sgpr, 26
	.set _ZN2at6native12_GLOBAL__N_125multi_tensor_apply_kernelINS1_18TensorListMetadataILi2EEENS1_21BinaryOpScalarFunctorIlLi2ELi1ELi1EEEJSt10multipliesIlElEEEvT_T0_DpT1_.num_named_barrier, 0
	.set _ZN2at6native12_GLOBAL__N_125multi_tensor_apply_kernelINS1_18TensorListMetadataILi2EEENS1_21BinaryOpScalarFunctorIlLi2ELi1ELi1EEEJSt10multipliesIlElEEEvT_T0_DpT1_.private_seg_size, 0
	.set _ZN2at6native12_GLOBAL__N_125multi_tensor_apply_kernelINS1_18TensorListMetadataILi2EEENS1_21BinaryOpScalarFunctorIlLi2ELi1ELi1EEEJSt10multipliesIlElEEEvT_T0_DpT1_.uses_vcc, 1
	.set _ZN2at6native12_GLOBAL__N_125multi_tensor_apply_kernelINS1_18TensorListMetadataILi2EEENS1_21BinaryOpScalarFunctorIlLi2ELi1ELi1EEEJSt10multipliesIlElEEEvT_T0_DpT1_.uses_flat_scratch, 0
	.set _ZN2at6native12_GLOBAL__N_125multi_tensor_apply_kernelINS1_18TensorListMetadataILi2EEENS1_21BinaryOpScalarFunctorIlLi2ELi1ELi1EEEJSt10multipliesIlElEEEvT_T0_DpT1_.has_dyn_sized_stack, 0
	.set _ZN2at6native12_GLOBAL__N_125multi_tensor_apply_kernelINS1_18TensorListMetadataILi2EEENS1_21BinaryOpScalarFunctorIlLi2ELi1ELi1EEEJSt10multipliesIlElEEEvT_T0_DpT1_.has_recursion, 0
	.set _ZN2at6native12_GLOBAL__N_125multi_tensor_apply_kernelINS1_18TensorListMetadataILi2EEENS1_21BinaryOpScalarFunctorIlLi2ELi1ELi1EEEJSt10multipliesIlElEEEvT_T0_DpT1_.has_indirect_call, 0
	.section	.AMDGPU.csdata,"",@progbits
; Kernel info:
; codeLenInByte = 1948
; TotalNumSgprs: 28
; NumVgprs: 35
; ScratchSize: 0
; MemoryBound: 0
; FloatMode: 240
; IeeeMode: 1
; LDSByteSize: 0 bytes/workgroup (compile time only)
; SGPRBlocks: 0
; VGPRBlocks: 4
; NumSGPRsForWavesPerEU: 28
; NumVGPRsForWavesPerEU: 35
; Occupancy: 16
; WaveLimiterHint : 0
; COMPUTE_PGM_RSRC2:SCRATCH_EN: 0
; COMPUTE_PGM_RSRC2:USER_SGPR: 2
; COMPUTE_PGM_RSRC2:TRAP_HANDLER: 0
; COMPUTE_PGM_RSRC2:TGID_X_EN: 1
; COMPUTE_PGM_RSRC2:TGID_Y_EN: 0
; COMPUTE_PGM_RSRC2:TGID_Z_EN: 0
; COMPUTE_PGM_RSRC2:TIDIG_COMP_CNT: 0
	.section	.text._ZN2at6native12_GLOBAL__N_125multi_tensor_apply_kernelINS1_18TensorListMetadataILi2EEENS1_21BinaryOpScalarFunctorIsLi2ELi1ELi1EEEJSt10multipliesIsEsEEEvT_T0_DpT1_,"axG",@progbits,_ZN2at6native12_GLOBAL__N_125multi_tensor_apply_kernelINS1_18TensorListMetadataILi2EEENS1_21BinaryOpScalarFunctorIsLi2ELi1ELi1EEEJSt10multipliesIsEsEEEvT_T0_DpT1_,comdat
	.globl	_ZN2at6native12_GLOBAL__N_125multi_tensor_apply_kernelINS1_18TensorListMetadataILi2EEENS1_21BinaryOpScalarFunctorIsLi2ELi1ELi1EEEJSt10multipliesIsEsEEEvT_T0_DpT1_ ; -- Begin function _ZN2at6native12_GLOBAL__N_125multi_tensor_apply_kernelINS1_18TensorListMetadataILi2EEENS1_21BinaryOpScalarFunctorIsLi2ELi1ELi1EEEJSt10multipliesIsEsEEEvT_T0_DpT1_
	.p2align	8
	.type	_ZN2at6native12_GLOBAL__N_125multi_tensor_apply_kernelINS1_18TensorListMetadataILi2EEENS1_21BinaryOpScalarFunctorIsLi2ELi1ELi1EEEJSt10multipliesIsEsEEEvT_T0_DpT1_,@function
_ZN2at6native12_GLOBAL__N_125multi_tensor_apply_kernelINS1_18TensorListMetadataILi2EEENS1_21BinaryOpScalarFunctorIsLi2ELi1ELi1EEEJSt10multipliesIsEsEEEvT_T0_DpT1_: ; @_ZN2at6native12_GLOBAL__N_125multi_tensor_apply_kernelINS1_18TensorListMetadataILi2EEENS1_21BinaryOpScalarFunctorIsLi2ELi1ELi1EEEJSt10multipliesIsEsEEEvT_T0_DpT1_
; %bb.0:
	s_load_u8 s8, s[0:1], ttmp9 offset:0x600
	s_mov_b32 s2, ttmp9
	s_mov_b32 s3, 0
	s_delay_alu instid0(SALU_CYCLE_1)
	s_mul_u64 s[4:5], s[2:3], 3
	s_add_nc_u64 s[6:7], s[0:1], s[2:3]
	s_mov_b32 s15, s3
	s_add_nc_u64 s[4:5], s[6:7], s[4:5]
	s_mov_b32 s17, s3
	s_load_b32 s4, s[4:5], 0x740
	s_wait_kmcnt 0x0
	s_lshl_b32 s2, s8, 3
	s_clause 0x3
	s_load_b32 s14, s[0:1], 0xc48
	s_load_b64 s[6:7], s[0:1], s2 offset:0x0
	s_load_b64 s[8:9], s[0:1], s2 offset:0x200
	;; [unrolled: 1-line block ×3, first 2 shown]
	s_ashr_i32 s5, s4, 31
	s_delay_alu instid0(SALU_CYCLE_1)
	s_lshl_b64 s[10:11], s[4:5], 17
	s_lshl_b64 s[4:5], s[4:5], 16
	s_wait_kmcnt 0x0
	s_lshr_b32 s22, s14, 16
	s_add_nc_u64 s[18:19], s[6:7], s[10:11]
	s_and_b32 s14, s8, 7
	s_and_b32 s16, s12, 3
	;; [unrolled: 1-line block ×3, first 2 shown]
	s_or_b64 s[14:15], s[14:15], s[16:17]
	s_sub_nc_u64 s[12:13], s[12:13], s[4:5]
	s_or_b64 s[2:3], s[14:15], s[2:3]
	s_delay_alu instid0(SALU_CYCLE_1)
	s_cmp_eq_u64 s[2:3], 0
	s_mov_b32 s2, -1
	s_cbranch_scc1 .LBB40_21
; %bb.1:
	v_cmp_lt_i64_e64 s2, s[12:13], 1
	s_and_b32 vcc_lo, exec_lo, s2
	s_cbranch_vccnz .LBB40_20
; %bb.2:
	s_load_b32 s2, s[0:1], 0xc5c
	v_cmp_gt_i64_e64 s3, 0x10000, s[12:13]
	v_dual_mov_b32 v10, 0 :: v_dual_lshlrev_b32 v9, 1, v0
	v_cmp_gt_u64_e64 s4, 0x10000, s[12:13]
	s_mov_b32 s19, 0
	s_mov_b64 s[20:21], 0
	s_and_b32 s3, s3, exec_lo
	v_add_co_u32 v1, s5, s6, v9
	s_cselect_b32 s15, s13, 0
	s_cselect_b32 s14, s12, 0x10000
	v_add_co_ci_u32_e64 v2, null, s7, 0, s5
	v_add_co_u32 v3, s5, s8, v9
	s_wait_alu 0xf1ff
	v_add_co_ci_u32_e64 v4, null, s9, 0, s5
	s_wait_kmcnt 0x0
	s_and_b32 s2, s2, 0xffff
	s_and_b32 s3, s4, exec_lo
	s_cselect_b32 s17, s13, 0
	s_cselect_b32 s16, s12, 0x10000
	s_mul_i32 s4, s2, 3
	s_lshl_b32 s18, s2, 2
	v_mad_co_u64_u32 v[7:8], null, s2, 6, v[9:10]
	v_add_co_u32 v14, s5, s18, v9
	s_wait_alu 0xfffe
	v_add_co_u32 v9, s4, s4, v0
	s_wait_alu 0xf1ff
	v_add_co_ci_u32_e64 v10, null, 0, 0, s4
	v_add_co_u32 v13, s4, v0, s2
	s_lshl_b32 s3, s2, 1
	v_add_co_u32 v5, vcc_lo, s6, v7
	v_lshlrev_b32_e32 v21, 1, v13
	v_add_co_ci_u32_e64 v15, null, 0, 0, s5
	v_add_co_ci_u32_e64 v6, null, s7, v8, vcc_lo
	v_add_co_u32 v7, vcc_lo, s8, v7
	s_wait_alu 0xfffe
	v_add_co_u32 v17, s3, s3, v0
	s_wait_alu 0xfffd
	v_add_co_ci_u32_e64 v8, null, s9, v8, vcc_lo
	v_add_co_u32 v11, vcc_lo, s6, v14
	s_wait_alu 0xf1ff
	v_add_co_ci_u32_e64 v18, null, 0, 0, s3
	v_add_co_u32 v19, s3, s6, v21
	s_wait_alu 0xfffd
	v_add_co_ci_u32_e64 v12, null, s7, v15, vcc_lo
	v_add_co_u32 v14, vcc_lo, s8, v14
	s_wait_alu 0xf1ff
	v_add_co_ci_u32_e64 v20, null, s7, 0, s3
	v_add_co_u32 v21, s3, s8, v21
	s_wait_alu 0xfffd
	v_add_co_ci_u32_e64 v15, null, s9, v15, vcc_lo
	v_add_co_ci_u32_e64 v16, null, 0, 0, s4
	s_wait_alu 0xf1ff
	v_add_co_ci_u32_e64 v22, null, s9, 0, s3
	s_lshl_b32 s23, s2, 3
	s_branch .LBB40_4
.LBB40_3:                               ;   in Loop: Header=BB40_4 Depth=1
	s_wait_alu 0xfffe
	s_or_b32 exec_lo, exec_lo, s2
	v_add_co_u32 v1, vcc_lo, v1, s23
	s_wait_alu 0xfffd
	v_add_co_ci_u32_e64 v2, null, 0, v2, vcc_lo
	v_add_co_u32 v3, vcc_lo, v3, s23
	s_wait_alu 0xfffd
	v_add_co_ci_u32_e64 v4, null, 0, v4, vcc_lo
	;; [unrolled: 3-line block ×5, first 2 shown]
	v_add_co_u32 v14, vcc_lo, v14, s23
	s_add_nc_u64 s[20:21], s[20:21], s[18:19]
	s_wait_alu 0xfffd
	v_add_co_ci_u32_e64 v15, null, 0, v15, vcc_lo
	v_add_co_u32 v19, vcc_lo, v19, s23
	s_wait_alu 0xfffe
	v_cmp_lt_i64_e64 s2, s[20:21], s[14:15]
	s_wait_alu 0xfffd
	v_add_co_ci_u32_e64 v20, null, 0, v20, vcc_lo
	v_add_co_u32 v21, vcc_lo, v21, s23
	s_wait_alu 0xfffd
	v_add_co_ci_u32_e64 v22, null, 0, v22, vcc_lo
	s_and_b32 vcc_lo, exec_lo, s2
	s_wait_alu 0xfffe
	s_cbranch_vccz .LBB40_20
.LBB40_4:                               ; =>This Inner Loop Header: Depth=1
	s_wait_loadcnt 0x0
	v_add_co_u32 v23, s2, v0, s20
	s_wait_alu 0xf1ff
	v_add_co_ci_u32_e64 v24, null, 0, s21, s2
	s_delay_alu instid0(VALU_DEP_1)
	v_cmp_gt_u64_e32 vcc_lo, s[16:17], v[23:24]
	v_mov_b32_e32 v24, 0
	s_and_saveexec_b32 s3, vcc_lo
	s_cbranch_execz .LBB40_6
; %bb.5:                                ;   in Loop: Header=BB40_4 Depth=1
	v_add_co_u32 v23, s2, v1, s10
	s_wait_alu 0xf1ff
	v_add_co_ci_u32_e64 v24, null, s11, v2, s2
	global_load_u16 v24, v[23:24], off
.LBB40_6:                               ;   in Loop: Header=BB40_4 Depth=1
	s_wait_alu 0xfffe
	s_or_b32 exec_lo, exec_lo, s3
	v_add_co_u32 v25, s2, v13, s20
	s_wait_alu 0xf1ff
	v_add_co_ci_u32_e64 v26, null, s21, v16, s2
	v_mov_b32_e32 v23, 0
	s_delay_alu instid0(VALU_DEP_2)
	v_cmp_gt_u64_e64 s2, s[16:17], v[25:26]
	v_mov_b32_e32 v25, 0
	s_and_saveexec_b32 s4, s2
	s_cbranch_execz .LBB40_8
; %bb.7:                                ;   in Loop: Header=BB40_4 Depth=1
	v_add_co_u32 v25, s3, v19, s10
	s_wait_alu 0xf1ff
	v_add_co_ci_u32_e64 v26, null, s11, v20, s3
	global_load_u16 v25, v[25:26], off
.LBB40_8:                               ;   in Loop: Header=BB40_4 Depth=1
	s_wait_alu 0xfffe
	s_or_b32 exec_lo, exec_lo, s4
	v_add_co_u32 v26, s3, v17, s20
	s_wait_alu 0xf1ff
	v_add_co_ci_u32_e64 v27, null, s21, v18, s3
	s_delay_alu instid0(VALU_DEP_1)
	v_cmp_gt_u64_e64 s3, s[16:17], v[26:27]
	s_and_saveexec_b32 s5, s3
	s_cbranch_execz .LBB40_10
; %bb.9:                                ;   in Loop: Header=BB40_4 Depth=1
	v_add_co_u32 v26, s4, v11, s10
	s_wait_alu 0xf1ff
	v_add_co_ci_u32_e64 v27, null, s11, v12, s4
	global_load_u16 v23, v[26:27], off
.LBB40_10:                              ;   in Loop: Header=BB40_4 Depth=1
	s_wait_alu 0xfffe
	s_or_b32 exec_lo, exec_lo, s5
	v_add_co_u32 v26, s4, v9, s20
	s_wait_alu 0xf1ff
	v_add_co_ci_u32_e64 v27, null, s21, v10, s4
	s_delay_alu instid0(VALU_DEP_1)
	v_cmp_gt_u64_e64 s4, s[16:17], v[26:27]
	v_mov_b32_e32 v26, 0
	s_and_saveexec_b32 s24, s4
	s_cbranch_execnz .LBB40_15
; %bb.11:                               ;   in Loop: Header=BB40_4 Depth=1
	s_or_b32 exec_lo, exec_lo, s24
	s_and_saveexec_b32 s5, vcc_lo
	s_cbranch_execnz .LBB40_16
.LBB40_12:                              ;   in Loop: Header=BB40_4 Depth=1
	s_wait_alu 0xfffe
	s_or_b32 exec_lo, exec_lo, s5
	s_and_saveexec_b32 s5, s2
	s_cbranch_execnz .LBB40_17
.LBB40_13:                              ;   in Loop: Header=BB40_4 Depth=1
	s_wait_alu 0xfffe
	s_or_b32 exec_lo, exec_lo, s5
	s_and_saveexec_b32 s2, s3
	s_cbranch_execnz .LBB40_18
.LBB40_14:                              ;   in Loop: Header=BB40_4 Depth=1
	s_wait_alu 0xfffe
	s_or_b32 exec_lo, exec_lo, s2
	s_and_saveexec_b32 s2, s4
	s_cbranch_execz .LBB40_3
	s_branch .LBB40_19
.LBB40_15:                              ;   in Loop: Header=BB40_4 Depth=1
	v_add_co_u32 v26, s5, v5, s10
	s_wait_alu 0xf1ff
	v_add_co_ci_u32_e64 v27, null, s11, v6, s5
	global_load_u16 v26, v[26:27], off
	s_or_b32 exec_lo, exec_lo, s24
	s_and_saveexec_b32 s5, vcc_lo
	s_cbranch_execz .LBB40_12
.LBB40_16:                              ;   in Loop: Header=BB40_4 Depth=1
	v_add_co_u32 v27, vcc_lo, v3, s10
	s_wait_loadcnt 0x0
	v_mul_lo_u16 v24, v24, s22
	s_wait_alu 0xfffd
	v_add_co_ci_u32_e64 v28, null, s11, v4, vcc_lo
	global_store_b16 v[27:28], v24, off
	s_wait_alu 0xfffe
	s_or_b32 exec_lo, exec_lo, s5
	s_and_saveexec_b32 s5, s2
	s_cbranch_execz .LBB40_13
.LBB40_17:                              ;   in Loop: Header=BB40_4 Depth=1
	s_wait_loadcnt 0x0
	v_add_co_u32 v24, vcc_lo, v21, s10
	v_mul_lo_u16 v27, v25, s22
	s_wait_alu 0xfffd
	v_add_co_ci_u32_e64 v25, null, s11, v22, vcc_lo
	global_store_b16 v[24:25], v27, off
	s_wait_alu 0xfffe
	s_or_b32 exec_lo, exec_lo, s5
	s_and_saveexec_b32 s2, s3
	s_cbranch_execz .LBB40_14
.LBB40_18:                              ;   in Loop: Header=BB40_4 Depth=1
	s_wait_loadcnt 0x0
	v_mul_lo_u16 v25, v23, s22
	v_add_co_u32 v23, vcc_lo, v14, s10
	s_wait_alu 0xfffd
	v_add_co_ci_u32_e64 v24, null, s11, v15, vcc_lo
	global_store_b16 v[23:24], v25, off
	s_wait_alu 0xfffe
	s_or_b32 exec_lo, exec_lo, s2
	s_and_saveexec_b32 s2, s4
	s_cbranch_execz .LBB40_3
.LBB40_19:                              ;   in Loop: Header=BB40_4 Depth=1
	s_wait_loadcnt 0x0
	v_add_co_u32 v23, vcc_lo, v7, s10
	v_mul_lo_u16 v25, v26, s22
	s_wait_alu 0xfffd
	v_add_co_ci_u32_e64 v24, null, s11, v8, vcc_lo
	global_store_b16 v[23:24], v25, off
	s_branch .LBB40_3
.LBB40_20:
	s_mov_b32 s2, 0
.LBB40_21:
	s_wait_alu 0xfffe
	s_and_not1_b32 vcc_lo, exec_lo, s2
	s_wait_alu 0xfffe
	s_cbranch_vccnz .LBB40_25
; %bb.22:
	v_cmp_gt_i64_e64 s2, 0x10000, s[12:13]
	v_dual_mov_b32 v2, 0 :: v_dual_lshlrev_b32 v1, 2, v0
	s_mov_b32 s4, 0
	s_mov_b32 s5, exec_lo
	s_and_b32 s2, s2, exec_lo
	s_cselect_b32 s3, s13, 0
	s_cselect_b32 s2, s12, 0x10000
	s_wait_alu 0xfffe
	v_cmpx_gt_i64_e64 s[2:3], v[1:2]
	s_cbranch_execz .LBB40_25
; %bb.23:
	s_load_b32 s0, s[0:1], 0xc5c
	v_lshlrev_b32_e32 v3, 3, v0
	v_mov_b32_e32 v1, v2
	s_delay_alu instid0(VALU_DEP_2) | instskip(NEXT) | instid1(VALU_DEP_1)
	v_add_co_u32 v2, s1, s10, v3
	v_add_co_ci_u32_e64 v3, null, s11, 0, s1
	s_wait_kmcnt 0x0
	s_and_b32 s1, s0, 0xffff
	s_wait_alu 0xfffe
	s_lshl_b32 s5, s1, 3
.LBB40_24:                              ; =>This Inner Loop Header: Depth=1
	v_add_co_u32 v4, vcc_lo, s6, v2
	s_wait_alu 0xfffd
	v_add_co_ci_u32_e64 v5, null, s7, v3, vcc_lo
	v_add_co_u32 v0, vcc_lo, v0, s1
	s_wait_alu 0xfffd
	v_add_co_ci_u32_e64 v1, null, 0, v1, vcc_lo
	global_load_b64 v[4:5], v[4:5], off
	v_add_co_u32 v6, vcc_lo, s8, v2
	v_lshlrev_b64_e32 v[8:9], 2, v[0:1]
	s_wait_alu 0xfffd
	v_add_co_ci_u32_e64 v7, null, s9, v3, vcc_lo
	s_wait_alu 0xfffe
	v_add_co_u32 v2, vcc_lo, v2, s5
	s_wait_alu 0xfffd
	v_add_co_ci_u32_e64 v3, null, 0, v3, vcc_lo
	v_cmp_le_i64_e64 s0, s[2:3], v[8:9]
	s_or_b32 s4, s0, s4
	s_wait_loadcnt 0x0
	v_lshrrev_b32_e32 v10, 16, v5
	v_lshrrev_b32_e32 v11, 16, v4
	v_mul_lo_u16 v4, s22, v4
	v_mul_lo_u16 v5, s22, v5
	s_delay_alu instid0(VALU_DEP_4) | instskip(NEXT) | instid1(VALU_DEP_4)
	v_mul_lo_u16 v10, s22, v10
	v_mul_lo_u16 v11, s22, v11
	s_delay_alu instid0(VALU_DEP_2) | instskip(NEXT) | instid1(VALU_DEP_2)
	v_perm_b32 v5, v10, v5, 0x5040100
	v_perm_b32 v4, v11, v4, 0x5040100
	global_store_b64 v[6:7], v[4:5], off
	s_wait_alu 0xfffe
	s_and_not1_b32 exec_lo, exec_lo, s4
	s_cbranch_execnz .LBB40_24
.LBB40_25:
	s_endpgm
	.section	.rodata,"a",@progbits
	.p2align	6, 0x0
	.amdhsa_kernel _ZN2at6native12_GLOBAL__N_125multi_tensor_apply_kernelINS1_18TensorListMetadataILi2EEENS1_21BinaryOpScalarFunctorIsLi2ELi1ELi1EEEJSt10multipliesIsEsEEEvT_T0_DpT1_
		.amdhsa_group_segment_fixed_size 0
		.amdhsa_private_segment_fixed_size 0
		.amdhsa_kernarg_size 3408
		.amdhsa_user_sgpr_count 2
		.amdhsa_user_sgpr_dispatch_ptr 0
		.amdhsa_user_sgpr_queue_ptr 0
		.amdhsa_user_sgpr_kernarg_segment_ptr 1
		.amdhsa_user_sgpr_dispatch_id 0
		.amdhsa_user_sgpr_private_segment_size 0
		.amdhsa_wavefront_size32 1
		.amdhsa_uses_dynamic_stack 0
		.amdhsa_enable_private_segment 0
		.amdhsa_system_sgpr_workgroup_id_x 1
		.amdhsa_system_sgpr_workgroup_id_y 0
		.amdhsa_system_sgpr_workgroup_id_z 0
		.amdhsa_system_sgpr_workgroup_info 0
		.amdhsa_system_vgpr_workitem_id 0
		.amdhsa_next_free_vgpr 29
		.amdhsa_next_free_sgpr 25
		.amdhsa_reserve_vcc 1
		.amdhsa_float_round_mode_32 0
		.amdhsa_float_round_mode_16_64 0
		.amdhsa_float_denorm_mode_32 3
		.amdhsa_float_denorm_mode_16_64 3
		.amdhsa_fp16_overflow 0
		.amdhsa_workgroup_processor_mode 1
		.amdhsa_memory_ordered 1
		.amdhsa_forward_progress 1
		.amdhsa_inst_pref_size 14
		.amdhsa_round_robin_scheduling 0
		.amdhsa_exception_fp_ieee_invalid_op 0
		.amdhsa_exception_fp_denorm_src 0
		.amdhsa_exception_fp_ieee_div_zero 0
		.amdhsa_exception_fp_ieee_overflow 0
		.amdhsa_exception_fp_ieee_underflow 0
		.amdhsa_exception_fp_ieee_inexact 0
		.amdhsa_exception_int_div_zero 0
	.end_amdhsa_kernel
	.section	.text._ZN2at6native12_GLOBAL__N_125multi_tensor_apply_kernelINS1_18TensorListMetadataILi2EEENS1_21BinaryOpScalarFunctorIsLi2ELi1ELi1EEEJSt10multipliesIsEsEEEvT_T0_DpT1_,"axG",@progbits,_ZN2at6native12_GLOBAL__N_125multi_tensor_apply_kernelINS1_18TensorListMetadataILi2EEENS1_21BinaryOpScalarFunctorIsLi2ELi1ELi1EEEJSt10multipliesIsEsEEEvT_T0_DpT1_,comdat
.Lfunc_end40:
	.size	_ZN2at6native12_GLOBAL__N_125multi_tensor_apply_kernelINS1_18TensorListMetadataILi2EEENS1_21BinaryOpScalarFunctorIsLi2ELi1ELi1EEEJSt10multipliesIsEsEEEvT_T0_DpT1_, .Lfunc_end40-_ZN2at6native12_GLOBAL__N_125multi_tensor_apply_kernelINS1_18TensorListMetadataILi2EEENS1_21BinaryOpScalarFunctorIsLi2ELi1ELi1EEEJSt10multipliesIsEsEEEvT_T0_DpT1_
                                        ; -- End function
	.set _ZN2at6native12_GLOBAL__N_125multi_tensor_apply_kernelINS1_18TensorListMetadataILi2EEENS1_21BinaryOpScalarFunctorIsLi2ELi1ELi1EEEJSt10multipliesIsEsEEEvT_T0_DpT1_.num_vgpr, 29
	.set _ZN2at6native12_GLOBAL__N_125multi_tensor_apply_kernelINS1_18TensorListMetadataILi2EEENS1_21BinaryOpScalarFunctorIsLi2ELi1ELi1EEEJSt10multipliesIsEsEEEvT_T0_DpT1_.num_agpr, 0
	.set _ZN2at6native12_GLOBAL__N_125multi_tensor_apply_kernelINS1_18TensorListMetadataILi2EEENS1_21BinaryOpScalarFunctorIsLi2ELi1ELi1EEEJSt10multipliesIsEsEEEvT_T0_DpT1_.numbered_sgpr, 25
	.set _ZN2at6native12_GLOBAL__N_125multi_tensor_apply_kernelINS1_18TensorListMetadataILi2EEENS1_21BinaryOpScalarFunctorIsLi2ELi1ELi1EEEJSt10multipliesIsEsEEEvT_T0_DpT1_.num_named_barrier, 0
	.set _ZN2at6native12_GLOBAL__N_125multi_tensor_apply_kernelINS1_18TensorListMetadataILi2EEENS1_21BinaryOpScalarFunctorIsLi2ELi1ELi1EEEJSt10multipliesIsEsEEEvT_T0_DpT1_.private_seg_size, 0
	.set _ZN2at6native12_GLOBAL__N_125multi_tensor_apply_kernelINS1_18TensorListMetadataILi2EEENS1_21BinaryOpScalarFunctorIsLi2ELi1ELi1EEEJSt10multipliesIsEsEEEvT_T0_DpT1_.uses_vcc, 1
	.set _ZN2at6native12_GLOBAL__N_125multi_tensor_apply_kernelINS1_18TensorListMetadataILi2EEENS1_21BinaryOpScalarFunctorIsLi2ELi1ELi1EEEJSt10multipliesIsEsEEEvT_T0_DpT1_.uses_flat_scratch, 0
	.set _ZN2at6native12_GLOBAL__N_125multi_tensor_apply_kernelINS1_18TensorListMetadataILi2EEENS1_21BinaryOpScalarFunctorIsLi2ELi1ELi1EEEJSt10multipliesIsEsEEEvT_T0_DpT1_.has_dyn_sized_stack, 0
	.set _ZN2at6native12_GLOBAL__N_125multi_tensor_apply_kernelINS1_18TensorListMetadataILi2EEENS1_21BinaryOpScalarFunctorIsLi2ELi1ELi1EEEJSt10multipliesIsEsEEEvT_T0_DpT1_.has_recursion, 0
	.set _ZN2at6native12_GLOBAL__N_125multi_tensor_apply_kernelINS1_18TensorListMetadataILi2EEENS1_21BinaryOpScalarFunctorIsLi2ELi1ELi1EEEJSt10multipliesIsEsEEEvT_T0_DpT1_.has_indirect_call, 0
	.section	.AMDGPU.csdata,"",@progbits
; Kernel info:
; codeLenInByte = 1712
; TotalNumSgprs: 27
; NumVgprs: 29
; ScratchSize: 0
; MemoryBound: 0
; FloatMode: 240
; IeeeMode: 1
; LDSByteSize: 0 bytes/workgroup (compile time only)
; SGPRBlocks: 0
; VGPRBlocks: 3
; NumSGPRsForWavesPerEU: 27
; NumVGPRsForWavesPerEU: 29
; Occupancy: 16
; WaveLimiterHint : 0
; COMPUTE_PGM_RSRC2:SCRATCH_EN: 0
; COMPUTE_PGM_RSRC2:USER_SGPR: 2
; COMPUTE_PGM_RSRC2:TRAP_HANDLER: 0
; COMPUTE_PGM_RSRC2:TGID_X_EN: 1
; COMPUTE_PGM_RSRC2:TGID_Y_EN: 0
; COMPUTE_PGM_RSRC2:TGID_Z_EN: 0
; COMPUTE_PGM_RSRC2:TIDIG_COMP_CNT: 0
	.section	.text._ZN2at6native12_GLOBAL__N_125multi_tensor_apply_kernelINS1_18TensorListMetadataILi2EEENS1_21BinaryOpScalarFunctorIdLi2ELi1ELi1EEEJSt10multipliesIdEdEEEvT_T0_DpT1_,"axG",@progbits,_ZN2at6native12_GLOBAL__N_125multi_tensor_apply_kernelINS1_18TensorListMetadataILi2EEENS1_21BinaryOpScalarFunctorIdLi2ELi1ELi1EEEJSt10multipliesIdEdEEEvT_T0_DpT1_,comdat
	.globl	_ZN2at6native12_GLOBAL__N_125multi_tensor_apply_kernelINS1_18TensorListMetadataILi2EEENS1_21BinaryOpScalarFunctorIdLi2ELi1ELi1EEEJSt10multipliesIdEdEEEvT_T0_DpT1_ ; -- Begin function _ZN2at6native12_GLOBAL__N_125multi_tensor_apply_kernelINS1_18TensorListMetadataILi2EEENS1_21BinaryOpScalarFunctorIdLi2ELi1ELi1EEEJSt10multipliesIdEdEEEvT_T0_DpT1_
	.p2align	8
	.type	_ZN2at6native12_GLOBAL__N_125multi_tensor_apply_kernelINS1_18TensorListMetadataILi2EEENS1_21BinaryOpScalarFunctorIdLi2ELi1ELi1EEEJSt10multipliesIdEdEEEvT_T0_DpT1_,@function
_ZN2at6native12_GLOBAL__N_125multi_tensor_apply_kernelINS1_18TensorListMetadataILi2EEENS1_21BinaryOpScalarFunctorIdLi2ELi1ELi1EEEJSt10multipliesIdEdEEEvT_T0_DpT1_: ; @_ZN2at6native12_GLOBAL__N_125multi_tensor_apply_kernelINS1_18TensorListMetadataILi2EEENS1_21BinaryOpScalarFunctorIdLi2ELi1ELi1EEEJSt10multipliesIdEdEEEvT_T0_DpT1_
; %bb.0:
	s_load_u8 s8, s[0:1], ttmp9 offset:0x600
	s_mov_b32 s2, ttmp9
	s_mov_b32 s3, 0
	s_delay_alu instid0(SALU_CYCLE_1)
	s_mul_u64 s[4:5], s[2:3], 3
	s_add_nc_u64 s[6:7], s[0:1], s[2:3]
	s_mov_b32 s17, s3
	s_add_nc_u64 s[4:5], s[6:7], s[4:5]
	s_mov_b32 s19, s3
	s_load_b32 s4, s[4:5], 0x740
	s_wait_kmcnt 0x0
	s_lshl_b32 s2, s8, 3
	s_clause 0x3
	s_load_b64 s[6:7], s[0:1], s2 offset:0x0
	s_load_b64 s[8:9], s[0:1], s2 offset:0x200
	;; [unrolled: 1-line block ×3, first 2 shown]
	s_load_b64 s[10:11], s[0:1], 0xc50
	s_ashr_i32 s5, s4, 31
	s_delay_alu instid0(SALU_CYCLE_1)
	s_lshl_b64 s[12:13], s[4:5], 19
	s_lshl_b64 s[4:5], s[4:5], 16
	s_wait_kmcnt 0x0
	s_add_nc_u64 s[20:21], s[6:7], s[12:13]
	s_and_b32 s16, s8, 31
	s_and_b32 s18, s14, 3
	;; [unrolled: 1-line block ×3, first 2 shown]
	s_or_b64 s[16:17], s[16:17], s[18:19]
	s_sub_nc_u64 s[14:15], s[14:15], s[4:5]
	s_or_b64 s[2:3], s[16:17], s[2:3]
	s_delay_alu instid0(SALU_CYCLE_1)
	s_cmp_eq_u64 s[2:3], 0
	s_mov_b32 s2, -1
	s_cbranch_scc1 .LBB41_21
; %bb.1:
	v_cmp_lt_i64_e64 s2, s[14:15], 1
	s_and_b32 vcc_lo, exec_lo, s2
	s_cbranch_vccnz .LBB41_20
; %bb.2:
	s_load_b32 s2, s[0:1], 0xc64
	v_cmp_gt_i64_e64 s3, 0x10000, s[14:15]
	v_dual_mov_b32 v2, 0 :: v_dual_lshlrev_b32 v1, 3, v0
	v_cmp_gt_u64_e64 s4, 0x10000, s[14:15]
	s_mov_b32 s17, 0
	s_mov_b64 s[22:23], 0
	s_and_b32 s3, s3, exec_lo
	s_cselect_b32 s19, s15, 0
	s_cselect_b32 s18, s14, 0x10000
	v_add_co_u32 v11, s3, s8, v1
	v_add_co_u32 v9, s5, s6, v1
	v_add_co_ci_u32_e64 v12, null, s9, 0, s3
	v_add_co_ci_u32_e64 v10, null, s7, 0, s5
	s_wait_kmcnt 0x0
	s_and_b32 s2, s2, 0xffff
	s_and_b32 s3, s4, exec_lo
	s_wait_alu 0xfffe
	v_mad_co_u64_u32 v[2:3], null, s2, 24, v[1:2]
	s_cselect_b32 s21, s15, 0
	s_cselect_b32 s20, s14, 0x10000
	s_mul_i32 s4, s2, 3
	s_lshl_b32 s5, s2, 4
	s_wait_alu 0xfffe
	v_add_co_u32 v17, s4, s4, v0
	v_add_co_u32 v13, vcc_lo, s6, v2
	v_add_co_u32 v1, s5, s5, v1
	v_add_co_ci_u32_e64 v14, null, s7, v3, vcc_lo
	v_add_co_u32 v15, vcc_lo, s8, v2
	s_wait_alu 0xf1ff
	v_add_co_ci_u32_e64 v2, null, 0, 0, s5
	v_add_co_ci_u32_e64 v18, null, 0, 0, s4
	v_add_co_u32 v21, s4, v0, s2
	s_wait_alu 0xfffd
	v_add_co_ci_u32_e64 v16, null, s9, v3, vcc_lo
	v_add_co_u32 v19, vcc_lo, s6, v1
	s_wait_alu 0xfffd
	v_add_co_ci_u32_e64 v20, null, s7, v2, vcc_lo
	v_add_co_u32 v22, vcc_lo, s8, v1
	v_lshlrev_b32_e32 v1, 3, v21
	s_lshl_b32 s3, s2, 1
	s_wait_alu 0xfffd
	v_add_co_ci_u32_e64 v23, null, s9, v2, vcc_lo
	s_wait_alu 0xfffe
	v_add_co_u32 v25, s3, s3, v0
	s_wait_alu 0xf1ff
	v_add_co_ci_u32_e64 v26, null, 0, 0, s3
	v_add_co_u32 v27, s3, s6, v1
	s_wait_alu 0xf1ff
	v_add_co_ci_u32_e64 v28, null, s7, 0, s3
	v_add_co_u32 v29, s3, s8, v1
	v_add_co_ci_u32_e64 v24, null, 0, 0, s4
	s_wait_alu 0xf1ff
	v_add_co_ci_u32_e64 v30, null, s9, 0, s3
	s_lshl_b32 s16, s2, 2
	s_lshl_b32 s24, s2, 5
	s_branch .LBB41_4
.LBB41_3:                               ;   in Loop: Header=BB41_4 Depth=1
	s_wait_alu 0xfffe
	s_or_b32 exec_lo, exec_lo, s2
	v_add_co_u32 v9, vcc_lo, v9, s24
	s_wait_alu 0xfffd
	v_add_co_ci_u32_e64 v10, null, 0, v10, vcc_lo
	v_add_co_u32 v11, vcc_lo, v11, s24
	s_wait_alu 0xfffd
	v_add_co_ci_u32_e64 v12, null, 0, v12, vcc_lo
	;; [unrolled: 3-line block ×5, first 2 shown]
	v_add_co_u32 v22, vcc_lo, v22, s24
	s_add_nc_u64 s[22:23], s[22:23], s[16:17]
	s_wait_alu 0xfffd
	v_add_co_ci_u32_e64 v23, null, 0, v23, vcc_lo
	v_add_co_u32 v27, vcc_lo, v27, s24
	s_wait_alu 0xfffe
	v_cmp_lt_i64_e64 s2, s[22:23], s[18:19]
	s_wait_alu 0xfffd
	v_add_co_ci_u32_e64 v28, null, 0, v28, vcc_lo
	v_add_co_u32 v29, vcc_lo, v29, s24
	s_wait_alu 0xfffd
	v_add_co_ci_u32_e64 v30, null, 0, v30, vcc_lo
	s_and_b32 vcc_lo, exec_lo, s2
	s_wait_alu 0xfffe
	s_cbranch_vccz .LBB41_20
.LBB41_4:                               ; =>This Inner Loop Header: Depth=1
	s_wait_loadcnt 0x0
	v_add_co_u32 v3, s2, v0, s22
	s_wait_alu 0xf1ff
	v_add_co_ci_u32_e64 v4, null, 0, s23, s2
	v_mov_b32_e32 v1, 0
	v_mov_b32_e32 v2, 0
	s_delay_alu instid0(VALU_DEP_3)
	v_cmp_gt_u64_e32 vcc_lo, s[20:21], v[3:4]
	v_mov_b32_e32 v3, 0
	v_mov_b32_e32 v4, 0
	s_and_saveexec_b32 s3, vcc_lo
	s_cbranch_execz .LBB41_6
; %bb.5:                                ;   in Loop: Header=BB41_4 Depth=1
	v_add_co_u32 v3, s2, v9, s12
	s_wait_alu 0xf1ff
	v_add_co_ci_u32_e64 v4, null, s13, v10, s2
	global_load_b64 v[3:4], v[3:4], off
.LBB41_6:                               ;   in Loop: Header=BB41_4 Depth=1
	s_wait_alu 0xfffe
	s_or_b32 exec_lo, exec_lo, s3
	v_add_co_u32 v5, s2, v21, s22
	s_wait_alu 0xf1ff
	v_add_co_ci_u32_e64 v6, null, s23, v24, s2
	s_delay_alu instid0(VALU_DEP_1)
	v_cmp_gt_u64_e64 s2, s[20:21], v[5:6]
	s_and_saveexec_b32 s4, s2
	s_cbranch_execz .LBB41_8
; %bb.7:                                ;   in Loop: Header=BB41_4 Depth=1
	v_add_co_u32 v1, s3, v27, s12
	s_wait_alu 0xf1ff
	v_add_co_ci_u32_e64 v2, null, s13, v28, s3
	global_load_b64 v[1:2], v[1:2], off
.LBB41_8:                               ;   in Loop: Header=BB41_4 Depth=1
	s_wait_alu 0xfffe
	s_or_b32 exec_lo, exec_lo, s4
	v_add_co_u32 v7, s3, v25, s22
	s_wait_alu 0xf1ff
	v_add_co_ci_u32_e64 v8, null, s23, v26, s3
	v_mov_b32_e32 v5, 0
	v_mov_b32_e32 v6, 0
	s_delay_alu instid0(VALU_DEP_3)
	v_cmp_gt_u64_e64 s3, s[20:21], v[7:8]
	v_mov_b32_e32 v7, 0
	v_mov_b32_e32 v8, 0
	s_and_saveexec_b32 s5, s3
	s_cbranch_execz .LBB41_10
; %bb.9:                                ;   in Loop: Header=BB41_4 Depth=1
	v_add_co_u32 v7, s4, v19, s12
	s_wait_alu 0xf1ff
	v_add_co_ci_u32_e64 v8, null, s13, v20, s4
	global_load_b64 v[7:8], v[7:8], off
.LBB41_10:                              ;   in Loop: Header=BB41_4 Depth=1
	s_wait_alu 0xfffe
	s_or_b32 exec_lo, exec_lo, s5
	v_add_co_u32 v31, s4, v17, s22
	s_wait_alu 0xf1ff
	v_add_co_ci_u32_e64 v32, null, s23, v18, s4
	s_delay_alu instid0(VALU_DEP_1)
	v_cmp_gt_u64_e64 s4, s[20:21], v[31:32]
	s_and_saveexec_b32 s25, s4
	s_cbranch_execnz .LBB41_15
; %bb.11:                               ;   in Loop: Header=BB41_4 Depth=1
	s_wait_alu 0xfffe
	s_or_b32 exec_lo, exec_lo, s25
	s_and_saveexec_b32 s5, vcc_lo
	s_cbranch_execnz .LBB41_16
.LBB41_12:                              ;   in Loop: Header=BB41_4 Depth=1
	s_wait_alu 0xfffe
	s_or_b32 exec_lo, exec_lo, s5
	s_and_saveexec_b32 s5, s2
	s_cbranch_execnz .LBB41_17
.LBB41_13:                              ;   in Loop: Header=BB41_4 Depth=1
	s_wait_alu 0xfffe
	s_or_b32 exec_lo, exec_lo, s5
	s_and_saveexec_b32 s2, s3
	s_cbranch_execnz .LBB41_18
.LBB41_14:                              ;   in Loop: Header=BB41_4 Depth=1
	s_wait_alu 0xfffe
	s_or_b32 exec_lo, exec_lo, s2
	s_and_saveexec_b32 s2, s4
	s_cbranch_execz .LBB41_3
	s_branch .LBB41_19
.LBB41_15:                              ;   in Loop: Header=BB41_4 Depth=1
	v_add_co_u32 v5, s5, v13, s12
	s_wait_alu 0xf1ff
	v_add_co_ci_u32_e64 v6, null, s13, v14, s5
	global_load_b64 v[5:6], v[5:6], off
	s_wait_alu 0xfffe
	s_or_b32 exec_lo, exec_lo, s25
	s_and_saveexec_b32 s5, vcc_lo
	s_cbranch_execz .LBB41_12
.LBB41_16:                              ;   in Loop: Header=BB41_4 Depth=1
	s_wait_loadcnt 0x0
	v_mul_f64_e32 v[3:4], s[10:11], v[3:4]
	v_add_co_u32 v31, vcc_lo, v11, s12
	s_wait_alu 0xfffd
	v_add_co_ci_u32_e64 v32, null, s13, v12, vcc_lo
	global_store_b64 v[31:32], v[3:4], off
	s_wait_alu 0xfffe
	s_or_b32 exec_lo, exec_lo, s5
	s_and_saveexec_b32 s5, s2
	s_cbranch_execz .LBB41_13
.LBB41_17:                              ;   in Loop: Header=BB41_4 Depth=1
	s_wait_loadcnt 0x0
	v_mul_f64_e32 v[1:2], s[10:11], v[1:2]
	v_add_co_u32 v3, vcc_lo, v29, s12
	s_wait_alu 0xfffd
	v_add_co_ci_u32_e64 v4, null, s13, v30, vcc_lo
	global_store_b64 v[3:4], v[1:2], off
	s_wait_alu 0xfffe
	s_or_b32 exec_lo, exec_lo, s5
	s_and_saveexec_b32 s2, s3
	s_cbranch_execz .LBB41_14
.LBB41_18:                              ;   in Loop: Header=BB41_4 Depth=1
	s_wait_loadcnt 0x0
	v_mul_f64_e32 v[1:2], s[10:11], v[7:8]
	v_add_co_u32 v3, vcc_lo, v22, s12
	s_wait_alu 0xfffd
	v_add_co_ci_u32_e64 v4, null, s13, v23, vcc_lo
	global_store_b64 v[3:4], v[1:2], off
	s_wait_alu 0xfffe
	s_or_b32 exec_lo, exec_lo, s2
	s_and_saveexec_b32 s2, s4
	s_cbranch_execz .LBB41_3
.LBB41_19:                              ;   in Loop: Header=BB41_4 Depth=1
	s_wait_loadcnt 0x0
	v_mul_f64_e32 v[1:2], s[10:11], v[5:6]
	v_add_co_u32 v3, vcc_lo, v15, s12
	s_wait_alu 0xfffd
	v_add_co_ci_u32_e64 v4, null, s13, v16, vcc_lo
	global_store_b64 v[3:4], v[1:2], off
	s_branch .LBB41_3
.LBB41_20:
	s_mov_b32 s2, 0
.LBB41_21:
	s_wait_alu 0xfffe
	s_and_not1_b32 vcc_lo, exec_lo, s2
	s_wait_alu 0xfffe
	s_cbranch_vccnz .LBB41_25
; %bb.22:
	v_cmp_gt_i64_e64 s2, 0x10000, s[14:15]
	s_wait_loadcnt 0x0
	v_dual_mov_b32 v2, 0 :: v_dual_lshlrev_b32 v1, 2, v0
	s_mov_b32 s4, 0
	s_mov_b32 s5, exec_lo
	s_and_b32 s2, s2, exec_lo
	s_cselect_b32 s3, s15, 0
	s_cselect_b32 s2, s14, 0x10000
	s_wait_alu 0xfffe
	v_cmpx_gt_i64_e64 s[2:3], v[1:2]
	s_cbranch_execz .LBB41_25
; %bb.23:
	s_load_b32 s0, s[0:1], 0xc64
	v_lshlrev_b32_e32 v3, 5, v0
	v_mov_b32_e32 v1, v2
	s_delay_alu instid0(VALU_DEP_2) | instskip(NEXT) | instid1(VALU_DEP_1)
	v_add_co_u32 v2, s1, s12, v3
	v_add_co_ci_u32_e64 v3, null, s13, 0, s1
	s_wait_kmcnt 0x0
	s_and_b32 s1, s0, 0xffff
	s_wait_alu 0xfffe
	s_lshl_b32 s5, s1, 5
.LBB41_24:                              ; =>This Inner Loop Header: Depth=1
	v_add_co_u32 v8, vcc_lo, s6, v2
	s_wait_alu 0xfffd
	v_add_co_ci_u32_e64 v9, null, s7, v3, vcc_lo
	v_add_co_u32 v0, vcc_lo, v0, s1
	s_wait_alu 0xfffd
	v_add_co_ci_u32_e64 v1, null, 0, v1, vcc_lo
	s_clause 0x1
	global_load_b128 v[4:7], v[8:9], off
	global_load_b128 v[8:11], v[8:9], off offset:16
	v_add_co_u32 v14, vcc_lo, s8, v2
	v_lshlrev_b64_e32 v[12:13], 2, v[0:1]
	s_wait_alu 0xfffd
	v_add_co_ci_u32_e64 v15, null, s9, v3, vcc_lo
	s_wait_alu 0xfffe
	v_add_co_u32 v2, s0, v2, s5
	s_wait_alu 0xf1ff
	v_add_co_ci_u32_e64 v3, null, 0, v3, s0
	v_cmp_le_i64_e32 vcc_lo, s[2:3], v[12:13]
	s_or_b32 s4, vcc_lo, s4
	s_wait_loadcnt 0x1
	v_mul_f64_e32 v[4:5], s[10:11], v[4:5]
	v_mul_f64_e32 v[6:7], s[10:11], v[6:7]
	s_wait_loadcnt 0x0
	v_mul_f64_e32 v[8:9], s[10:11], v[8:9]
	v_mul_f64_e32 v[10:11], s[10:11], v[10:11]
	s_clause 0x1
	global_store_b128 v[14:15], v[4:7], off
	global_store_b128 v[14:15], v[8:11], off offset:16
	s_wait_alu 0xfffe
	s_and_not1_b32 exec_lo, exec_lo, s4
	s_cbranch_execnz .LBB41_24
.LBB41_25:
	s_endpgm
	.section	.rodata,"a",@progbits
	.p2align	6, 0x0
	.amdhsa_kernel _ZN2at6native12_GLOBAL__N_125multi_tensor_apply_kernelINS1_18TensorListMetadataILi2EEENS1_21BinaryOpScalarFunctorIdLi2ELi1ELi1EEEJSt10multipliesIdEdEEEvT_T0_DpT1_
		.amdhsa_group_segment_fixed_size 0
		.amdhsa_private_segment_fixed_size 0
		.amdhsa_kernarg_size 3416
		.amdhsa_user_sgpr_count 2
		.amdhsa_user_sgpr_dispatch_ptr 0
		.amdhsa_user_sgpr_queue_ptr 0
		.amdhsa_user_sgpr_kernarg_segment_ptr 1
		.amdhsa_user_sgpr_dispatch_id 0
		.amdhsa_user_sgpr_private_segment_size 0
		.amdhsa_wavefront_size32 1
		.amdhsa_uses_dynamic_stack 0
		.amdhsa_enable_private_segment 0
		.amdhsa_system_sgpr_workgroup_id_x 1
		.amdhsa_system_sgpr_workgroup_id_y 0
		.amdhsa_system_sgpr_workgroup_id_z 0
		.amdhsa_system_sgpr_workgroup_info 0
		.amdhsa_system_vgpr_workitem_id 0
		.amdhsa_next_free_vgpr 33
		.amdhsa_next_free_sgpr 26
		.amdhsa_reserve_vcc 1
		.amdhsa_float_round_mode_32 0
		.amdhsa_float_round_mode_16_64 0
		.amdhsa_float_denorm_mode_32 3
		.amdhsa_float_denorm_mode_16_64 3
		.amdhsa_fp16_overflow 0
		.amdhsa_workgroup_processor_mode 1
		.amdhsa_memory_ordered 1
		.amdhsa_forward_progress 1
		.amdhsa_inst_pref_size 14
		.amdhsa_round_robin_scheduling 0
		.amdhsa_exception_fp_ieee_invalid_op 0
		.amdhsa_exception_fp_denorm_src 0
		.amdhsa_exception_fp_ieee_div_zero 0
		.amdhsa_exception_fp_ieee_overflow 0
		.amdhsa_exception_fp_ieee_underflow 0
		.amdhsa_exception_fp_ieee_inexact 0
		.amdhsa_exception_int_div_zero 0
	.end_amdhsa_kernel
	.section	.text._ZN2at6native12_GLOBAL__N_125multi_tensor_apply_kernelINS1_18TensorListMetadataILi2EEENS1_21BinaryOpScalarFunctorIdLi2ELi1ELi1EEEJSt10multipliesIdEdEEEvT_T0_DpT1_,"axG",@progbits,_ZN2at6native12_GLOBAL__N_125multi_tensor_apply_kernelINS1_18TensorListMetadataILi2EEENS1_21BinaryOpScalarFunctorIdLi2ELi1ELi1EEEJSt10multipliesIdEdEEEvT_T0_DpT1_,comdat
.Lfunc_end41:
	.size	_ZN2at6native12_GLOBAL__N_125multi_tensor_apply_kernelINS1_18TensorListMetadataILi2EEENS1_21BinaryOpScalarFunctorIdLi2ELi1ELi1EEEJSt10multipliesIdEdEEEvT_T0_DpT1_, .Lfunc_end41-_ZN2at6native12_GLOBAL__N_125multi_tensor_apply_kernelINS1_18TensorListMetadataILi2EEENS1_21BinaryOpScalarFunctorIdLi2ELi1ELi1EEEJSt10multipliesIdEdEEEvT_T0_DpT1_
                                        ; -- End function
	.set _ZN2at6native12_GLOBAL__N_125multi_tensor_apply_kernelINS1_18TensorListMetadataILi2EEENS1_21BinaryOpScalarFunctorIdLi2ELi1ELi1EEEJSt10multipliesIdEdEEEvT_T0_DpT1_.num_vgpr, 33
	.set _ZN2at6native12_GLOBAL__N_125multi_tensor_apply_kernelINS1_18TensorListMetadataILi2EEENS1_21BinaryOpScalarFunctorIdLi2ELi1ELi1EEEJSt10multipliesIdEdEEEvT_T0_DpT1_.num_agpr, 0
	.set _ZN2at6native12_GLOBAL__N_125multi_tensor_apply_kernelINS1_18TensorListMetadataILi2EEENS1_21BinaryOpScalarFunctorIdLi2ELi1ELi1EEEJSt10multipliesIdEdEEEvT_T0_DpT1_.numbered_sgpr, 26
	.set _ZN2at6native12_GLOBAL__N_125multi_tensor_apply_kernelINS1_18TensorListMetadataILi2EEENS1_21BinaryOpScalarFunctorIdLi2ELi1ELi1EEEJSt10multipliesIdEdEEEvT_T0_DpT1_.num_named_barrier, 0
	.set _ZN2at6native12_GLOBAL__N_125multi_tensor_apply_kernelINS1_18TensorListMetadataILi2EEENS1_21BinaryOpScalarFunctorIdLi2ELi1ELi1EEEJSt10multipliesIdEdEEEvT_T0_DpT1_.private_seg_size, 0
	.set _ZN2at6native12_GLOBAL__N_125multi_tensor_apply_kernelINS1_18TensorListMetadataILi2EEENS1_21BinaryOpScalarFunctorIdLi2ELi1ELi1EEEJSt10multipliesIdEdEEEvT_T0_DpT1_.uses_vcc, 1
	.set _ZN2at6native12_GLOBAL__N_125multi_tensor_apply_kernelINS1_18TensorListMetadataILi2EEENS1_21BinaryOpScalarFunctorIdLi2ELi1ELi1EEEJSt10multipliesIdEdEEEvT_T0_DpT1_.uses_flat_scratch, 0
	.set _ZN2at6native12_GLOBAL__N_125multi_tensor_apply_kernelINS1_18TensorListMetadataILi2EEENS1_21BinaryOpScalarFunctorIdLi2ELi1ELi1EEEJSt10multipliesIdEdEEEvT_T0_DpT1_.has_dyn_sized_stack, 0
	.set _ZN2at6native12_GLOBAL__N_125multi_tensor_apply_kernelINS1_18TensorListMetadataILi2EEENS1_21BinaryOpScalarFunctorIdLi2ELi1ELi1EEEJSt10multipliesIdEdEEEvT_T0_DpT1_.has_recursion, 0
	.set _ZN2at6native12_GLOBAL__N_125multi_tensor_apply_kernelINS1_18TensorListMetadataILi2EEENS1_21BinaryOpScalarFunctorIdLi2ELi1ELi1EEEJSt10multipliesIdEdEEEvT_T0_DpT1_.has_indirect_call, 0
	.section	.AMDGPU.csdata,"",@progbits
; Kernel info:
; codeLenInByte = 1700
; TotalNumSgprs: 28
; NumVgprs: 33
; ScratchSize: 0
; MemoryBound: 0
; FloatMode: 240
; IeeeMode: 1
; LDSByteSize: 0 bytes/workgroup (compile time only)
; SGPRBlocks: 0
; VGPRBlocks: 4
; NumSGPRsForWavesPerEU: 28
; NumVGPRsForWavesPerEU: 33
; Occupancy: 16
; WaveLimiterHint : 0
; COMPUTE_PGM_RSRC2:SCRATCH_EN: 0
; COMPUTE_PGM_RSRC2:USER_SGPR: 2
; COMPUTE_PGM_RSRC2:TRAP_HANDLER: 0
; COMPUTE_PGM_RSRC2:TGID_X_EN: 1
; COMPUTE_PGM_RSRC2:TGID_Y_EN: 0
; COMPUTE_PGM_RSRC2:TGID_Z_EN: 0
; COMPUTE_PGM_RSRC2:TIDIG_COMP_CNT: 0
	.section	.text._ZN2at6native12_GLOBAL__N_125multi_tensor_apply_kernelINS1_18TensorListMetadataILi2EEENS1_21BinaryOpScalarFunctorIfLi2ELi1ELi1EEEJSt10multipliesIfEfEEEvT_T0_DpT1_,"axG",@progbits,_ZN2at6native12_GLOBAL__N_125multi_tensor_apply_kernelINS1_18TensorListMetadataILi2EEENS1_21BinaryOpScalarFunctorIfLi2ELi1ELi1EEEJSt10multipliesIfEfEEEvT_T0_DpT1_,comdat
	.globl	_ZN2at6native12_GLOBAL__N_125multi_tensor_apply_kernelINS1_18TensorListMetadataILi2EEENS1_21BinaryOpScalarFunctorIfLi2ELi1ELi1EEEJSt10multipliesIfEfEEEvT_T0_DpT1_ ; -- Begin function _ZN2at6native12_GLOBAL__N_125multi_tensor_apply_kernelINS1_18TensorListMetadataILi2EEENS1_21BinaryOpScalarFunctorIfLi2ELi1ELi1EEEJSt10multipliesIfEfEEEvT_T0_DpT1_
	.p2align	8
	.type	_ZN2at6native12_GLOBAL__N_125multi_tensor_apply_kernelINS1_18TensorListMetadataILi2EEENS1_21BinaryOpScalarFunctorIfLi2ELi1ELi1EEEJSt10multipliesIfEfEEEvT_T0_DpT1_,@function
_ZN2at6native12_GLOBAL__N_125multi_tensor_apply_kernelINS1_18TensorListMetadataILi2EEENS1_21BinaryOpScalarFunctorIfLi2ELi1ELi1EEEJSt10multipliesIfEfEEEvT_T0_DpT1_: ; @_ZN2at6native12_GLOBAL__N_125multi_tensor_apply_kernelINS1_18TensorListMetadataILi2EEENS1_21BinaryOpScalarFunctorIfLi2ELi1ELi1EEEJSt10multipliesIfEfEEEvT_T0_DpT1_
; %bb.0:
	s_load_u8 s8, s[0:1], ttmp9 offset:0x600
	s_mov_b32 s2, ttmp9
	s_mov_b32 s3, 0
	s_delay_alu instid0(SALU_CYCLE_1)
	s_mul_u64 s[4:5], s[2:3], 3
	s_add_nc_u64 s[6:7], s[0:1], s[2:3]
	s_mov_b32 s15, s3
	s_add_nc_u64 s[4:5], s[6:7], s[4:5]
	s_mov_b32 s17, s3
	s_load_b32 s4, s[4:5], 0x740
	s_wait_kmcnt 0x0
	s_lshl_b32 s2, s8, 3
	s_clause 0x3
	s_load_b64 s[6:7], s[0:1], s2 offset:0x0
	s_load_b64 s[8:9], s[0:1], s2 offset:0x200
	s_load_b64 s[12:13], s[0:1], s2 offset:0x400
	s_load_b32 s22, s[0:1], 0xc4c
	s_ashr_i32 s5, s4, 31
	s_delay_alu instid0(SALU_CYCLE_1)
	s_lshl_b64 s[10:11], s[4:5], 18
	s_lshl_b64 s[4:5], s[4:5], 16
	s_wait_kmcnt 0x0
	s_add_nc_u64 s[18:19], s[6:7], s[10:11]
	s_and_b32 s14, s8, 15
	s_and_b32 s16, s12, 3
	;; [unrolled: 1-line block ×3, first 2 shown]
	s_or_b64 s[14:15], s[14:15], s[16:17]
	s_sub_nc_u64 s[12:13], s[12:13], s[4:5]
	s_or_b64 s[2:3], s[14:15], s[2:3]
	s_delay_alu instid0(SALU_CYCLE_1)
	s_cmp_eq_u64 s[2:3], 0
	s_mov_b32 s2, -1
	s_cbranch_scc1 .LBB42_21
; %bb.1:
	v_cmp_lt_i64_e64 s2, s[12:13], 1
	s_and_b32 vcc_lo, exec_lo, s2
	s_cbranch_vccnz .LBB42_20
; %bb.2:
	s_load_b32 s2, s[0:1], 0xc5c
	v_cmp_gt_i64_e64 s3, 0x10000, s[12:13]
	v_dual_mov_b32 v10, 0 :: v_dual_lshlrev_b32 v9, 2, v0
	v_cmp_gt_u64_e64 s4, 0x10000, s[12:13]
	s_mov_b32 s15, 0
	s_mov_b64 s[20:21], 0
	s_and_b32 s3, s3, exec_lo
	v_add_co_u32 v3, s3, s8, v9
	v_add_co_u32 v1, s5, s6, v9
	s_cselect_b32 s17, s13, 0
	s_cselect_b32 s16, s12, 0x10000
	v_add_co_ci_u32_e64 v4, null, s9, 0, s3
	v_add_co_ci_u32_e64 v2, null, s7, 0, s5
	s_wait_kmcnt 0x0
	s_and_b32 s2, s2, 0xffff
	s_and_b32 s3, s4, exec_lo
	s_cselect_b32 s19, s13, 0
	s_cselect_b32 s18, s12, 0x10000
	s_wait_alu 0xfffe
	s_mul_i32 s4, s2, 3
	s_lshl_b32 s5, s2, 3
	v_mad_co_u64_u32 v[7:8], null, s2, 12, v[9:10]
	s_wait_alu 0xfffe
	v_add_co_u32 v14, s5, s5, v9
	v_add_co_u32 v9, s4, s4, v0
	s_wait_alu 0xf1ff
	v_add_co_ci_u32_e64 v10, null, 0, 0, s4
	v_add_co_u32 v13, s4, v0, s2
	s_lshl_b32 s3, s2, 1
	v_add_co_u32 v5, vcc_lo, s6, v7
	v_lshlrev_b32_e32 v21, 2, v13
	v_add_co_ci_u32_e64 v15, null, 0, 0, s5
	v_add_co_ci_u32_e64 v6, null, s7, v8, vcc_lo
	v_add_co_u32 v7, vcc_lo, s8, v7
	s_wait_alu 0xfffe
	v_add_co_u32 v17, s3, s3, v0
	s_wait_alu 0xfffd
	v_add_co_ci_u32_e64 v8, null, s9, v8, vcc_lo
	v_add_co_u32 v11, vcc_lo, s6, v14
	s_wait_alu 0xf1ff
	v_add_co_ci_u32_e64 v18, null, 0, 0, s3
	v_add_co_u32 v19, s3, s6, v21
	s_wait_alu 0xfffd
	v_add_co_ci_u32_e64 v12, null, s7, v15, vcc_lo
	v_add_co_u32 v14, vcc_lo, s8, v14
	s_wait_alu 0xf1ff
	v_add_co_ci_u32_e64 v20, null, s7, 0, s3
	v_add_co_u32 v21, s3, s8, v21
	s_wait_alu 0xfffd
	v_add_co_ci_u32_e64 v15, null, s9, v15, vcc_lo
	v_add_co_ci_u32_e64 v16, null, 0, 0, s4
	s_wait_alu 0xf1ff
	v_add_co_ci_u32_e64 v22, null, s9, 0, s3
	s_lshl_b32 s14, s2, 2
	s_lshl_b32 s23, s2, 4
	s_branch .LBB42_4
.LBB42_3:                               ;   in Loop: Header=BB42_4 Depth=1
	s_wait_alu 0xfffe
	s_or_b32 exec_lo, exec_lo, s2
	v_add_co_u32 v1, vcc_lo, v1, s23
	s_wait_alu 0xfffd
	v_add_co_ci_u32_e64 v2, null, 0, v2, vcc_lo
	v_add_co_u32 v3, vcc_lo, v3, s23
	s_wait_alu 0xfffd
	v_add_co_ci_u32_e64 v4, null, 0, v4, vcc_lo
	;; [unrolled: 3-line block ×5, first 2 shown]
	v_add_co_u32 v14, vcc_lo, v14, s23
	s_add_nc_u64 s[20:21], s[20:21], s[14:15]
	s_wait_alu 0xfffd
	v_add_co_ci_u32_e64 v15, null, 0, v15, vcc_lo
	v_add_co_u32 v19, vcc_lo, v19, s23
	s_wait_alu 0xfffe
	v_cmp_lt_i64_e64 s2, s[20:21], s[16:17]
	s_wait_alu 0xfffd
	v_add_co_ci_u32_e64 v20, null, 0, v20, vcc_lo
	v_add_co_u32 v21, vcc_lo, v21, s23
	s_wait_alu 0xfffd
	v_add_co_ci_u32_e64 v22, null, 0, v22, vcc_lo
	s_and_b32 vcc_lo, exec_lo, s2
	s_wait_alu 0xfffe
	s_cbranch_vccz .LBB42_20
.LBB42_4:                               ; =>This Inner Loop Header: Depth=1
	s_wait_loadcnt 0x0
	v_add_co_u32 v23, s2, v0, s20
	s_wait_alu 0xf1ff
	v_add_co_ci_u32_e64 v24, null, 0, s21, s2
	s_delay_alu instid0(VALU_DEP_1)
	v_cmp_gt_u64_e32 vcc_lo, s[18:19], v[23:24]
	v_mov_b32_e32 v24, 0
	s_and_saveexec_b32 s3, vcc_lo
	s_cbranch_execz .LBB42_6
; %bb.5:                                ;   in Loop: Header=BB42_4 Depth=1
	v_add_co_u32 v23, s2, v1, s10
	s_wait_alu 0xf1ff
	v_add_co_ci_u32_e64 v24, null, s11, v2, s2
	global_load_b32 v24, v[23:24], off
.LBB42_6:                               ;   in Loop: Header=BB42_4 Depth=1
	s_wait_alu 0xfffe
	s_or_b32 exec_lo, exec_lo, s3
	v_add_co_u32 v25, s2, v13, s20
	s_wait_alu 0xf1ff
	v_add_co_ci_u32_e64 v26, null, s21, v16, s2
	v_mov_b32_e32 v23, 0
	s_delay_alu instid0(VALU_DEP_2)
	v_cmp_gt_u64_e64 s2, s[18:19], v[25:26]
	v_mov_b32_e32 v25, 0
	s_and_saveexec_b32 s4, s2
	s_cbranch_execz .LBB42_8
; %bb.7:                                ;   in Loop: Header=BB42_4 Depth=1
	v_add_co_u32 v25, s3, v19, s10
	s_wait_alu 0xf1ff
	v_add_co_ci_u32_e64 v26, null, s11, v20, s3
	global_load_b32 v25, v[25:26], off
.LBB42_8:                               ;   in Loop: Header=BB42_4 Depth=1
	s_wait_alu 0xfffe
	s_or_b32 exec_lo, exec_lo, s4
	v_add_co_u32 v26, s3, v17, s20
	s_wait_alu 0xf1ff
	v_add_co_ci_u32_e64 v27, null, s21, v18, s3
	s_delay_alu instid0(VALU_DEP_1)
	v_cmp_gt_u64_e64 s3, s[18:19], v[26:27]
	s_and_saveexec_b32 s5, s3
	s_cbranch_execz .LBB42_10
; %bb.9:                                ;   in Loop: Header=BB42_4 Depth=1
	v_add_co_u32 v26, s4, v11, s10
	s_wait_alu 0xf1ff
	v_add_co_ci_u32_e64 v27, null, s11, v12, s4
	global_load_b32 v23, v[26:27], off
.LBB42_10:                              ;   in Loop: Header=BB42_4 Depth=1
	s_wait_alu 0xfffe
	s_or_b32 exec_lo, exec_lo, s5
	v_add_co_u32 v26, s4, v9, s20
	s_wait_alu 0xf1ff
	v_add_co_ci_u32_e64 v27, null, s21, v10, s4
	s_delay_alu instid0(VALU_DEP_1)
	v_cmp_gt_u64_e64 s4, s[18:19], v[26:27]
	v_mov_b32_e32 v26, 0
	s_and_saveexec_b32 s24, s4
	s_cbranch_execnz .LBB42_15
; %bb.11:                               ;   in Loop: Header=BB42_4 Depth=1
	s_or_b32 exec_lo, exec_lo, s24
	s_and_saveexec_b32 s5, vcc_lo
	s_cbranch_execnz .LBB42_16
.LBB42_12:                              ;   in Loop: Header=BB42_4 Depth=1
	s_wait_alu 0xfffe
	s_or_b32 exec_lo, exec_lo, s5
	s_and_saveexec_b32 s5, s2
	s_cbranch_execnz .LBB42_17
.LBB42_13:                              ;   in Loop: Header=BB42_4 Depth=1
	s_wait_alu 0xfffe
	s_or_b32 exec_lo, exec_lo, s5
	s_and_saveexec_b32 s2, s3
	s_cbranch_execnz .LBB42_18
.LBB42_14:                              ;   in Loop: Header=BB42_4 Depth=1
	s_wait_alu 0xfffe
	s_or_b32 exec_lo, exec_lo, s2
	s_and_saveexec_b32 s2, s4
	s_cbranch_execz .LBB42_3
	s_branch .LBB42_19
.LBB42_15:                              ;   in Loop: Header=BB42_4 Depth=1
	v_add_co_u32 v26, s5, v5, s10
	s_wait_alu 0xf1ff
	v_add_co_ci_u32_e64 v27, null, s11, v6, s5
	global_load_b32 v26, v[26:27], off
	s_or_b32 exec_lo, exec_lo, s24
	s_and_saveexec_b32 s5, vcc_lo
	s_cbranch_execz .LBB42_12
.LBB42_16:                              ;   in Loop: Header=BB42_4 Depth=1
	v_add_co_u32 v27, vcc_lo, v3, s10
	s_wait_loadcnt 0x0
	v_mul_f32_e32 v24, s22, v24
	s_wait_alu 0xfffd
	v_add_co_ci_u32_e64 v28, null, s11, v4, vcc_lo
	global_store_b32 v[27:28], v24, off
	s_wait_alu 0xfffe
	s_or_b32 exec_lo, exec_lo, s5
	s_and_saveexec_b32 s5, s2
	s_cbranch_execz .LBB42_13
.LBB42_17:                              ;   in Loop: Header=BB42_4 Depth=1
	s_wait_loadcnt 0x0
	v_add_co_u32 v24, vcc_lo, v21, s10
	v_mul_f32_e32 v27, s22, v25
	s_wait_alu 0xfffd
	v_add_co_ci_u32_e64 v25, null, s11, v22, vcc_lo
	global_store_b32 v[24:25], v27, off
	s_wait_alu 0xfffe
	s_or_b32 exec_lo, exec_lo, s5
	s_and_saveexec_b32 s2, s3
	s_cbranch_execz .LBB42_14
.LBB42_18:                              ;   in Loop: Header=BB42_4 Depth=1
	s_wait_loadcnt 0x0
	v_mul_f32_e32 v25, s22, v23
	v_add_co_u32 v23, vcc_lo, v14, s10
	s_wait_alu 0xfffd
	v_add_co_ci_u32_e64 v24, null, s11, v15, vcc_lo
	global_store_b32 v[23:24], v25, off
	s_wait_alu 0xfffe
	s_or_b32 exec_lo, exec_lo, s2
	s_and_saveexec_b32 s2, s4
	s_cbranch_execz .LBB42_3
.LBB42_19:                              ;   in Loop: Header=BB42_4 Depth=1
	s_wait_loadcnt 0x0
	v_add_co_u32 v23, vcc_lo, v7, s10
	v_mul_f32_e32 v25, s22, v26
	s_wait_alu 0xfffd
	v_add_co_ci_u32_e64 v24, null, s11, v8, vcc_lo
	global_store_b32 v[23:24], v25, off
	s_branch .LBB42_3
.LBB42_20:
	s_mov_b32 s2, 0
.LBB42_21:
	s_wait_alu 0xfffe
	s_and_not1_b32 vcc_lo, exec_lo, s2
	s_wait_alu 0xfffe
	s_cbranch_vccnz .LBB42_25
; %bb.22:
	v_cmp_gt_i64_e64 s2, 0x10000, s[12:13]
	v_dual_mov_b32 v2, 0 :: v_dual_lshlrev_b32 v1, 2, v0
	s_mov_b32 s4, 0
	s_mov_b32 s5, exec_lo
	s_and_b32 s2, s2, exec_lo
	s_cselect_b32 s3, s13, 0
	s_cselect_b32 s2, s12, 0x10000
	s_wait_alu 0xfffe
	v_cmpx_gt_i64_e64 s[2:3], v[1:2]
	s_cbranch_execz .LBB42_25
; %bb.23:
	s_load_b32 s0, s[0:1], 0xc5c
	v_lshlrev_b32_e32 v3, 4, v0
	v_mov_b32_e32 v1, v2
	s_delay_alu instid0(VALU_DEP_2) | instskip(NEXT) | instid1(VALU_DEP_1)
	v_add_co_u32 v2, s1, s10, v3
	v_add_co_ci_u32_e64 v3, null, s11, 0, s1
	s_wait_kmcnt 0x0
	s_and_b32 s1, s0, 0xffff
	s_wait_alu 0xfffe
	s_lshl_b32 s5, s1, 4
.LBB42_24:                              ; =>This Inner Loop Header: Depth=1
	v_add_co_u32 v4, vcc_lo, s6, v2
	s_wait_alu 0xfffd
	v_add_co_ci_u32_e64 v5, null, s7, v3, vcc_lo
	v_add_co_u32 v0, vcc_lo, v0, s1
	s_wait_alu 0xfffd
	v_add_co_ci_u32_e64 v1, null, 0, v1, vcc_lo
	global_load_b128 v[4:7], v[4:5], off
	v_add_co_u32 v8, vcc_lo, s8, v2
	v_lshlrev_b64_e32 v[10:11], 2, v[0:1]
	s_wait_alu 0xfffd
	v_add_co_ci_u32_e64 v9, null, s9, v3, vcc_lo
	s_wait_alu 0xfffe
	v_add_co_u32 v2, vcc_lo, v2, s5
	s_wait_alu 0xfffd
	v_add_co_ci_u32_e64 v3, null, 0, v3, vcc_lo
	v_cmp_le_i64_e64 s0, s[2:3], v[10:11]
	s_or_b32 s4, s0, s4
	s_wait_loadcnt 0x0
	v_dual_mul_f32 v4, s22, v4 :: v_dual_mul_f32 v5, s22, v5
	v_dual_mul_f32 v6, s22, v6 :: v_dual_mul_f32 v7, s22, v7
	global_store_b128 v[8:9], v[4:7], off
	s_wait_alu 0xfffe
	s_and_not1_b32 exec_lo, exec_lo, s4
	s_cbranch_execnz .LBB42_24
.LBB42_25:
	s_endpgm
	.section	.rodata,"a",@progbits
	.p2align	6, 0x0
	.amdhsa_kernel _ZN2at6native12_GLOBAL__N_125multi_tensor_apply_kernelINS1_18TensorListMetadataILi2EEENS1_21BinaryOpScalarFunctorIfLi2ELi1ELi1EEEJSt10multipliesIfEfEEEvT_T0_DpT1_
		.amdhsa_group_segment_fixed_size 0
		.amdhsa_private_segment_fixed_size 0
		.amdhsa_kernarg_size 3408
		.amdhsa_user_sgpr_count 2
		.amdhsa_user_sgpr_dispatch_ptr 0
		.amdhsa_user_sgpr_queue_ptr 0
		.amdhsa_user_sgpr_kernarg_segment_ptr 1
		.amdhsa_user_sgpr_dispatch_id 0
		.amdhsa_user_sgpr_private_segment_size 0
		.amdhsa_wavefront_size32 1
		.amdhsa_uses_dynamic_stack 0
		.amdhsa_enable_private_segment 0
		.amdhsa_system_sgpr_workgroup_id_x 1
		.amdhsa_system_sgpr_workgroup_id_y 0
		.amdhsa_system_sgpr_workgroup_id_z 0
		.amdhsa_system_sgpr_workgroup_info 0
		.amdhsa_system_vgpr_workitem_id 0
		.amdhsa_next_free_vgpr 29
		.amdhsa_next_free_sgpr 25
		.amdhsa_reserve_vcc 1
		.amdhsa_float_round_mode_32 0
		.amdhsa_float_round_mode_16_64 0
		.amdhsa_float_denorm_mode_32 3
		.amdhsa_float_denorm_mode_16_64 3
		.amdhsa_fp16_overflow 0
		.amdhsa_workgroup_processor_mode 1
		.amdhsa_memory_ordered 1
		.amdhsa_forward_progress 1
		.amdhsa_inst_pref_size 13
		.amdhsa_round_robin_scheduling 0
		.amdhsa_exception_fp_ieee_invalid_op 0
		.amdhsa_exception_fp_denorm_src 0
		.amdhsa_exception_fp_ieee_div_zero 0
		.amdhsa_exception_fp_ieee_overflow 0
		.amdhsa_exception_fp_ieee_underflow 0
		.amdhsa_exception_fp_ieee_inexact 0
		.amdhsa_exception_int_div_zero 0
	.end_amdhsa_kernel
	.section	.text._ZN2at6native12_GLOBAL__N_125multi_tensor_apply_kernelINS1_18TensorListMetadataILi2EEENS1_21BinaryOpScalarFunctorIfLi2ELi1ELi1EEEJSt10multipliesIfEfEEEvT_T0_DpT1_,"axG",@progbits,_ZN2at6native12_GLOBAL__N_125multi_tensor_apply_kernelINS1_18TensorListMetadataILi2EEENS1_21BinaryOpScalarFunctorIfLi2ELi1ELi1EEEJSt10multipliesIfEfEEEvT_T0_DpT1_,comdat
.Lfunc_end42:
	.size	_ZN2at6native12_GLOBAL__N_125multi_tensor_apply_kernelINS1_18TensorListMetadataILi2EEENS1_21BinaryOpScalarFunctorIfLi2ELi1ELi1EEEJSt10multipliesIfEfEEEvT_T0_DpT1_, .Lfunc_end42-_ZN2at6native12_GLOBAL__N_125multi_tensor_apply_kernelINS1_18TensorListMetadataILi2EEENS1_21BinaryOpScalarFunctorIfLi2ELi1ELi1EEEJSt10multipliesIfEfEEEvT_T0_DpT1_
                                        ; -- End function
	.set _ZN2at6native12_GLOBAL__N_125multi_tensor_apply_kernelINS1_18TensorListMetadataILi2EEENS1_21BinaryOpScalarFunctorIfLi2ELi1ELi1EEEJSt10multipliesIfEfEEEvT_T0_DpT1_.num_vgpr, 29
	.set _ZN2at6native12_GLOBAL__N_125multi_tensor_apply_kernelINS1_18TensorListMetadataILi2EEENS1_21BinaryOpScalarFunctorIfLi2ELi1ELi1EEEJSt10multipliesIfEfEEEvT_T0_DpT1_.num_agpr, 0
	.set _ZN2at6native12_GLOBAL__N_125multi_tensor_apply_kernelINS1_18TensorListMetadataILi2EEENS1_21BinaryOpScalarFunctorIfLi2ELi1ELi1EEEJSt10multipliesIfEfEEEvT_T0_DpT1_.numbered_sgpr, 25
	.set _ZN2at6native12_GLOBAL__N_125multi_tensor_apply_kernelINS1_18TensorListMetadataILi2EEENS1_21BinaryOpScalarFunctorIfLi2ELi1ELi1EEEJSt10multipliesIfEfEEEvT_T0_DpT1_.num_named_barrier, 0
	.set _ZN2at6native12_GLOBAL__N_125multi_tensor_apply_kernelINS1_18TensorListMetadataILi2EEENS1_21BinaryOpScalarFunctorIfLi2ELi1ELi1EEEJSt10multipliesIfEfEEEvT_T0_DpT1_.private_seg_size, 0
	.set _ZN2at6native12_GLOBAL__N_125multi_tensor_apply_kernelINS1_18TensorListMetadataILi2EEENS1_21BinaryOpScalarFunctorIfLi2ELi1ELi1EEEJSt10multipliesIfEfEEEvT_T0_DpT1_.uses_vcc, 1
	.set _ZN2at6native12_GLOBAL__N_125multi_tensor_apply_kernelINS1_18TensorListMetadataILi2EEENS1_21BinaryOpScalarFunctorIfLi2ELi1ELi1EEEJSt10multipliesIfEfEEEvT_T0_DpT1_.uses_flat_scratch, 0
	.set _ZN2at6native12_GLOBAL__N_125multi_tensor_apply_kernelINS1_18TensorListMetadataILi2EEENS1_21BinaryOpScalarFunctorIfLi2ELi1ELi1EEEJSt10multipliesIfEfEEEvT_T0_DpT1_.has_dyn_sized_stack, 0
	.set _ZN2at6native12_GLOBAL__N_125multi_tensor_apply_kernelINS1_18TensorListMetadataILi2EEENS1_21BinaryOpScalarFunctorIfLi2ELi1ELi1EEEJSt10multipliesIfEfEEEvT_T0_DpT1_.has_recursion, 0
	.set _ZN2at6native12_GLOBAL__N_125multi_tensor_apply_kernelINS1_18TensorListMetadataILi2EEENS1_21BinaryOpScalarFunctorIfLi2ELi1ELi1EEEJSt10multipliesIfEfEEEvT_T0_DpT1_.has_indirect_call, 0
	.section	.AMDGPU.csdata,"",@progbits
; Kernel info:
; codeLenInByte = 1640
; TotalNumSgprs: 27
; NumVgprs: 29
; ScratchSize: 0
; MemoryBound: 0
; FloatMode: 240
; IeeeMode: 1
; LDSByteSize: 0 bytes/workgroup (compile time only)
; SGPRBlocks: 0
; VGPRBlocks: 3
; NumSGPRsForWavesPerEU: 27
; NumVGPRsForWavesPerEU: 29
; Occupancy: 16
; WaveLimiterHint : 0
; COMPUTE_PGM_RSRC2:SCRATCH_EN: 0
; COMPUTE_PGM_RSRC2:USER_SGPR: 2
; COMPUTE_PGM_RSRC2:TRAP_HANDLER: 0
; COMPUTE_PGM_RSRC2:TGID_X_EN: 1
; COMPUTE_PGM_RSRC2:TGID_Y_EN: 0
; COMPUTE_PGM_RSRC2:TGID_Z_EN: 0
; COMPUTE_PGM_RSRC2:TIDIG_COMP_CNT: 0
	.section	.text._ZN2at6native12_GLOBAL__N_125multi_tensor_apply_kernelINS1_18TensorListMetadataILi2EEENS1_21BinaryOpScalarFunctorIN3c107complexIdEELi2ELi1ELi1EEEJSt10multipliesIS8_ES8_EEEvT_T0_DpT1_,"axG",@progbits,_ZN2at6native12_GLOBAL__N_125multi_tensor_apply_kernelINS1_18TensorListMetadataILi2EEENS1_21BinaryOpScalarFunctorIN3c107complexIdEELi2ELi1ELi1EEEJSt10multipliesIS8_ES8_EEEvT_T0_DpT1_,comdat
	.globl	_ZN2at6native12_GLOBAL__N_125multi_tensor_apply_kernelINS1_18TensorListMetadataILi2EEENS1_21BinaryOpScalarFunctorIN3c107complexIdEELi2ELi1ELi1EEEJSt10multipliesIS8_ES8_EEEvT_T0_DpT1_ ; -- Begin function _ZN2at6native12_GLOBAL__N_125multi_tensor_apply_kernelINS1_18TensorListMetadataILi2EEENS1_21BinaryOpScalarFunctorIN3c107complexIdEELi2ELi1ELi1EEEJSt10multipliesIS8_ES8_EEEvT_T0_DpT1_
	.p2align	8
	.type	_ZN2at6native12_GLOBAL__N_125multi_tensor_apply_kernelINS1_18TensorListMetadataILi2EEENS1_21BinaryOpScalarFunctorIN3c107complexIdEELi2ELi1ELi1EEEJSt10multipliesIS8_ES8_EEEvT_T0_DpT1_,@function
_ZN2at6native12_GLOBAL__N_125multi_tensor_apply_kernelINS1_18TensorListMetadataILi2EEENS1_21BinaryOpScalarFunctorIN3c107complexIdEELi2ELi1ELi1EEEJSt10multipliesIS8_ES8_EEEvT_T0_DpT1_: ; @_ZN2at6native12_GLOBAL__N_125multi_tensor_apply_kernelINS1_18TensorListMetadataILi2EEENS1_21BinaryOpScalarFunctorIN3c107complexIdEELi2ELi1ELi1EEEJSt10multipliesIS8_ES8_EEEvT_T0_DpT1_
; %bb.0:
	s_mov_b32 s2, ttmp9
	s_mov_b32 s3, 0
	s_delay_alu instid0(SALU_CYCLE_1)
	s_mul_u64 s[4:5], s[2:3], 3
	s_add_nc_u64 s[6:7], s[0:1], s[2:3]
	s_mov_b32 s19, s3
	s_add_nc_u64 s[4:5], s[6:7], s[4:5]
	s_clause 0x1
	s_load_b32 s4, s[4:5], 0x740
	s_load_u8 s2, s[0:1], ttmp9 offset:0x600
	s_wait_kmcnt 0x0
	s_ashr_i32 s5, s4, 31
	s_lshl_b32 s2, s2, 3
	s_clause 0x3
	s_load_b64 s[6:7], s[0:1], s2 offset:0x0
	s_load_b64 s[12:13], s[0:1], s2 offset:0x200
	;; [unrolled: 1-line block ×3, first 2 shown]
	s_load_b128 s[8:11], s[0:1], 0xc50
	s_lshl_b64 s[16:17], s[4:5], 20
	s_lshl_b64 s[4:5], s[4:5], 16
	s_wait_kmcnt 0x0
	s_add_nc_u64 s[6:7], s[6:7], s[16:17]
	s_add_nc_u64 s[12:13], s[12:13], s[16:17]
	s_and_b32 s16, s14, 3
	s_and_b32 s18, s12, 63
	s_mov_b32 s17, s3
	s_and_b32 s2, s6, 63
	s_or_b64 s[16:17], s[18:19], s[16:17]
	s_sub_nc_u64 s[14:15], s[14:15], s[4:5]
	s_or_b64 s[2:3], s[16:17], s[2:3]
	s_delay_alu instid0(SALU_CYCLE_1)
	s_cmp_eq_u64 s[2:3], 0
	s_mov_b32 s2, -1
	s_cbranch_scc1 .LBB43_21
; %bb.1:
	v_cmp_lt_i64_e64 s2, s[14:15], 1
	s_and_b32 vcc_lo, exec_lo, s2
	s_cbranch_vccnz .LBB43_20
; %bb.2:
	s_load_b32 s2, s[0:1], 0xc6c
	v_cmp_gt_i64_e64 s3, 0x10000, s[14:15]
	v_cmp_gt_u64_e64 s4, 0x10000, s[14:15]
	s_mov_b32 s17, 0
	s_mov_b64 s[22:23], 0
	s_and_b32 s3, s3, exec_lo
	s_cselect_b32 s19, s15, 0
	s_cselect_b32 s18, s14, 0x10000
	s_wait_kmcnt 0x0
	s_and_b32 s24, s2, 0xffff
	s_and_b32 s2, s4, exec_lo
	s_cselect_b32 s21, s15, 0
	s_cselect_b32 s20, s14, 0x10000
	s_lshl_b32 s25, s24, 1
	s_mul_i32 s26, s24, 3
	s_lshl_b32 s16, s24, 2
	s_branch .LBB43_4
.LBB43_3:                               ;   in Loop: Header=BB43_4 Depth=1
	s_wait_alu 0xfffe
	s_or_b32 exec_lo, exec_lo, s2
	s_add_nc_u64 s[22:23], s[22:23], s[16:17]
	s_wait_alu 0xfffe
	v_cmp_lt_i64_e64 s2, s[22:23], s[18:19]
	s_and_b32 vcc_lo, exec_lo, s2
	s_wait_alu 0xfffe
	s_cbranch_vccz .LBB43_20
.LBB43_4:                               ; =>This Inner Loop Header: Depth=1
	v_add_co_u32 v17, s2, s22, v0
	s_wait_alu 0xf1ff
	v_add_co_ci_u32_e64 v18, null, s23, 0, s2
	s_wait_loadcnt 0x0
	v_mov_b32_e32 v3, 0
	v_dual_mov_b32 v4, 0 :: v_dual_mov_b32 v11, 0
	s_delay_alu instid0(VALU_DEP_3)
	v_cmp_gt_u64_e32 vcc_lo, s[20:21], v[17:18]
	v_dual_mov_b32 v9, 0 :: v_dual_mov_b32 v12, 0
	v_mov_b32_e32 v10, 0
	s_and_saveexec_b32 s3, vcc_lo
	s_cbranch_execz .LBB43_6
; %bb.5:                                ;   in Loop: Header=BB43_4 Depth=1
	v_lshlrev_b64_e32 v[1:2], 4, v[17:18]
	s_delay_alu instid0(VALU_DEP_1) | instskip(SKIP_1) | instid1(VALU_DEP_2)
	v_add_co_u32 v1, s2, s6, v1
	s_wait_alu 0xf1ff
	v_add_co_ci_u32_e64 v2, null, s7, v2, s2
	global_load_b128 v[9:12], v[1:2], off
.LBB43_6:                               ;   in Loop: Header=BB43_4 Depth=1
	s_wait_alu 0xfffe
	s_or_b32 exec_lo, exec_lo, s3
	v_add_co_u32 v19, s2, v17, s24
	s_wait_alu 0xf1ff
	v_add_co_ci_u32_e64 v20, null, 0, v18, s2
	v_mov_b32_e32 v1, 0
	v_mov_b32_e32 v2, 0
	s_delay_alu instid0(VALU_DEP_3)
	v_cmp_gt_u64_e64 s2, s[20:21], v[19:20]
	s_and_saveexec_b32 s4, s2
	s_cbranch_execz .LBB43_8
; %bb.7:                                ;   in Loop: Header=BB43_4 Depth=1
	v_lshlrev_b64_e32 v[1:2], 4, v[19:20]
	s_delay_alu instid0(VALU_DEP_1) | instskip(SKIP_1) | instid1(VALU_DEP_2)
	v_add_co_u32 v1, s3, s6, v1
	s_wait_alu 0xf1ff
	v_add_co_ci_u32_e64 v2, null, s7, v2, s3
	global_load_b128 v[1:4], v[1:2], off
.LBB43_8:                               ;   in Loop: Header=BB43_4 Depth=1
	s_wait_alu 0xfffe
	s_or_b32 exec_lo, exec_lo, s4
	v_add_co_u32 v21, s3, v17, s25
	s_wait_alu 0xf1ff
	v_add_co_ci_u32_e64 v22, null, 0, v18, s3
	v_mov_b32_e32 v7, 0
	v_dual_mov_b32 v8, 0 :: v_dual_mov_b32 v15, 0
	s_delay_alu instid0(VALU_DEP_3)
	v_cmp_gt_u64_e64 s3, s[20:21], v[21:22]
	v_dual_mov_b32 v13, 0 :: v_dual_mov_b32 v16, 0
	v_mov_b32_e32 v14, 0
	s_and_saveexec_b32 s5, s3
	s_cbranch_execz .LBB43_10
; %bb.9:                                ;   in Loop: Header=BB43_4 Depth=1
	v_lshlrev_b64_e32 v[5:6], 4, v[21:22]
	s_delay_alu instid0(VALU_DEP_1) | instskip(SKIP_1) | instid1(VALU_DEP_2)
	v_add_co_u32 v5, s4, s6, v5
	s_wait_alu 0xf1ff
	v_add_co_ci_u32_e64 v6, null, s7, v6, s4
	global_load_b128 v[13:16], v[5:6], off
.LBB43_10:                              ;   in Loop: Header=BB43_4 Depth=1
	s_wait_alu 0xfffe
	s_or_b32 exec_lo, exec_lo, s5
	v_add_co_u32 v23, s4, v17, s26
	s_wait_alu 0xf1ff
	v_add_co_ci_u32_e64 v24, null, 0, v18, s4
	v_mov_b32_e32 v5, 0
	v_mov_b32_e32 v6, 0
	s_delay_alu instid0(VALU_DEP_3)
	v_cmp_gt_u64_e64 s4, s[20:21], v[23:24]
	s_and_saveexec_b32 s27, s4
	s_cbranch_execnz .LBB43_15
; %bb.11:                               ;   in Loop: Header=BB43_4 Depth=1
	s_wait_alu 0xfffe
	s_or_b32 exec_lo, exec_lo, s27
	s_and_saveexec_b32 s5, vcc_lo
	s_cbranch_execnz .LBB43_16
.LBB43_12:                              ;   in Loop: Header=BB43_4 Depth=1
	s_wait_alu 0xfffe
	s_or_b32 exec_lo, exec_lo, s5
	s_and_saveexec_b32 s5, s2
	s_cbranch_execnz .LBB43_17
.LBB43_13:                              ;   in Loop: Header=BB43_4 Depth=1
	s_wait_alu 0xfffe
	s_or_b32 exec_lo, exec_lo, s5
	s_and_saveexec_b32 s2, s3
	s_cbranch_execnz .LBB43_18
.LBB43_14:                              ;   in Loop: Header=BB43_4 Depth=1
	s_wait_alu 0xfffe
	s_or_b32 exec_lo, exec_lo, s2
	s_and_saveexec_b32 s2, s4
	s_cbranch_execz .LBB43_3
	s_branch .LBB43_19
.LBB43_15:                              ;   in Loop: Header=BB43_4 Depth=1
	v_lshlrev_b64_e32 v[5:6], 4, v[23:24]
	s_delay_alu instid0(VALU_DEP_1) | instskip(SKIP_1) | instid1(VALU_DEP_2)
	v_add_co_u32 v5, s5, s6, v5
	s_wait_alu 0xf1ff
	v_add_co_ci_u32_e64 v6, null, s7, v6, s5
	global_load_b128 v[5:8], v[5:6], off
	s_wait_alu 0xfffe
	s_or_b32 exec_lo, exec_lo, s27
	s_and_saveexec_b32 s5, vcc_lo
	s_cbranch_execz .LBB43_12
.LBB43_16:                              ;   in Loop: Header=BB43_4 Depth=1
	s_wait_loadcnt 0x0
	v_mul_f64_e32 v[25:26], s[10:11], v[9:10]
	v_mul_f64_e32 v[27:28], s[10:11], v[11:12]
	v_lshlrev_b64_e32 v[17:18], 4, v[17:18]
	s_delay_alu instid0(VALU_DEP_1) | instskip(SKIP_1) | instid1(VALU_DEP_2)
	v_add_co_u32 v17, vcc_lo, s12, v17
	s_wait_alu 0xfffd
	v_add_co_ci_u32_e64 v18, null, s13, v18, vcc_lo
	v_fma_f64 v[11:12], s[8:9], v[11:12], v[25:26]
	v_fma_f64 v[9:10], s[8:9], v[9:10], -v[27:28]
	global_store_b128 v[17:18], v[9:12], off
	s_wait_alu 0xfffe
	s_or_b32 exec_lo, exec_lo, s5
	s_and_saveexec_b32 s5, s2
	s_cbranch_execz .LBB43_13
.LBB43_17:                              ;   in Loop: Header=BB43_4 Depth=1
	s_wait_loadcnt 0x0
	v_mul_f64_e32 v[9:10], s[10:11], v[3:4]
	v_mul_f64_e32 v[11:12], s[10:11], v[1:2]
	s_delay_alu instid0(VALU_DEP_2) | instskip(NEXT) | instid1(VALU_DEP_2)
	v_fma_f64 v[1:2], s[8:9], v[1:2], -v[9:10]
	v_fma_f64 v[3:4], s[8:9], v[3:4], v[11:12]
	v_lshlrev_b64_e32 v[9:10], 4, v[19:20]
	s_delay_alu instid0(VALU_DEP_1) | instskip(SKIP_1) | instid1(VALU_DEP_2)
	v_add_co_u32 v9, vcc_lo, s12, v9
	s_wait_alu 0xfffd
	v_add_co_ci_u32_e64 v10, null, s13, v10, vcc_lo
	global_store_b128 v[9:10], v[1:4], off
	s_wait_alu 0xfffe
	s_or_b32 exec_lo, exec_lo, s5
	s_and_saveexec_b32 s2, s3
	s_cbranch_execz .LBB43_14
.LBB43_18:                              ;   in Loop: Header=BB43_4 Depth=1
	s_wait_loadcnt 0x0
	v_mul_f64_e32 v[1:2], s[10:11], v[15:16]
	v_mul_f64_e32 v[3:4], s[10:11], v[13:14]
	v_lshlrev_b64_e32 v[9:10], 4, v[21:22]
	s_delay_alu instid0(VALU_DEP_1) | instskip(SKIP_1) | instid1(VALU_DEP_2)
	v_add_co_u32 v9, vcc_lo, s12, v9
	s_wait_alu 0xfffd
	v_add_co_ci_u32_e64 v10, null, s13, v10, vcc_lo
	v_fma_f64 v[1:2], s[8:9], v[13:14], -v[1:2]
	v_fma_f64 v[3:4], s[8:9], v[15:16], v[3:4]
	global_store_b128 v[9:10], v[1:4], off
	s_wait_alu 0xfffe
	s_or_b32 exec_lo, exec_lo, s2
	s_and_saveexec_b32 s2, s4
	s_cbranch_execz .LBB43_3
.LBB43_19:                              ;   in Loop: Header=BB43_4 Depth=1
	s_wait_loadcnt 0x0
	v_mul_f64_e32 v[1:2], s[10:11], v[7:8]
	v_mul_f64_e32 v[3:4], s[10:11], v[5:6]
	s_delay_alu instid0(VALU_DEP_2) | instskip(NEXT) | instid1(VALU_DEP_2)
	v_fma_f64 v[1:2], s[8:9], v[5:6], -v[1:2]
	v_fma_f64 v[3:4], s[8:9], v[7:8], v[3:4]
	v_lshlrev_b64_e32 v[5:6], 4, v[23:24]
	s_delay_alu instid0(VALU_DEP_1) | instskip(SKIP_1) | instid1(VALU_DEP_2)
	v_add_co_u32 v5, vcc_lo, s12, v5
	s_wait_alu 0xfffd
	v_add_co_ci_u32_e64 v6, null, s13, v6, vcc_lo
	global_store_b128 v[5:6], v[1:4], off
	s_branch .LBB43_3
.LBB43_20:
	s_mov_b32 s2, 0
.LBB43_21:
	s_wait_alu 0xfffe
	s_and_not1_b32 vcc_lo, exec_lo, s2
	s_wait_alu 0xfffe
	s_cbranch_vccnz .LBB43_25
; %bb.22:
	v_cmp_gt_i64_e64 s2, 0x10000, s[14:15]
	s_wait_loadcnt 0x0
	v_dual_mov_b32 v2, 0 :: v_dual_lshlrev_b32 v1, 2, v0
	s_mov_b32 s5, 0
	s_mov_b32 s4, exec_lo
	s_and_b32 s2, s2, exec_lo
	s_cselect_b32 s3, s15, 0
	s_cselect_b32 s2, s14, 0x10000
	s_wait_alu 0xfffe
	v_cmpx_gt_i64_e64 s[2:3], v[1:2]
	s_cbranch_execz .LBB43_25
; %bb.23:
	s_load_b32 s0, s[0:1], 0xc6c
	v_dual_mov_b32 v1, v2 :: v_dual_lshlrev_b32 v2, 6, v0
	s_mov_b32 s1, s5
	s_wait_kmcnt 0x0
	s_and_b32 s0, s0, 0xffff
	s_delay_alu instid0(SALU_CYCLE_1)
	s_lshl_b32 s4, s0, 6
.LBB43_24:                              ; =>This Inner Loop Header: Depth=1
	v_add_co_u32 v15, s14, s6, v2
	s_wait_alu 0xf1ff
	v_add_co_ci_u32_e64 v16, null, s7, 0, s14
	v_add_co_u32 v0, vcc_lo, v0, s0
	s_wait_alu 0xfffd
	v_add_co_ci_u32_e64 v1, null, 0, v1, vcc_lo
	s_clause 0x3
	global_load_b128 v[3:6], v[15:16], off
	global_load_b128 v[7:10], v[15:16], off offset:16
	global_load_b128 v[11:14], v[15:16], off offset:32
	;; [unrolled: 1-line block ×3, first 2 shown]
	s_wait_alu 0xfffe
	s_add_nc_u64 s[6:7], s[6:7], s[4:5]
	s_wait_loadcnt 0x3
	v_mul_f64_e32 v[19:20], s[10:11], v[5:6]
	v_mul_f64_e32 v[5:6], s[8:9], v[5:6]
	s_wait_loadcnt 0x2
	v_mul_f64_e32 v[21:22], s[10:11], v[9:10]
	v_mul_f64_e32 v[9:10], s[8:9], v[9:10]
	;; [unrolled: 3-line block ×4, first 2 shown]
	v_fma_f64 v[17:18], s[8:9], v[3:4], -v[19:20]
	v_fma_f64 v[19:20], s[10:11], v[3:4], v[5:6]
	v_fma_f64 v[3:4], s[8:9], v[7:8], -v[21:22]
	v_fma_f64 v[5:6], s[10:11], v[7:8], v[9:10]
	;; [unrolled: 2-line block ×4, first 2 shown]
	v_lshlrev_b64_e32 v[15:16], 2, v[0:1]
	v_add_co_u32 v21, s14, s12, v2
	s_wait_alu 0xf1ff
	v_add_co_ci_u32_e64 v22, null, s13, 0, s14
	s_add_nc_u64 s[12:13], s[12:13], s[4:5]
	v_cmp_le_i64_e32 vcc_lo, s[2:3], v[15:16]
	s_clause 0x3
	global_store_b128 v[21:22], v[17:20], off
	global_store_b128 v[21:22], v[3:6], off offset:16
	global_store_b128 v[21:22], v[7:10], off offset:32
	;; [unrolled: 1-line block ×3, first 2 shown]
	s_or_b32 s1, vcc_lo, s1
	s_wait_alu 0xfffe
	s_and_not1_b32 exec_lo, exec_lo, s1
	s_cbranch_execnz .LBB43_24
.LBB43_25:
	s_endpgm
	.section	.rodata,"a",@progbits
	.p2align	6, 0x0
	.amdhsa_kernel _ZN2at6native12_GLOBAL__N_125multi_tensor_apply_kernelINS1_18TensorListMetadataILi2EEENS1_21BinaryOpScalarFunctorIN3c107complexIdEELi2ELi1ELi1EEEJSt10multipliesIS8_ES8_EEEvT_T0_DpT1_
		.amdhsa_group_segment_fixed_size 0
		.amdhsa_private_segment_fixed_size 0
		.amdhsa_kernarg_size 3424
		.amdhsa_user_sgpr_count 2
		.amdhsa_user_sgpr_dispatch_ptr 0
		.amdhsa_user_sgpr_queue_ptr 0
		.amdhsa_user_sgpr_kernarg_segment_ptr 1
		.amdhsa_user_sgpr_dispatch_id 0
		.amdhsa_user_sgpr_private_segment_size 0
		.amdhsa_wavefront_size32 1
		.amdhsa_uses_dynamic_stack 0
		.amdhsa_enable_private_segment 0
		.amdhsa_system_sgpr_workgroup_id_x 1
		.amdhsa_system_sgpr_workgroup_id_y 0
		.amdhsa_system_sgpr_workgroup_id_z 0
		.amdhsa_system_sgpr_workgroup_info 0
		.amdhsa_system_vgpr_workitem_id 0
		.amdhsa_next_free_vgpr 29
		.amdhsa_next_free_sgpr 28
		.amdhsa_reserve_vcc 1
		.amdhsa_float_round_mode_32 0
		.amdhsa_float_round_mode_16_64 0
		.amdhsa_float_denorm_mode_32 3
		.amdhsa_float_denorm_mode_16_64 3
		.amdhsa_fp16_overflow 0
		.amdhsa_workgroup_processor_mode 1
		.amdhsa_memory_ordered 1
		.amdhsa_forward_progress 1
		.amdhsa_inst_pref_size 13
		.amdhsa_round_robin_scheduling 0
		.amdhsa_exception_fp_ieee_invalid_op 0
		.amdhsa_exception_fp_denorm_src 0
		.amdhsa_exception_fp_ieee_div_zero 0
		.amdhsa_exception_fp_ieee_overflow 0
		.amdhsa_exception_fp_ieee_underflow 0
		.amdhsa_exception_fp_ieee_inexact 0
		.amdhsa_exception_int_div_zero 0
	.end_amdhsa_kernel
	.section	.text._ZN2at6native12_GLOBAL__N_125multi_tensor_apply_kernelINS1_18TensorListMetadataILi2EEENS1_21BinaryOpScalarFunctorIN3c107complexIdEELi2ELi1ELi1EEEJSt10multipliesIS8_ES8_EEEvT_T0_DpT1_,"axG",@progbits,_ZN2at6native12_GLOBAL__N_125multi_tensor_apply_kernelINS1_18TensorListMetadataILi2EEENS1_21BinaryOpScalarFunctorIN3c107complexIdEELi2ELi1ELi1EEEJSt10multipliesIS8_ES8_EEEvT_T0_DpT1_,comdat
.Lfunc_end43:
	.size	_ZN2at6native12_GLOBAL__N_125multi_tensor_apply_kernelINS1_18TensorListMetadataILi2EEENS1_21BinaryOpScalarFunctorIN3c107complexIdEELi2ELi1ELi1EEEJSt10multipliesIS8_ES8_EEEvT_T0_DpT1_, .Lfunc_end43-_ZN2at6native12_GLOBAL__N_125multi_tensor_apply_kernelINS1_18TensorListMetadataILi2EEENS1_21BinaryOpScalarFunctorIN3c107complexIdEELi2ELi1ELi1EEEJSt10multipliesIS8_ES8_EEEvT_T0_DpT1_
                                        ; -- End function
	.set _ZN2at6native12_GLOBAL__N_125multi_tensor_apply_kernelINS1_18TensorListMetadataILi2EEENS1_21BinaryOpScalarFunctorIN3c107complexIdEELi2ELi1ELi1EEEJSt10multipliesIS8_ES8_EEEvT_T0_DpT1_.num_vgpr, 29
	.set _ZN2at6native12_GLOBAL__N_125multi_tensor_apply_kernelINS1_18TensorListMetadataILi2EEENS1_21BinaryOpScalarFunctorIN3c107complexIdEELi2ELi1ELi1EEEJSt10multipliesIS8_ES8_EEEvT_T0_DpT1_.num_agpr, 0
	.set _ZN2at6native12_GLOBAL__N_125multi_tensor_apply_kernelINS1_18TensorListMetadataILi2EEENS1_21BinaryOpScalarFunctorIN3c107complexIdEELi2ELi1ELi1EEEJSt10multipliesIS8_ES8_EEEvT_T0_DpT1_.numbered_sgpr, 28
	.set _ZN2at6native12_GLOBAL__N_125multi_tensor_apply_kernelINS1_18TensorListMetadataILi2EEENS1_21BinaryOpScalarFunctorIN3c107complexIdEELi2ELi1ELi1EEEJSt10multipliesIS8_ES8_EEEvT_T0_DpT1_.num_named_barrier, 0
	.set _ZN2at6native12_GLOBAL__N_125multi_tensor_apply_kernelINS1_18TensorListMetadataILi2EEENS1_21BinaryOpScalarFunctorIN3c107complexIdEELi2ELi1ELi1EEEJSt10multipliesIS8_ES8_EEEvT_T0_DpT1_.private_seg_size, 0
	.set _ZN2at6native12_GLOBAL__N_125multi_tensor_apply_kernelINS1_18TensorListMetadataILi2EEENS1_21BinaryOpScalarFunctorIN3c107complexIdEELi2ELi1ELi1EEEJSt10multipliesIS8_ES8_EEEvT_T0_DpT1_.uses_vcc, 1
	.set _ZN2at6native12_GLOBAL__N_125multi_tensor_apply_kernelINS1_18TensorListMetadataILi2EEENS1_21BinaryOpScalarFunctorIN3c107complexIdEELi2ELi1ELi1EEEJSt10multipliesIS8_ES8_EEEvT_T0_DpT1_.uses_flat_scratch, 0
	.set _ZN2at6native12_GLOBAL__N_125multi_tensor_apply_kernelINS1_18TensorListMetadataILi2EEENS1_21BinaryOpScalarFunctorIN3c107complexIdEELi2ELi1ELi1EEEJSt10multipliesIS8_ES8_EEEvT_T0_DpT1_.has_dyn_sized_stack, 0
	.set _ZN2at6native12_GLOBAL__N_125multi_tensor_apply_kernelINS1_18TensorListMetadataILi2EEENS1_21BinaryOpScalarFunctorIN3c107complexIdEELi2ELi1ELi1EEEJSt10multipliesIS8_ES8_EEEvT_T0_DpT1_.has_recursion, 0
	.set _ZN2at6native12_GLOBAL__N_125multi_tensor_apply_kernelINS1_18TensorListMetadataILi2EEENS1_21BinaryOpScalarFunctorIN3c107complexIdEELi2ELi1ELi1EEEJSt10multipliesIS8_ES8_EEEvT_T0_DpT1_.has_indirect_call, 0
	.section	.AMDGPU.csdata,"",@progbits
; Kernel info:
; codeLenInByte = 1576
; TotalNumSgprs: 30
; NumVgprs: 29
; ScratchSize: 0
; MemoryBound: 1
; FloatMode: 240
; IeeeMode: 1
; LDSByteSize: 0 bytes/workgroup (compile time only)
; SGPRBlocks: 0
; VGPRBlocks: 3
; NumSGPRsForWavesPerEU: 30
; NumVGPRsForWavesPerEU: 29
; Occupancy: 16
; WaveLimiterHint : 0
; COMPUTE_PGM_RSRC2:SCRATCH_EN: 0
; COMPUTE_PGM_RSRC2:USER_SGPR: 2
; COMPUTE_PGM_RSRC2:TRAP_HANDLER: 0
; COMPUTE_PGM_RSRC2:TGID_X_EN: 1
; COMPUTE_PGM_RSRC2:TGID_Y_EN: 0
; COMPUTE_PGM_RSRC2:TGID_Z_EN: 0
; COMPUTE_PGM_RSRC2:TIDIG_COMP_CNT: 0
	.section	.text._ZN2at6native12_GLOBAL__N_125multi_tensor_apply_kernelINS1_18TensorListMetadataILi2EEENS1_21BinaryOpScalarFunctorIN3c107complexIfEELi2ELi1ELi1EEEJSt10multipliesIS8_ES8_EEEvT_T0_DpT1_,"axG",@progbits,_ZN2at6native12_GLOBAL__N_125multi_tensor_apply_kernelINS1_18TensorListMetadataILi2EEENS1_21BinaryOpScalarFunctorIN3c107complexIfEELi2ELi1ELi1EEEJSt10multipliesIS8_ES8_EEEvT_T0_DpT1_,comdat
	.globl	_ZN2at6native12_GLOBAL__N_125multi_tensor_apply_kernelINS1_18TensorListMetadataILi2EEENS1_21BinaryOpScalarFunctorIN3c107complexIfEELi2ELi1ELi1EEEJSt10multipliesIS8_ES8_EEEvT_T0_DpT1_ ; -- Begin function _ZN2at6native12_GLOBAL__N_125multi_tensor_apply_kernelINS1_18TensorListMetadataILi2EEENS1_21BinaryOpScalarFunctorIN3c107complexIfEELi2ELi1ELi1EEEJSt10multipliesIS8_ES8_EEEvT_T0_DpT1_
	.p2align	8
	.type	_ZN2at6native12_GLOBAL__N_125multi_tensor_apply_kernelINS1_18TensorListMetadataILi2EEENS1_21BinaryOpScalarFunctorIN3c107complexIfEELi2ELi1ELi1EEEJSt10multipliesIS8_ES8_EEEvT_T0_DpT1_,@function
_ZN2at6native12_GLOBAL__N_125multi_tensor_apply_kernelINS1_18TensorListMetadataILi2EEENS1_21BinaryOpScalarFunctorIN3c107complexIfEELi2ELi1ELi1EEEJSt10multipliesIS8_ES8_EEEvT_T0_DpT1_: ; @_ZN2at6native12_GLOBAL__N_125multi_tensor_apply_kernelINS1_18TensorListMetadataILi2EEENS1_21BinaryOpScalarFunctorIN3c107complexIfEELi2ELi1ELi1EEEJSt10multipliesIS8_ES8_EEEvT_T0_DpT1_
; %bb.0:
	s_load_u8 s8, s[0:1], ttmp9 offset:0x600
	s_mov_b32 s2, ttmp9
	s_mov_b32 s3, 0
	s_delay_alu instid0(SALU_CYCLE_1)
	s_mul_u64 s[4:5], s[2:3], 3
	s_add_nc_u64 s[6:7], s[0:1], s[2:3]
	s_mov_b32 s17, s3
	s_add_nc_u64 s[4:5], s[6:7], s[4:5]
	s_load_b32 s4, s[4:5], 0x740
	s_wait_kmcnt 0x0
	s_lshl_b32 s2, s8, 3
	s_clause 0x3
	s_load_b64 s[8:9], s[0:1], s2 offset:0x0
	s_load_b64 s[10:11], s[0:1], s2 offset:0x200
	;; [unrolled: 1-line block ×3, first 2 shown]
	s_load_b64 s[6:7], s[0:1], 0xc50
	s_ashr_i32 s5, s4, 31
	s_delay_alu instid0(SALU_CYCLE_1)
	s_lshl_b64 s[14:15], s[4:5], 19
	s_lshl_b64 s[4:5], s[4:5], 16
	s_wait_kmcnt 0x0
	s_add_nc_u64 s[8:9], s[8:9], s[14:15]
	s_add_nc_u64 s[10:11], s[10:11], s[14:15]
	s_and_b32 s14, s12, 3
	s_and_b32 s16, s10, 31
	s_mov_b32 s15, s3
	s_and_b32 s2, s8, 31
	s_or_b64 s[14:15], s[16:17], s[14:15]
	s_sub_nc_u64 s[12:13], s[12:13], s[4:5]
	s_or_b64 s[2:3], s[14:15], s[2:3]
	s_delay_alu instid0(SALU_CYCLE_1)
	s_cmp_eq_u64 s[2:3], 0
	s_mov_b32 s2, -1
	s_cbranch_scc1 .LBB44_19
; %bb.1:
	v_cmp_lt_i64_e64 s2, s[12:13], 1
	s_and_b32 vcc_lo, exec_lo, s2
	s_cbranch_vccnz .LBB44_18
; %bb.2:
	s_load_b32 s2, s[0:1], 0xc64
	v_cmp_gt_i64_e64 s3, 0x10000, s[12:13]
	s_mov_b64 s[4:5], src_private_base
	v_mov_b32_e32 v1, 0
	v_cmp_gt_u64_e64 s4, 0x10000, s[12:13]
	s_mov_b32 s15, 0
	s_mov_b64 s[20:21], 0
	s_and_b32 s3, s3, exec_lo
	v_mov_b32_e32 v2, v1
	s_cselect_b32 s17, s13, 0
	s_cselect_b32 s16, s12, 0x10000
	s_wait_kmcnt 0x0
	s_and_b32 s22, s2, 0xffff
	s_and_b32 s2, s4, exec_lo
	s_cselect_b32 s19, s13, 0
	s_cselect_b32 s18, s12, 0x10000
	s_lshl_b32 s23, s22, 1
	s_mul_i32 s24, s22, 3
	s_lshl_b32 s14, s22, 2
	s_branch .LBB44_4
.LBB44_3:                               ;   in Loop: Header=BB44_4 Depth=1
	s_wait_alu 0xfffe
	s_or_b32 exec_lo, exec_lo, s2
	s_add_nc_u64 s[20:21], s[20:21], s[14:15]
	s_wait_alu 0xfffe
	v_cmp_lt_i64_e64 s2, s[20:21], s[16:17]
	s_and_b32 vcc_lo, exec_lo, s2
	s_wait_alu 0xfffe
	s_cbranch_vccz .LBB44_18
.LBB44_4:                               ; =>This Inner Loop Header: Depth=1
	v_add_co_u32 v7, s2, s20, v0
	s_wait_alu 0xf1ff
	v_add_co_ci_u32_e64 v8, null, s21, 0, s2
	v_dual_mov_b32 v6, 0 :: v_dual_mov_b32 v5, 0
	s_delay_alu instid0(VALU_DEP_2)
	v_cmp_gt_u64_e32 vcc_lo, s[18:19], v[7:8]
	s_and_saveexec_b32 s3, vcc_lo
	s_cbranch_execz .LBB44_6
; %bb.5:                                ;   in Loop: Header=BB44_4 Depth=1
	v_lshlrev_b64_e32 v[3:4], 3, v[7:8]
	s_delay_alu instid0(VALU_DEP_1) | instskip(SKIP_1) | instid1(VALU_DEP_2)
	v_add_co_u32 v3, s2, s8, v3
	s_wait_alu 0xf1ff
	v_add_co_ci_u32_e64 v4, null, s9, v4, s2
	global_load_b64 v[5:6], v[3:4], off
.LBB44_6:                               ;   in Loop: Header=BB44_4 Depth=1
	s_wait_alu 0xfffe
	s_or_b32 exec_lo, exec_lo, s3
	v_add_co_u32 v3, s2, v7, s22
	s_wait_alu 0xf1ff
	v_add_co_ci_u32_e64 v4, null, 0, v8, s2
	v_dual_mov_b32 v12, 0 :: v_dual_mov_b32 v11, 0
	s_delay_alu instid0(VALU_DEP_2)
	v_cmp_gt_u64_e64 s2, s[18:19], v[3:4]
	s_and_saveexec_b32 s4, s2
	s_cbranch_execz .LBB44_8
; %bb.7:                                ;   in Loop: Header=BB44_4 Depth=1
	v_lshlrev_b64_e32 v[9:10], 3, v[3:4]
	s_delay_alu instid0(VALU_DEP_1) | instskip(SKIP_1) | instid1(VALU_DEP_2)
	v_add_co_u32 v9, s3, s8, v9
	s_wait_alu 0xf1ff
	v_add_co_ci_u32_e64 v10, null, s9, v10, s3
	global_load_b64 v[11:12], v[9:10], off
.LBB44_8:                               ;   in Loop: Header=BB44_4 Depth=1
	s_wait_alu 0xfffe
	s_or_b32 exec_lo, exec_lo, s4
	v_add_co_u32 v9, s3, v7, s23
	s_wait_alu 0xf1ff
	v_add_co_ci_u32_e64 v10, null, 0, v8, s3
	v_mov_b32_e32 v15, 0
	v_mov_b32_e32 v16, 0
	s_delay_alu instid0(VALU_DEP_3)
	v_cmp_gt_u64_e64 s3, s[18:19], v[9:10]
	s_and_saveexec_b32 s25, s3
	s_cbranch_execz .LBB44_10
; %bb.9:                                ;   in Loop: Header=BB44_4 Depth=1
	v_lshlrev_b64_e32 v[13:14], 3, v[9:10]
	s_delay_alu instid0(VALU_DEP_1) | instskip(SKIP_1) | instid1(VALU_DEP_2)
	v_add_co_u32 v13, s4, s8, v13
	s_wait_alu 0xf1ff
	v_add_co_ci_u32_e64 v14, null, s9, v14, s4
	global_load_b64 v[15:16], v[13:14], off
.LBB44_10:                              ;   in Loop: Header=BB44_4 Depth=1
	s_wait_alu 0xfffe
	s_or_b32 exec_lo, exec_lo, s25
	v_add_co_u32 v17, s4, v7, s24
	s_wait_alu 0xf1ff
	v_add_co_ci_u32_e64 v18, null, 0, v8, s4
	scratch_store_b64 off, v[1:2], off
	v_lshlrev_b64_e32 v[13:14], 3, v[17:18]
	s_delay_alu instid0(VALU_DEP_1) | instskip(SKIP_1) | instid1(VALU_DEP_2)
	v_add_co_u32 v19, s4, s8, v13
	s_wait_alu 0xf1ff
	v_add_co_ci_u32_e64 v20, null, s9, v14, s4
	v_cmp_gt_u64_e64 s4, s[18:19], v[17:18]
	s_wait_alu 0xf1ff
	s_delay_alu instid0(VALU_DEP_1) | instskip(SKIP_4) | instid1(VALU_DEP_1)
	v_cndmask_b32_e64 v18, s5, v20, s4
	v_cndmask_b32_e64 v17, 0, v19, s4
	flat_load_b64 v[17:18], v[17:18]
	s_wait_loadcnt_dscnt 0x0
	v_mul_f32_e32 v19, s6, v18
	v_dual_mul_f32 v20, s7, v18 :: v_dual_fmac_f32 v19, s7, v17
	s_delay_alu instid0(VALU_DEP_1)
	v_fma_f32 v18, s6, v17, -v20
	scratch_store_b64 off, v[18:19], off
	s_and_saveexec_b32 s25, vcc_lo
	s_cbranch_execnz .LBB44_14
; %bb.11:                               ;   in Loop: Header=BB44_4 Depth=1
	s_wait_alu 0xfffe
	s_or_b32 exec_lo, exec_lo, s25
	s_and_saveexec_b32 s25, s2
	s_cbranch_execnz .LBB44_15
.LBB44_12:                              ;   in Loop: Header=BB44_4 Depth=1
	s_wait_alu 0xfffe
	s_or_b32 exec_lo, exec_lo, s25
	s_and_saveexec_b32 s2, s3
	s_cbranch_execnz .LBB44_16
.LBB44_13:                              ;   in Loop: Header=BB44_4 Depth=1
	s_wait_alu 0xfffe
	s_or_b32 exec_lo, exec_lo, s2
	s_and_saveexec_b32 s2, s4
	s_cbranch_execz .LBB44_3
	s_branch .LBB44_17
.LBB44_14:                              ;   in Loop: Header=BB44_4 Depth=1
	v_lshlrev_b64_e32 v[7:8], 3, v[7:8]
	v_dual_mul_f32 v17, s7, v6 :: v_dual_mul_f32 v18, s7, v5
	s_delay_alu instid0(VALU_DEP_1) | instskip(NEXT) | instid1(VALU_DEP_3)
	v_fma_f32 v17, v5, s6, -v17
	v_add_co_u32 v7, vcc_lo, s10, v7
	s_wait_alu 0xfffd
	s_delay_alu instid0(VALU_DEP_4)
	v_add_co_ci_u32_e64 v8, null, s11, v8, vcc_lo
	v_fmac_f32_e32 v18, s6, v6
	global_store_b64 v[7:8], v[17:18], off
	s_wait_alu 0xfffe
	s_or_b32 exec_lo, exec_lo, s25
	s_and_saveexec_b32 s25, s2
	s_cbranch_execz .LBB44_12
.LBB44_15:                              ;   in Loop: Header=BB44_4 Depth=1
	v_lshlrev_b64_e32 v[6:7], 3, v[3:4]
	v_dual_mul_f32 v8, s7, v12 :: v_dual_mul_f32 v5, s7, v11
	s_delay_alu instid0(VALU_DEP_1) | instskip(NEXT) | instid1(VALU_DEP_3)
	v_fma_f32 v4, v11, s6, -v8
	v_add_co_u32 v6, vcc_lo, s10, v6
	s_delay_alu instid0(VALU_DEP_3)
	v_fmac_f32_e32 v5, s6, v12
	s_wait_alu 0xfffd
	v_add_co_ci_u32_e64 v7, null, s11, v7, vcc_lo
	global_store_b64 v[6:7], v[4:5], off
	s_wait_alu 0xfffe
	s_or_b32 exec_lo, exec_lo, s25
	s_and_saveexec_b32 s2, s3
	s_cbranch_execz .LBB44_13
.LBB44_16:                              ;   in Loop: Header=BB44_4 Depth=1
	v_lshlrev_b64_e32 v[5:6], 3, v[9:10]
	v_mul_f32_e32 v4, s6, v16
	s_delay_alu instid0(VALU_DEP_1) | instskip(NEXT) | instid1(VALU_DEP_3)
	v_dual_mul_f32 v3, s7, v16 :: v_dual_fmac_f32 v4, s7, v15
	v_add_co_u32 v5, vcc_lo, s10, v5
	s_delay_alu instid0(VALU_DEP_2)
	v_fma_f32 v3, s6, v15, -v3
	s_wait_alu 0xfffd
	v_add_co_ci_u32_e64 v6, null, s11, v6, vcc_lo
	global_store_b64 v[5:6], v[3:4], off
	s_wait_alu 0xfffe
	s_or_b32 exec_lo, exec_lo, s2
	s_and_saveexec_b32 s2, s4
	s_cbranch_execz .LBB44_3
.LBB44_17:                              ;   in Loop: Header=BB44_4 Depth=1
	scratch_load_b64 v[3:4], off, off
	v_add_co_u32 v5, vcc_lo, s10, v13
	s_wait_alu 0xfffd
	v_add_co_ci_u32_e64 v6, null, s11, v14, vcc_lo
	s_wait_loadcnt 0x0
	global_store_b64 v[5:6], v[3:4], off
	s_branch .LBB44_3
.LBB44_18:
	s_mov_b32 s2, 0
.LBB44_19:
	s_wait_alu 0xfffe
	s_and_not1_b32 vcc_lo, exec_lo, s2
	s_wait_alu 0xfffe
	s_cbranch_vccnz .LBB44_23
; %bb.20:
	v_cmp_gt_i64_e64 s2, 0x10000, s[12:13]
	v_dual_mov_b32 v2, 0 :: v_dual_lshlrev_b32 v1, 2, v0
	s_mov_b32 s5, 0
	s_mov_b32 s4, exec_lo
	s_and_b32 s2, s2, exec_lo
	s_cselect_b32 s3, s13, 0
	s_cselect_b32 s2, s12, 0x10000
	s_wait_alu 0xfffe
	v_cmpx_gt_i64_e64 s[2:3], v[1:2]
	s_cbranch_execz .LBB44_23
; %bb.21:
	s_load_b32 s0, s[0:1], 0xc64
	v_dual_mov_b32 v1, v2 :: v_dual_lshlrev_b32 v2, 5, v0
	s_mov_b32 s1, s5
	s_wait_kmcnt 0x0
	s_and_b32 s0, s0, 0xffff
	s_delay_alu instid0(SALU_CYCLE_1)
	s_lshl_b32 s4, s0, 5
.LBB44_22:                              ; =>This Inner Loop Header: Depth=1
	v_add_co_u32 v7, s12, s8, v2
	s_wait_alu 0xf1ff
	v_add_co_ci_u32_e64 v8, null, s9, 0, s12
	v_add_co_u32 v0, vcc_lo, v0, s0
	s_wait_alu 0xfffd
	v_add_co_ci_u32_e64 v1, null, 0, v1, vcc_lo
	s_clause 0x1
	global_load_b128 v[3:6], v[7:8], off
	global_load_b128 v[7:10], v[7:8], off offset:16
	v_add_co_u32 v14, s12, s10, v2
	v_lshlrev_b64_e32 v[11:12], 2, v[0:1]
	s_wait_alu 0xf1ff
	v_add_co_ci_u32_e64 v15, null, s11, 0, s12
	s_wait_alu 0xfffe
	s_add_nc_u64 s[10:11], s[10:11], s[4:5]
	s_add_nc_u64 s[8:9], s[8:9], s[4:5]
	v_cmp_le_i64_e32 vcc_lo, s[2:3], v[11:12]
	s_or_b32 s1, vcc_lo, s1
	s_wait_loadcnt 0x1
	v_dual_mul_f32 v12, s7, v4 :: v_dual_mul_f32 v13, s6, v6
	v_dual_mul_f32 v11, s6, v4 :: v_dual_mul_f32 v16, s7, v6
	s_wait_loadcnt 0x0
	v_mul_f32_e32 v17, s7, v8
	v_mul_f32_e32 v4, s6, v8
	;; [unrolled: 1-line block ×3, first 2 shown]
	v_dual_mul_f32 v6, s6, v10 :: v_dual_fmac_f32 v13, s7, v5
	v_fma_f32 v10, v3, s6, -v12
	v_fmac_f32_e32 v11, s7, v3
	v_fma_f32 v12, v5, s6, -v16
	v_fma_f32 v5, s6, v9, -v8
	v_fmac_f32_e32 v6, s7, v9
	v_fma_f32 v3, v7, s6, -v17
	v_fmac_f32_e32 v4, s7, v7
	scratch_store_b64 off, v[5:6], off
	s_clause 0x1
	global_store_b128 v[14:15], v[10:13], off
	global_store_b128 v[14:15], v[3:6], off offset:16
	s_wait_alu 0xfffe
	s_and_not1_b32 exec_lo, exec_lo, s1
	s_cbranch_execnz .LBB44_22
.LBB44_23:
	s_endpgm
	.section	.rodata,"a",@progbits
	.p2align	6, 0x0
	.amdhsa_kernel _ZN2at6native12_GLOBAL__N_125multi_tensor_apply_kernelINS1_18TensorListMetadataILi2EEENS1_21BinaryOpScalarFunctorIN3c107complexIfEELi2ELi1ELi1EEEJSt10multipliesIS8_ES8_EEEvT_T0_DpT1_
		.amdhsa_group_segment_fixed_size 0
		.amdhsa_private_segment_fixed_size 16
		.amdhsa_kernarg_size 3416
		.amdhsa_user_sgpr_count 2
		.amdhsa_user_sgpr_dispatch_ptr 0
		.amdhsa_user_sgpr_queue_ptr 0
		.amdhsa_user_sgpr_kernarg_segment_ptr 1
		.amdhsa_user_sgpr_dispatch_id 0
		.amdhsa_user_sgpr_private_segment_size 0
		.amdhsa_wavefront_size32 1
		.amdhsa_uses_dynamic_stack 0
		.amdhsa_enable_private_segment 1
		.amdhsa_system_sgpr_workgroup_id_x 1
		.amdhsa_system_sgpr_workgroup_id_y 0
		.amdhsa_system_sgpr_workgroup_id_z 0
		.amdhsa_system_sgpr_workgroup_info 0
		.amdhsa_system_vgpr_workitem_id 0
		.amdhsa_next_free_vgpr 21
		.amdhsa_next_free_sgpr 26
		.amdhsa_reserve_vcc 1
		.amdhsa_float_round_mode_32 0
		.amdhsa_float_round_mode_16_64 0
		.amdhsa_float_denorm_mode_32 3
		.amdhsa_float_denorm_mode_16_64 3
		.amdhsa_fp16_overflow 0
		.amdhsa_workgroup_processor_mode 1
		.amdhsa_memory_ordered 1
		.amdhsa_forward_progress 1
		.amdhsa_inst_pref_size 12
		.amdhsa_round_robin_scheduling 0
		.amdhsa_exception_fp_ieee_invalid_op 0
		.amdhsa_exception_fp_denorm_src 0
		.amdhsa_exception_fp_ieee_div_zero 0
		.amdhsa_exception_fp_ieee_overflow 0
		.amdhsa_exception_fp_ieee_underflow 0
		.amdhsa_exception_fp_ieee_inexact 0
		.amdhsa_exception_int_div_zero 0
	.end_amdhsa_kernel
	.section	.text._ZN2at6native12_GLOBAL__N_125multi_tensor_apply_kernelINS1_18TensorListMetadataILi2EEENS1_21BinaryOpScalarFunctorIN3c107complexIfEELi2ELi1ELi1EEEJSt10multipliesIS8_ES8_EEEvT_T0_DpT1_,"axG",@progbits,_ZN2at6native12_GLOBAL__N_125multi_tensor_apply_kernelINS1_18TensorListMetadataILi2EEENS1_21BinaryOpScalarFunctorIN3c107complexIfEELi2ELi1ELi1EEEJSt10multipliesIS8_ES8_EEEvT_T0_DpT1_,comdat
.Lfunc_end44:
	.size	_ZN2at6native12_GLOBAL__N_125multi_tensor_apply_kernelINS1_18TensorListMetadataILi2EEENS1_21BinaryOpScalarFunctorIN3c107complexIfEELi2ELi1ELi1EEEJSt10multipliesIS8_ES8_EEEvT_T0_DpT1_, .Lfunc_end44-_ZN2at6native12_GLOBAL__N_125multi_tensor_apply_kernelINS1_18TensorListMetadataILi2EEENS1_21BinaryOpScalarFunctorIN3c107complexIfEELi2ELi1ELi1EEEJSt10multipliesIS8_ES8_EEEvT_T0_DpT1_
                                        ; -- End function
	.set _ZN2at6native12_GLOBAL__N_125multi_tensor_apply_kernelINS1_18TensorListMetadataILi2EEENS1_21BinaryOpScalarFunctorIN3c107complexIfEELi2ELi1ELi1EEEJSt10multipliesIS8_ES8_EEEvT_T0_DpT1_.num_vgpr, 21
	.set _ZN2at6native12_GLOBAL__N_125multi_tensor_apply_kernelINS1_18TensorListMetadataILi2EEENS1_21BinaryOpScalarFunctorIN3c107complexIfEELi2ELi1ELi1EEEJSt10multipliesIS8_ES8_EEEvT_T0_DpT1_.num_agpr, 0
	.set _ZN2at6native12_GLOBAL__N_125multi_tensor_apply_kernelINS1_18TensorListMetadataILi2EEENS1_21BinaryOpScalarFunctorIN3c107complexIfEELi2ELi1ELi1EEEJSt10multipliesIS8_ES8_EEEvT_T0_DpT1_.numbered_sgpr, 26
	.set _ZN2at6native12_GLOBAL__N_125multi_tensor_apply_kernelINS1_18TensorListMetadataILi2EEENS1_21BinaryOpScalarFunctorIN3c107complexIfEELi2ELi1ELi1EEEJSt10multipliesIS8_ES8_EEEvT_T0_DpT1_.num_named_barrier, 0
	.set _ZN2at6native12_GLOBAL__N_125multi_tensor_apply_kernelINS1_18TensorListMetadataILi2EEENS1_21BinaryOpScalarFunctorIN3c107complexIfEELi2ELi1ELi1EEEJSt10multipliesIS8_ES8_EEEvT_T0_DpT1_.private_seg_size, 16
	.set _ZN2at6native12_GLOBAL__N_125multi_tensor_apply_kernelINS1_18TensorListMetadataILi2EEENS1_21BinaryOpScalarFunctorIN3c107complexIfEELi2ELi1ELi1EEEJSt10multipliesIS8_ES8_EEEvT_T0_DpT1_.uses_vcc, 1
	.set _ZN2at6native12_GLOBAL__N_125multi_tensor_apply_kernelINS1_18TensorListMetadataILi2EEENS1_21BinaryOpScalarFunctorIN3c107complexIfEELi2ELi1ELi1EEEJSt10multipliesIS8_ES8_EEEvT_T0_DpT1_.uses_flat_scratch, 0
	.set _ZN2at6native12_GLOBAL__N_125multi_tensor_apply_kernelINS1_18TensorListMetadataILi2EEENS1_21BinaryOpScalarFunctorIN3c107complexIfEELi2ELi1ELi1EEEJSt10multipliesIS8_ES8_EEEvT_T0_DpT1_.has_dyn_sized_stack, 0
	.set _ZN2at6native12_GLOBAL__N_125multi_tensor_apply_kernelINS1_18TensorListMetadataILi2EEENS1_21BinaryOpScalarFunctorIN3c107complexIfEELi2ELi1ELi1EEEJSt10multipliesIS8_ES8_EEEvT_T0_DpT1_.has_recursion, 0
	.set _ZN2at6native12_GLOBAL__N_125multi_tensor_apply_kernelINS1_18TensorListMetadataILi2EEENS1_21BinaryOpScalarFunctorIN3c107complexIfEELi2ELi1ELi1EEEJSt10multipliesIS8_ES8_EEEvT_T0_DpT1_.has_indirect_call, 0
	.section	.AMDGPU.csdata,"",@progbits
; Kernel info:
; codeLenInByte = 1480
; TotalNumSgprs: 28
; NumVgprs: 21
; ScratchSize: 16
; MemoryBound: 0
; FloatMode: 240
; IeeeMode: 1
; LDSByteSize: 0 bytes/workgroup (compile time only)
; SGPRBlocks: 0
; VGPRBlocks: 2
; NumSGPRsForWavesPerEU: 28
; NumVGPRsForWavesPerEU: 21
; Occupancy: 16
; WaveLimiterHint : 0
; COMPUTE_PGM_RSRC2:SCRATCH_EN: 1
; COMPUTE_PGM_RSRC2:USER_SGPR: 2
; COMPUTE_PGM_RSRC2:TRAP_HANDLER: 0
; COMPUTE_PGM_RSRC2:TGID_X_EN: 1
; COMPUTE_PGM_RSRC2:TGID_Y_EN: 0
; COMPUTE_PGM_RSRC2:TGID_Z_EN: 0
; COMPUTE_PGM_RSRC2:TIDIG_COMP_CNT: 0
	.section	.text._ZN2at6native12_GLOBAL__N_125multi_tensor_apply_kernelINS1_18TensorListMetadataILi2EEENS1_21BinaryOpScalarFunctorIbLi2ELi1ELi1EEEJSt10multipliesIbEbEEEvT_T0_DpT1_,"axG",@progbits,_ZN2at6native12_GLOBAL__N_125multi_tensor_apply_kernelINS1_18TensorListMetadataILi2EEENS1_21BinaryOpScalarFunctorIbLi2ELi1ELi1EEEJSt10multipliesIbEbEEEvT_T0_DpT1_,comdat
	.globl	_ZN2at6native12_GLOBAL__N_125multi_tensor_apply_kernelINS1_18TensorListMetadataILi2EEENS1_21BinaryOpScalarFunctorIbLi2ELi1ELi1EEEJSt10multipliesIbEbEEEvT_T0_DpT1_ ; -- Begin function _ZN2at6native12_GLOBAL__N_125multi_tensor_apply_kernelINS1_18TensorListMetadataILi2EEENS1_21BinaryOpScalarFunctorIbLi2ELi1ELi1EEEJSt10multipliesIbEbEEEvT_T0_DpT1_
	.p2align	8
	.type	_ZN2at6native12_GLOBAL__N_125multi_tensor_apply_kernelINS1_18TensorListMetadataILi2EEENS1_21BinaryOpScalarFunctorIbLi2ELi1ELi1EEEJSt10multipliesIbEbEEEvT_T0_DpT1_,@function
_ZN2at6native12_GLOBAL__N_125multi_tensor_apply_kernelINS1_18TensorListMetadataILi2EEENS1_21BinaryOpScalarFunctorIbLi2ELi1ELi1EEEJSt10multipliesIbEbEEEvT_T0_DpT1_: ; @_ZN2at6native12_GLOBAL__N_125multi_tensor_apply_kernelINS1_18TensorListMetadataILi2EEENS1_21BinaryOpScalarFunctorIbLi2ELi1ELi1EEEJSt10multipliesIbEbEEEvT_T0_DpT1_
; %bb.0:
	s_clause 0x1
	s_load_b32 s6, s[0:1], 0xc48
	s_load_u8 s7, s[0:1], ttmp9 offset:0x600
	s_mov_b32 s2, ttmp9
	s_mov_b32 s3, 0
	s_delay_alu instid0(SALU_CYCLE_1) | instskip(SKIP_1) | instid1(SALU_CYCLE_1)
	s_mul_u64 s[4:5], s[2:3], 3
	s_add_nc_u64 s[2:3], s[0:1], s[2:3]
	s_add_nc_u64 s[2:3], s[2:3], s[4:5]
	s_load_b32 s2, s[2:3], 0x740
	s_wait_kmcnt 0x0
	s_bitcmp1_b32 s6, 16
	s_cselect_b32 s22, -1, 0
	s_lshl_b32 s3, s7, 3
	s_clause 0x2
	s_load_b64 s[4:5], s[0:1], s3 offset:0x400
	s_load_b64 s[6:7], s[0:1], s3 offset:0x0
	;; [unrolled: 1-line block ×3, first 2 shown]
	s_ashr_i32 s3, s2, 31
	s_delay_alu instid0(SALU_CYCLE_1) | instskip(SKIP_4) | instid1(SALU_CYCLE_1)
	s_lshl_b64 s[10:11], s[2:3], 16
	s_wait_kmcnt 0x0
	s_sub_nc_u64 s[12:13], s[4:5], s[10:11]
	s_add_nc_u64 s[2:3], s[6:7], s[10:11]
	s_or_b32 s3, s4, s8
	s_or_b32 s2, s3, s2
	s_delay_alu instid0(SALU_CYCLE_1) | instskip(NEXT) | instid1(SALU_CYCLE_1)
	s_and_b32 s2, s2, 3
	s_cmp_eq_u32 s2, 0
	s_mov_b32 s2, -1
	s_cbranch_scc1 .LBB45_21
; %bb.1:
	v_cmp_lt_i64_e64 s2, s[12:13], 1
	s_and_b32 vcc_lo, exec_lo, s2
	s_cbranch_vccnz .LBB45_20
; %bb.2:
	s_load_b32 s2, s[0:1], 0xc5c
	v_cmp_gt_i64_e64 s4, 0x10000, s[12:13]
	v_cmp_gt_u64_e64 s5, 0x10000, s[12:13]
	s_mov_b32 s19, 0
	v_add_co_u32 v15, s3, s10, v0
	s_delay_alu instid0(VALU_DEP_1)
	v_add_co_ci_u32_e64 v16, null, s11, 0, s3
	s_and_b32 s4, s4, exec_lo
	s_cselect_b32 s15, s13, 0
	s_cselect_b32 s14, s12, 0x10000
	s_mov_b32 s3, s19
	v_add_co_u32 v1, vcc_lo, s6, v15
	s_delay_alu instid0(VALU_DEP_1)
	v_add_co_ci_u32_e64 v2, null, s7, v16, vcc_lo
	v_add_co_u32 v3, vcc_lo, s8, v15
	s_wait_alu 0xfffd
	v_add_co_ci_u32_e64 v4, null, s9, v16, vcc_lo
	s_wait_kmcnt 0x0
	s_and_b32 s20, s2, 0xffff
	s_and_b32 s2, s5, exec_lo
	s_mul_i32 s2, s20, 3
	s_cselect_b32 s17, s13, 0
	s_wait_alu 0xfffe
	s_add_nc_u64 s[4:5], s[10:11], s[2:3]
	s_cselect_b32 s16, s12, 0x10000
	s_lshl_b32 s18, s20, 1
	v_add_co_u32 v7, s3, s4, v0
	s_wait_alu 0xf1ff
	v_add_co_ci_u32_e64 v8, null, s5, 0, s3
	s_add_nc_u64 s[4:5], s[10:11], s[18:19]
	v_add_co_u32 v5, vcc_lo, s6, v7
	s_wait_alu 0xfffe
	v_add_co_u32 v13, s3, s4, v0
	s_wait_alu 0xf1ff
	v_add_co_ci_u32_e64 v14, null, s5, 0, s3
	s_wait_alu 0xfffd
	v_add_co_ci_u32_e64 v6, null, s7, v8, vcc_lo
	v_add_co_u32 v7, vcc_lo, s8, v7
	s_wait_alu 0xfffd
	v_add_co_ci_u32_e64 v8, null, s9, v8, vcc_lo
	v_add_co_u32 v11, vcc_lo, s6, v13
	;; [unrolled: 3-line block ×4, first 2 shown]
	s_wait_alu 0xfffd
	v_add_co_ci_u32_e64 v20, null, 0, v16, vcc_lo
	v_add_co_u32 v9, s2, s2, v0
	s_wait_alu 0xf1ff
	v_add_co_ci_u32_e64 v10, null, 0, 0, s2
	v_add_co_u32 v15, s2, s18, v0
	v_add_co_u32 v17, vcc_lo, s6, v19
	s_wait_alu 0xf1ff
	v_add_co_ci_u32_e64 v16, null, 0, 0, s2
	s_wait_alu 0xfffd
	v_add_co_ci_u32_e64 v18, null, s7, v20, vcc_lo
	v_add_co_u32 v19, vcc_lo, s8, v19
	v_add_co_u32 v21, s2, v0, s20
	s_wait_alu 0xfffd
	v_add_co_ci_u32_e64 v20, null, s9, v20, vcc_lo
	s_wait_alu 0xf1ff
	v_add_co_ci_u32_e64 v22, null, 0, 0, s2
	s_lshl_b32 s18, s20, 2
	s_mov_b64 s[20:21], 0
	s_branch .LBB45_4
.LBB45_3:                               ;   in Loop: Header=BB45_4 Depth=1
	s_wait_alu 0xfffe
	s_or_b32 exec_lo, exec_lo, s2
	s_add_nc_u64 s[20:21], s[20:21], s[18:19]
	s_wait_alu 0xfffe
	v_cmp_lt_i64_e64 s2, s[20:21], s[14:15]
	s_and_b32 vcc_lo, exec_lo, s2
	s_wait_alu 0xfffe
	s_cbranch_vccz .LBB45_20
.LBB45_4:                               ; =>This Inner Loop Header: Depth=1
	s_wait_alu 0xfffe
	v_add_co_u32 v23, s2, v0, s20
	s_wait_alu 0xf1ff
	v_add_co_ci_u32_e64 v24, null, 0, s21, s2
	s_mov_b32 s24, 0
	v_cmp_gt_u64_e32 vcc_lo, s[16:17], v[23:24]
	s_and_saveexec_b32 s3, vcc_lo
	s_cbranch_execz .LBB45_6
; %bb.5:                                ;   in Loop: Header=BB45_4 Depth=1
	v_add_co_u32 v23, s2, v1, s20
	s_wait_alu 0xf1ff
	v_add_co_ci_u32_e64 v24, null, s21, v2, s2
	global_load_u8 v23, v[23:24], off
	s_wait_loadcnt 0x0
	v_cmp_ne_u16_e64 s2, 0, v23
	s_and_b32 s24, s2, exec_lo
.LBB45_6:                               ;   in Loop: Header=BB45_4 Depth=1
	s_wait_alu 0xfffe
	s_or_b32 exec_lo, exec_lo, s3
	v_add_co_u32 v23, s2, v21, s20
	s_wait_alu 0xf1ff
	v_add_co_ci_u32_e64 v24, null, s21, v22, s2
	s_mov_b32 s23, 0
	s_mov_b32 s25, 0
	v_cmp_gt_u64_e64 s2, s[16:17], v[23:24]
	s_and_saveexec_b32 s4, s2
	s_cbranch_execz .LBB45_8
; %bb.7:                                ;   in Loop: Header=BB45_4 Depth=1
	v_add_co_u32 v23, s3, v17, s20
	s_wait_alu 0xf1ff
	v_add_co_ci_u32_e64 v24, null, s21, v18, s3
	global_load_u8 v23, v[23:24], off
	s_wait_loadcnt 0x0
	v_cmp_ne_u16_e64 s3, 0, v23
	s_and_b32 s25, s3, exec_lo
.LBB45_8:                               ;   in Loop: Header=BB45_4 Depth=1
	s_wait_alu 0xfffe
	s_or_b32 exec_lo, exec_lo, s4
	v_add_co_u32 v23, s3, v15, s20
	s_wait_alu 0xf1ff
	v_add_co_ci_u32_e64 v24, null, s21, v16, s3
	s_delay_alu instid0(VALU_DEP_1)
	v_cmp_gt_u64_e64 s3, s[16:17], v[23:24]
	s_and_saveexec_b32 s5, s3
	s_cbranch_execz .LBB45_10
; %bb.9:                                ;   in Loop: Header=BB45_4 Depth=1
	v_add_co_u32 v23, s4, v11, s20
	s_wait_alu 0xf1ff
	v_add_co_ci_u32_e64 v24, null, s21, v12, s4
	global_load_u8 v23, v[23:24], off
	s_wait_loadcnt 0x0
	v_cmp_ne_u16_e64 s4, 0, v23
	s_and_b32 s23, s4, exec_lo
.LBB45_10:                              ;   in Loop: Header=BB45_4 Depth=1
	s_wait_alu 0xfffe
	s_or_b32 exec_lo, exec_lo, s5
	v_add_co_u32 v23, s4, v9, s20
	s_wait_alu 0xf1ff
	v_add_co_ci_u32_e64 v24, null, s21, v10, s4
	s_mov_b32 s5, 0
	v_cmp_gt_u64_e64 s4, s[16:17], v[23:24]
	s_and_saveexec_b32 s26, s4
	s_cbranch_execnz .LBB45_15
; %bb.11:                               ;   in Loop: Header=BB45_4 Depth=1
	s_or_b32 exec_lo, exec_lo, s26
	s_and_saveexec_b32 s26, vcc_lo
	s_cbranch_execnz .LBB45_16
.LBB45_12:                              ;   in Loop: Header=BB45_4 Depth=1
	s_or_b32 exec_lo, exec_lo, s26
	s_and_saveexec_b32 s24, s2
	s_cbranch_execnz .LBB45_17
.LBB45_13:                              ;   in Loop: Header=BB45_4 Depth=1
	s_wait_alu 0xfffe
	s_or_b32 exec_lo, exec_lo, s24
	s_and_saveexec_b32 s2, s3
	s_cbranch_execnz .LBB45_18
.LBB45_14:                              ;   in Loop: Header=BB45_4 Depth=1
	s_wait_alu 0xfffe
	s_or_b32 exec_lo, exec_lo, s2
	s_and_saveexec_b32 s2, s4
	s_cbranch_execz .LBB45_3
	s_branch .LBB45_19
.LBB45_15:                              ;   in Loop: Header=BB45_4 Depth=1
	v_add_co_u32 v23, s5, v5, s20
	s_wait_alu 0xf1fe
	v_add_co_ci_u32_e64 v24, null, s21, v6, s5
	global_load_u8 v23, v[23:24], off
	s_wait_loadcnt 0x0
	v_cmp_ne_u16_e64 s5, 0, v23
	s_and_b32 s5, s5, exec_lo
	s_or_b32 exec_lo, exec_lo, s26
	s_and_saveexec_b32 s26, vcc_lo
	s_cbranch_execz .LBB45_12
.LBB45_16:                              ;   in Loop: Header=BB45_4 Depth=1
	s_and_b32 s24, s22, s24
	v_add_co_u32 v23, vcc_lo, v3, s20
	s_wait_alu 0xfffe
	v_cndmask_b32_e64 v25, 0, 1, s24
	s_wait_alu 0xfffd
	v_add_co_ci_u32_e64 v24, null, s21, v4, vcc_lo
	global_store_b8 v[23:24], v25, off
	s_or_b32 exec_lo, exec_lo, s26
	s_and_saveexec_b32 s24, s2
	s_cbranch_execz .LBB45_13
.LBB45_17:                              ;   in Loop: Header=BB45_4 Depth=1
	s_and_b32 s2, s22, s25
	v_add_co_u32 v23, vcc_lo, v19, s20
	s_wait_alu 0xfffe
	v_cndmask_b32_e64 v25, 0, 1, s2
	s_wait_alu 0xfffd
	v_add_co_ci_u32_e64 v24, null, s21, v20, vcc_lo
	global_store_b8 v[23:24], v25, off
	s_or_b32 exec_lo, exec_lo, s24
	s_and_saveexec_b32 s2, s3
	s_cbranch_execz .LBB45_14
.LBB45_18:                              ;   in Loop: Header=BB45_4 Depth=1
	s_and_b32 s3, s22, s23
	v_add_co_u32 v23, vcc_lo, v13, s20
	s_wait_alu 0xfffe
	v_cndmask_b32_e64 v25, 0, 1, s3
	s_wait_alu 0xfffd
	v_add_co_ci_u32_e64 v24, null, s21, v14, vcc_lo
	global_store_b8 v[23:24], v25, off
	s_or_b32 exec_lo, exec_lo, s2
	s_and_saveexec_b32 s2, s4
	s_cbranch_execz .LBB45_3
.LBB45_19:                              ;   in Loop: Header=BB45_4 Depth=1
	s_and_b32 s3, s22, s5
	v_add_co_u32 v23, vcc_lo, v7, s20
	s_wait_alu 0xfffe
	v_cndmask_b32_e64 v25, 0, 1, s3
	s_wait_alu 0xfffd
	v_add_co_ci_u32_e64 v24, null, s21, v8, vcc_lo
	global_store_b8 v[23:24], v25, off
	s_branch .LBB45_3
.LBB45_20:
	s_mov_b32 s2, 0
.LBB45_21:
	s_wait_alu 0xfffe
	s_and_not1_b32 vcc_lo, exec_lo, s2
	s_wait_alu 0xfffe
	s_cbranch_vccnz .LBB45_25
; %bb.22:
	v_cmp_gt_i64_e64 s2, 0x10000, s[12:13]
	v_dual_mov_b32 v3, 0 :: v_dual_lshlrev_b32 v2, 2, v0
	s_mov_b32 s3, 0
	s_and_b32 s2, s2, exec_lo
	s_cselect_b32 s5, s13, 0
	s_cselect_b32 s4, s12, 0x10000
	s_mov_b32 s2, exec_lo
	s_wait_alu 0xfffe
	v_cmpx_gt_i64_e64 s[4:5], v[2:3]
	s_cbranch_execz .LBB45_25
; %bb.23:
	s_load_b32 s0, s[0:1], 0xc5c
	v_add_co_u32 v2, s1, s10, v2
	v_mov_b32_e32 v1, v3
	v_add_co_ci_u32_e64 v3, null, s11, 0, s1
	s_wait_kmcnt 0x0
	s_and_b32 s10, s0, 0xffff
	s_wait_alu 0xfffe
	s_lshl_b32 s11, s10, 2
.LBB45_24:                              ; =>This Inner Loop Header: Depth=1
	v_add_co_u32 v4, vcc_lo, s6, v2
	s_wait_alu 0xfffd
	v_add_co_ci_u32_e64 v5, null, s7, v3, vcc_lo
	v_add_co_u32 v0, vcc_lo, v0, s10
	s_wait_alu 0xfffd
	v_add_co_ci_u32_e64 v1, null, 0, v1, vcc_lo
	global_load_b32 v4, v[4:5], off
	s_wait_loadcnt 0x0
	v_and_b32_e32 v5, 0xff00, v4
	v_and_b32_e32 v6, 0xff, v4
	;; [unrolled: 1-line block ×3, first 2 shown]
	v_cmp_lt_u32_e32 vcc_lo, 0xffffff, v4
	s_delay_alu instid0(VALU_DEP_4) | instskip(NEXT) | instid1(VALU_DEP_4)
	v_cmp_ne_u32_e64 s0, 0, v5
	v_cmp_ne_u32_e64 s1, 0, v6
	s_delay_alu instid0(VALU_DEP_4)
	v_cmp_ne_u32_e64 s2, 0, v7
	s_and_b32 s12, s22, vcc_lo
	v_lshlrev_b64_e32 v[6:7], 2, v[0:1]
	s_and_b32 s0, s22, s0
	s_wait_alu 0xfffe
	v_cndmask_b32_e64 v4, 0, 1, s12
	v_cndmask_b32_e64 v5, 0, 1, s0
	s_and_b32 s0, s22, s1
	s_wait_alu 0xfffe
	v_cndmask_b32_e64 v8, 0, 1, s0
	s_and_b32 s0, s22, s2
	v_lshlrev_b16 v10, 8, v4
	s_wait_alu 0xfffe
	v_cndmask_b32_e64 v9, 0, 1, s0
	v_lshlrev_b16 v5, 8, v5
	v_add_co_u32 v4, vcc_lo, s8, v2
	v_add_co_u32 v2, s0, v2, s11
	s_delay_alu instid0(VALU_DEP_4) | instskip(NEXT) | instid1(VALU_DEP_4)
	v_or_b32_e32 v9, v9, v10
	v_or_b32_e32 v8, v8, v5
	s_wait_alu 0xfffd
	v_add_co_ci_u32_e64 v5, null, s9, v3, vcc_lo
	v_cmp_le_i64_e32 vcc_lo, s[4:5], v[6:7]
	v_lshlrev_b32_e32 v9, 16, v9
	v_and_b32_e32 v8, 0xffff, v8
	s_wait_alu 0xf1ff
	v_add_co_ci_u32_e64 v3, null, 0, v3, s0
	s_or_b32 s3, vcc_lo, s3
	v_or_b32_e32 v6, v8, v9
	global_store_b32 v[4:5], v6, off
	s_wait_alu 0xfffe
	s_and_not1_b32 exec_lo, exec_lo, s3
	s_cbranch_execnz .LBB45_24
.LBB45_25:
	s_endpgm
	.section	.rodata,"a",@progbits
	.p2align	6, 0x0
	.amdhsa_kernel _ZN2at6native12_GLOBAL__N_125multi_tensor_apply_kernelINS1_18TensorListMetadataILi2EEENS1_21BinaryOpScalarFunctorIbLi2ELi1ELi1EEEJSt10multipliesIbEbEEEvT_T0_DpT1_
		.amdhsa_group_segment_fixed_size 0
		.amdhsa_private_segment_fixed_size 0
		.amdhsa_kernarg_size 3408
		.amdhsa_user_sgpr_count 2
		.amdhsa_user_sgpr_dispatch_ptr 0
		.amdhsa_user_sgpr_queue_ptr 0
		.amdhsa_user_sgpr_kernarg_segment_ptr 1
		.amdhsa_user_sgpr_dispatch_id 0
		.amdhsa_user_sgpr_private_segment_size 0
		.amdhsa_wavefront_size32 1
		.amdhsa_uses_dynamic_stack 0
		.amdhsa_enable_private_segment 0
		.amdhsa_system_sgpr_workgroup_id_x 1
		.amdhsa_system_sgpr_workgroup_id_y 0
		.amdhsa_system_sgpr_workgroup_id_z 0
		.amdhsa_system_sgpr_workgroup_info 0
		.amdhsa_system_vgpr_workitem_id 0
		.amdhsa_next_free_vgpr 26
		.amdhsa_next_free_sgpr 27
		.amdhsa_reserve_vcc 1
		.amdhsa_float_round_mode_32 0
		.amdhsa_float_round_mode_16_64 0
		.amdhsa_float_denorm_mode_32 3
		.amdhsa_float_denorm_mode_16_64 3
		.amdhsa_fp16_overflow 0
		.amdhsa_workgroup_processor_mode 1
		.amdhsa_memory_ordered 1
		.amdhsa_forward_progress 1
		.amdhsa_inst_pref_size 14
		.amdhsa_round_robin_scheduling 0
		.amdhsa_exception_fp_ieee_invalid_op 0
		.amdhsa_exception_fp_denorm_src 0
		.amdhsa_exception_fp_ieee_div_zero 0
		.amdhsa_exception_fp_ieee_overflow 0
		.amdhsa_exception_fp_ieee_underflow 0
		.amdhsa_exception_fp_ieee_inexact 0
		.amdhsa_exception_int_div_zero 0
	.end_amdhsa_kernel
	.section	.text._ZN2at6native12_GLOBAL__N_125multi_tensor_apply_kernelINS1_18TensorListMetadataILi2EEENS1_21BinaryOpScalarFunctorIbLi2ELi1ELi1EEEJSt10multipliesIbEbEEEvT_T0_DpT1_,"axG",@progbits,_ZN2at6native12_GLOBAL__N_125multi_tensor_apply_kernelINS1_18TensorListMetadataILi2EEENS1_21BinaryOpScalarFunctorIbLi2ELi1ELi1EEEJSt10multipliesIbEbEEEvT_T0_DpT1_,comdat
.Lfunc_end45:
	.size	_ZN2at6native12_GLOBAL__N_125multi_tensor_apply_kernelINS1_18TensorListMetadataILi2EEENS1_21BinaryOpScalarFunctorIbLi2ELi1ELi1EEEJSt10multipliesIbEbEEEvT_T0_DpT1_, .Lfunc_end45-_ZN2at6native12_GLOBAL__N_125multi_tensor_apply_kernelINS1_18TensorListMetadataILi2EEENS1_21BinaryOpScalarFunctorIbLi2ELi1ELi1EEEJSt10multipliesIbEbEEEvT_T0_DpT1_
                                        ; -- End function
	.set _ZN2at6native12_GLOBAL__N_125multi_tensor_apply_kernelINS1_18TensorListMetadataILi2EEENS1_21BinaryOpScalarFunctorIbLi2ELi1ELi1EEEJSt10multipliesIbEbEEEvT_T0_DpT1_.num_vgpr, 26
	.set _ZN2at6native12_GLOBAL__N_125multi_tensor_apply_kernelINS1_18TensorListMetadataILi2EEENS1_21BinaryOpScalarFunctorIbLi2ELi1ELi1EEEJSt10multipliesIbEbEEEvT_T0_DpT1_.num_agpr, 0
	.set _ZN2at6native12_GLOBAL__N_125multi_tensor_apply_kernelINS1_18TensorListMetadataILi2EEENS1_21BinaryOpScalarFunctorIbLi2ELi1ELi1EEEJSt10multipliesIbEbEEEvT_T0_DpT1_.numbered_sgpr, 27
	.set _ZN2at6native12_GLOBAL__N_125multi_tensor_apply_kernelINS1_18TensorListMetadataILi2EEENS1_21BinaryOpScalarFunctorIbLi2ELi1ELi1EEEJSt10multipliesIbEbEEEvT_T0_DpT1_.num_named_barrier, 0
	.set _ZN2at6native12_GLOBAL__N_125multi_tensor_apply_kernelINS1_18TensorListMetadataILi2EEENS1_21BinaryOpScalarFunctorIbLi2ELi1ELi1EEEJSt10multipliesIbEbEEEvT_T0_DpT1_.private_seg_size, 0
	.set _ZN2at6native12_GLOBAL__N_125multi_tensor_apply_kernelINS1_18TensorListMetadataILi2EEENS1_21BinaryOpScalarFunctorIbLi2ELi1ELi1EEEJSt10multipliesIbEbEEEvT_T0_DpT1_.uses_vcc, 1
	.set _ZN2at6native12_GLOBAL__N_125multi_tensor_apply_kernelINS1_18TensorListMetadataILi2EEENS1_21BinaryOpScalarFunctorIbLi2ELi1ELi1EEEJSt10multipliesIbEbEEEvT_T0_DpT1_.uses_flat_scratch, 0
	.set _ZN2at6native12_GLOBAL__N_125multi_tensor_apply_kernelINS1_18TensorListMetadataILi2EEENS1_21BinaryOpScalarFunctorIbLi2ELi1ELi1EEEJSt10multipliesIbEbEEEvT_T0_DpT1_.has_dyn_sized_stack, 0
	.set _ZN2at6native12_GLOBAL__N_125multi_tensor_apply_kernelINS1_18TensorListMetadataILi2EEENS1_21BinaryOpScalarFunctorIbLi2ELi1ELi1EEEJSt10multipliesIbEbEEEvT_T0_DpT1_.has_recursion, 0
	.set _ZN2at6native12_GLOBAL__N_125multi_tensor_apply_kernelINS1_18TensorListMetadataILi2EEENS1_21BinaryOpScalarFunctorIbLi2ELi1ELi1EEEJSt10multipliesIbEbEEEvT_T0_DpT1_.has_indirect_call, 0
	.section	.AMDGPU.csdata,"",@progbits
; Kernel info:
; codeLenInByte = 1736
; TotalNumSgprs: 29
; NumVgprs: 26
; ScratchSize: 0
; MemoryBound: 0
; FloatMode: 240
; IeeeMode: 1
; LDSByteSize: 0 bytes/workgroup (compile time only)
; SGPRBlocks: 0
; VGPRBlocks: 3
; NumSGPRsForWavesPerEU: 29
; NumVGPRsForWavesPerEU: 26
; Occupancy: 16
; WaveLimiterHint : 0
; COMPUTE_PGM_RSRC2:SCRATCH_EN: 0
; COMPUTE_PGM_RSRC2:USER_SGPR: 2
; COMPUTE_PGM_RSRC2:TRAP_HANDLER: 0
; COMPUTE_PGM_RSRC2:TGID_X_EN: 1
; COMPUTE_PGM_RSRC2:TGID_Y_EN: 0
; COMPUTE_PGM_RSRC2:TGID_Z_EN: 0
; COMPUTE_PGM_RSRC2:TIDIG_COMP_CNT: 0
	.section	.text._ZN2at6native12_GLOBAL__N_125multi_tensor_apply_kernelINS1_18TensorListMetadataILi2EEENS1_21BinaryOpScalarFunctorIN3c104HalfELi2ELi1ELi1EEEJSt10multipliesIfEfEEEvT_T0_DpT1_,"axG",@progbits,_ZN2at6native12_GLOBAL__N_125multi_tensor_apply_kernelINS1_18TensorListMetadataILi2EEENS1_21BinaryOpScalarFunctorIN3c104HalfELi2ELi1ELi1EEEJSt10multipliesIfEfEEEvT_T0_DpT1_,comdat
	.globl	_ZN2at6native12_GLOBAL__N_125multi_tensor_apply_kernelINS1_18TensorListMetadataILi2EEENS1_21BinaryOpScalarFunctorIN3c104HalfELi2ELi1ELi1EEEJSt10multipliesIfEfEEEvT_T0_DpT1_ ; -- Begin function _ZN2at6native12_GLOBAL__N_125multi_tensor_apply_kernelINS1_18TensorListMetadataILi2EEENS1_21BinaryOpScalarFunctorIN3c104HalfELi2ELi1ELi1EEEJSt10multipliesIfEfEEEvT_T0_DpT1_
	.p2align	8
	.type	_ZN2at6native12_GLOBAL__N_125multi_tensor_apply_kernelINS1_18TensorListMetadataILi2EEENS1_21BinaryOpScalarFunctorIN3c104HalfELi2ELi1ELi1EEEJSt10multipliesIfEfEEEvT_T0_DpT1_,@function
_ZN2at6native12_GLOBAL__N_125multi_tensor_apply_kernelINS1_18TensorListMetadataILi2EEENS1_21BinaryOpScalarFunctorIN3c104HalfELi2ELi1ELi1EEEJSt10multipliesIfEfEEEvT_T0_DpT1_: ; @_ZN2at6native12_GLOBAL__N_125multi_tensor_apply_kernelINS1_18TensorListMetadataILi2EEENS1_21BinaryOpScalarFunctorIN3c104HalfELi2ELi1ELi1EEEJSt10multipliesIfEfEEEvT_T0_DpT1_
; %bb.0:
	s_load_u8 s8, s[0:1], ttmp9 offset:0x600
	s_mov_b32 s2, ttmp9
	s_mov_b32 s3, 0
	s_delay_alu instid0(SALU_CYCLE_1)
	s_mul_u64 s[4:5], s[2:3], 3
	s_add_nc_u64 s[6:7], s[0:1], s[2:3]
	s_mov_b32 s15, s3
	s_add_nc_u64 s[4:5], s[6:7], s[4:5]
	s_mov_b32 s17, s3
	s_load_b32 s4, s[4:5], 0x740
	s_wait_kmcnt 0x0
	s_lshl_b32 s2, s8, 3
	s_clause 0x3
	s_load_b64 s[6:7], s[0:1], s2 offset:0x0
	s_load_b64 s[8:9], s[0:1], s2 offset:0x200
	;; [unrolled: 1-line block ×3, first 2 shown]
	s_load_b32 s22, s[0:1], 0xc4c
	s_ashr_i32 s5, s4, 31
	s_delay_alu instid0(SALU_CYCLE_1)
	s_lshl_b64 s[10:11], s[4:5], 17
	s_lshl_b64 s[4:5], s[4:5], 16
	s_wait_kmcnt 0x0
	s_add_nc_u64 s[18:19], s[6:7], s[10:11]
	s_and_b32 s14, s8, 7
	s_and_b32 s16, s12, 3
	;; [unrolled: 1-line block ×3, first 2 shown]
	s_or_b64 s[14:15], s[14:15], s[16:17]
	s_sub_nc_u64 s[12:13], s[12:13], s[4:5]
	s_or_b64 s[2:3], s[14:15], s[2:3]
	s_delay_alu instid0(SALU_CYCLE_1)
	s_cmp_eq_u64 s[2:3], 0
	s_mov_b32 s2, -1
	s_cbranch_scc1 .LBB46_21
; %bb.1:
	v_cmp_lt_i64_e64 s2, s[12:13], 1
	s_and_b32 vcc_lo, exec_lo, s2
	s_cbranch_vccnz .LBB46_20
; %bb.2:
	s_load_b32 s2, s[0:1], 0xc5c
	v_cmp_gt_i64_e64 s3, 0x10000, s[12:13]
	v_dual_mov_b32 v10, 0 :: v_dual_lshlrev_b32 v9, 1, v0
	v_cmp_gt_u64_e64 s4, 0x10000, s[12:13]
	s_mov_b32 s19, 0
	s_mov_b64 s[20:21], 0
	s_and_b32 s3, s3, exec_lo
	v_add_co_u32 v1, s5, s6, v9
	s_cselect_b32 s15, s13, 0
	s_cselect_b32 s14, s12, 0x10000
	v_add_co_ci_u32_e64 v2, null, s7, 0, s5
	v_add_co_u32 v3, s5, s8, v9
	s_wait_alu 0xf1ff
	v_add_co_ci_u32_e64 v4, null, s9, 0, s5
	s_wait_kmcnt 0x0
	s_and_b32 s2, s2, 0xffff
	s_and_b32 s3, s4, exec_lo
	s_cselect_b32 s17, s13, 0
	s_cselect_b32 s16, s12, 0x10000
	s_mul_i32 s4, s2, 3
	s_lshl_b32 s18, s2, 2
	v_mad_co_u64_u32 v[7:8], null, s2, 6, v[9:10]
	v_add_co_u32 v14, s5, s18, v9
	s_wait_alu 0xfffe
	v_add_co_u32 v9, s4, s4, v0
	s_wait_alu 0xf1ff
	v_add_co_ci_u32_e64 v10, null, 0, 0, s4
	v_add_co_u32 v13, s4, v0, s2
	s_lshl_b32 s3, s2, 1
	v_add_co_u32 v5, vcc_lo, s6, v7
	v_lshlrev_b32_e32 v21, 1, v13
	v_add_co_ci_u32_e64 v15, null, 0, 0, s5
	v_add_co_ci_u32_e64 v6, null, s7, v8, vcc_lo
	v_add_co_u32 v7, vcc_lo, s8, v7
	s_wait_alu 0xfffe
	v_add_co_u32 v17, s3, s3, v0
	s_wait_alu 0xfffd
	v_add_co_ci_u32_e64 v8, null, s9, v8, vcc_lo
	v_add_co_u32 v11, vcc_lo, s6, v14
	s_wait_alu 0xf1ff
	v_add_co_ci_u32_e64 v18, null, 0, 0, s3
	v_add_co_u32 v19, s3, s6, v21
	s_wait_alu 0xfffd
	v_add_co_ci_u32_e64 v12, null, s7, v15, vcc_lo
	v_add_co_u32 v14, vcc_lo, s8, v14
	s_wait_alu 0xf1ff
	v_add_co_ci_u32_e64 v20, null, s7, 0, s3
	v_add_co_u32 v21, s3, s8, v21
	s_wait_alu 0xfffd
	v_add_co_ci_u32_e64 v15, null, s9, v15, vcc_lo
	v_add_co_ci_u32_e64 v16, null, 0, 0, s4
	s_wait_alu 0xf1ff
	v_add_co_ci_u32_e64 v22, null, s9, 0, s3
	s_lshl_b32 s23, s2, 3
	s_branch .LBB46_4
.LBB46_3:                               ;   in Loop: Header=BB46_4 Depth=1
	s_wait_alu 0xfffe
	s_or_b32 exec_lo, exec_lo, s2
	v_add_co_u32 v1, vcc_lo, v1, s23
	s_wait_alu 0xfffd
	v_add_co_ci_u32_e64 v2, null, 0, v2, vcc_lo
	v_add_co_u32 v3, vcc_lo, v3, s23
	s_wait_alu 0xfffd
	v_add_co_ci_u32_e64 v4, null, 0, v4, vcc_lo
	v_add_co_u32 v5, vcc_lo, v5, s23
	s_wait_alu 0xfffd
	v_add_co_ci_u32_e64 v6, null, 0, v6, vcc_lo
	v_add_co_u32 v7, vcc_lo, v7, s23
	s_wait_alu 0xfffd
	v_add_co_ci_u32_e64 v8, null, 0, v8, vcc_lo
	v_add_co_u32 v11, vcc_lo, v11, s23
	s_wait_alu 0xfffd
	v_add_co_ci_u32_e64 v12, null, 0, v12, vcc_lo
	v_add_co_u32 v14, vcc_lo, v14, s23
	s_add_nc_u64 s[20:21], s[20:21], s[18:19]
	s_wait_alu 0xfffd
	v_add_co_ci_u32_e64 v15, null, 0, v15, vcc_lo
	v_add_co_u32 v19, vcc_lo, v19, s23
	s_wait_alu 0xfffe
	v_cmp_lt_i64_e64 s2, s[20:21], s[14:15]
	s_wait_alu 0xfffd
	v_add_co_ci_u32_e64 v20, null, 0, v20, vcc_lo
	v_add_co_u32 v21, vcc_lo, v21, s23
	s_wait_alu 0xfffd
	v_add_co_ci_u32_e64 v22, null, 0, v22, vcc_lo
	s_and_b32 vcc_lo, exec_lo, s2
	s_wait_alu 0xfffe
	s_cbranch_vccz .LBB46_20
.LBB46_4:                               ; =>This Inner Loop Header: Depth=1
	v_add_co_u32 v23, s2, v0, s20
	s_wait_alu 0xf1ff
	v_add_co_ci_u32_e64 v24, null, 0, s21, s2
	s_delay_alu instid0(VALU_DEP_1)
	v_cmp_gt_u64_e32 vcc_lo, s[16:17], v[23:24]
	v_mov_b32_e32 v24, 0
	s_and_saveexec_b32 s3, vcc_lo
	s_cbranch_execz .LBB46_6
; %bb.5:                                ;   in Loop: Header=BB46_4 Depth=1
	v_add_co_u32 v23, s2, v1, s10
	s_wait_alu 0xf1ff
	v_add_co_ci_u32_e64 v24, null, s11, v2, s2
	global_load_u16 v23, v[23:24], off
	s_wait_loadcnt 0x0
	v_cvt_f32_f16_e32 v24, v23
.LBB46_6:                               ;   in Loop: Header=BB46_4 Depth=1
	s_wait_alu 0xfffe
	s_or_b32 exec_lo, exec_lo, s3
	v_add_co_u32 v25, s2, v13, s20
	s_wait_alu 0xf1ff
	v_add_co_ci_u32_e64 v26, null, s21, v16, s2
	v_mov_b32_e32 v23, 0
	s_delay_alu instid0(VALU_DEP_2)
	v_cmp_gt_u64_e64 s2, s[16:17], v[25:26]
	v_mov_b32_e32 v25, 0
	s_and_saveexec_b32 s4, s2
	s_cbranch_execz .LBB46_8
; %bb.7:                                ;   in Loop: Header=BB46_4 Depth=1
	v_add_co_u32 v25, s3, v19, s10
	s_wait_alu 0xf1ff
	v_add_co_ci_u32_e64 v26, null, s11, v20, s3
	global_load_u16 v25, v[25:26], off
	s_wait_loadcnt 0x0
	v_cvt_f32_f16_e32 v25, v25
.LBB46_8:                               ;   in Loop: Header=BB46_4 Depth=1
	s_wait_alu 0xfffe
	s_or_b32 exec_lo, exec_lo, s4
	v_add_co_u32 v26, s3, v17, s20
	s_wait_alu 0xf1ff
	v_add_co_ci_u32_e64 v27, null, s21, v18, s3
	s_delay_alu instid0(VALU_DEP_1)
	v_cmp_gt_u64_e64 s3, s[16:17], v[26:27]
	s_and_saveexec_b32 s5, s3
	s_cbranch_execz .LBB46_10
; %bb.9:                                ;   in Loop: Header=BB46_4 Depth=1
	v_add_co_u32 v26, s4, v11, s10
	s_wait_alu 0xf1ff
	v_add_co_ci_u32_e64 v27, null, s11, v12, s4
	global_load_u16 v23, v[26:27], off
	s_wait_loadcnt 0x0
	v_cvt_f32_f16_e32 v23, v23
.LBB46_10:                              ;   in Loop: Header=BB46_4 Depth=1
	s_wait_alu 0xfffe
	s_or_b32 exec_lo, exec_lo, s5
	v_add_co_u32 v26, s4, v9, s20
	s_wait_alu 0xf1ff
	v_add_co_ci_u32_e64 v27, null, s21, v10, s4
	s_delay_alu instid0(VALU_DEP_1)
	v_cmp_gt_u64_e64 s4, s[16:17], v[26:27]
	v_mov_b32_e32 v26, 0
	s_and_saveexec_b32 s24, s4
	s_cbranch_execnz .LBB46_15
; %bb.11:                               ;   in Loop: Header=BB46_4 Depth=1
	s_or_b32 exec_lo, exec_lo, s24
	s_and_saveexec_b32 s5, vcc_lo
	s_cbranch_execnz .LBB46_16
.LBB46_12:                              ;   in Loop: Header=BB46_4 Depth=1
	s_wait_alu 0xfffe
	s_or_b32 exec_lo, exec_lo, s5
	s_and_saveexec_b32 s5, s2
	s_cbranch_execnz .LBB46_17
.LBB46_13:                              ;   in Loop: Header=BB46_4 Depth=1
	s_wait_alu 0xfffe
	s_or_b32 exec_lo, exec_lo, s5
	s_and_saveexec_b32 s2, s3
	s_cbranch_execnz .LBB46_18
.LBB46_14:                              ;   in Loop: Header=BB46_4 Depth=1
	s_wait_alu 0xfffe
	s_or_b32 exec_lo, exec_lo, s2
	s_and_saveexec_b32 s2, s4
	s_cbranch_execz .LBB46_3
	s_branch .LBB46_19
.LBB46_15:                              ;   in Loop: Header=BB46_4 Depth=1
	v_add_co_u32 v26, s5, v5, s10
	s_wait_alu 0xf1ff
	v_add_co_ci_u32_e64 v27, null, s11, v6, s5
	global_load_u16 v26, v[26:27], off
	s_wait_loadcnt 0x0
	v_cvt_f32_f16_e32 v26, v26
	s_or_b32 exec_lo, exec_lo, s24
	s_and_saveexec_b32 s5, vcc_lo
	s_cbranch_execz .LBB46_12
.LBB46_16:                              ;   in Loop: Header=BB46_4 Depth=1
	v_add_co_u32 v27, vcc_lo, v3, s10
	v_fma_mixlo_f16 v24, s22, v24, 0
	s_wait_alu 0xfffd
	v_add_co_ci_u32_e64 v28, null, s11, v4, vcc_lo
	global_store_b16 v[27:28], v24, off
	s_wait_alu 0xfffe
	s_or_b32 exec_lo, exec_lo, s5
	s_and_saveexec_b32 s5, s2
	s_cbranch_execz .LBB46_13
.LBB46_17:                              ;   in Loop: Header=BB46_4 Depth=1
	v_add_co_u32 v24, vcc_lo, v21, s10
	v_fma_mixlo_f16 v27, s22, v25, 0
	s_wait_alu 0xfffd
	v_add_co_ci_u32_e64 v25, null, s11, v22, vcc_lo
	global_store_b16 v[24:25], v27, off
	s_wait_alu 0xfffe
	s_or_b32 exec_lo, exec_lo, s5
	s_and_saveexec_b32 s2, s3
	s_cbranch_execz .LBB46_14
.LBB46_18:                              ;   in Loop: Header=BB46_4 Depth=1
	v_fma_mixlo_f16 v25, s22, v23, 0
	v_add_co_u32 v23, vcc_lo, v14, s10
	s_wait_alu 0xfffd
	v_add_co_ci_u32_e64 v24, null, s11, v15, vcc_lo
	global_store_b16 v[23:24], v25, off
	s_wait_alu 0xfffe
	s_or_b32 exec_lo, exec_lo, s2
	s_and_saveexec_b32 s2, s4
	s_cbranch_execz .LBB46_3
.LBB46_19:                              ;   in Loop: Header=BB46_4 Depth=1
	v_add_co_u32 v23, vcc_lo, v7, s10
	v_fma_mixlo_f16 v25, s22, v26, 0
	s_wait_alu 0xfffd
	v_add_co_ci_u32_e64 v24, null, s11, v8, vcc_lo
	global_store_b16 v[23:24], v25, off
	s_branch .LBB46_3
.LBB46_20:
	s_mov_b32 s2, 0
.LBB46_21:
	s_wait_alu 0xfffe
	s_and_not1_b32 vcc_lo, exec_lo, s2
	s_wait_alu 0xfffe
	s_cbranch_vccnz .LBB46_25
; %bb.22:
	v_cmp_gt_i64_e64 s2, 0x10000, s[12:13]
	v_dual_mov_b32 v2, 0 :: v_dual_lshlrev_b32 v1, 2, v0
	s_mov_b32 s4, 0
	s_mov_b32 s5, exec_lo
	s_and_b32 s2, s2, exec_lo
	s_cselect_b32 s3, s13, 0
	s_cselect_b32 s2, s12, 0x10000
	s_wait_alu 0xfffe
	v_cmpx_gt_i64_e64 s[2:3], v[1:2]
	s_cbranch_execz .LBB46_25
; %bb.23:
	s_load_b32 s0, s[0:1], 0xc5c
	v_lshlrev_b32_e32 v3, 3, v0
	v_mov_b32_e32 v1, v2
	s_mov_b32 s5, s22
	s_delay_alu instid0(VALU_DEP_2) | instskip(NEXT) | instid1(VALU_DEP_1)
	v_add_co_u32 v2, s1, s10, v3
	v_add_co_ci_u32_e64 v3, null, s11, 0, s1
	s_wait_kmcnt 0x0
	s_and_b32 s1, s0, 0xffff
	s_wait_alu 0xfffe
	s_lshl_b32 s10, s1, 3
.LBB46_24:                              ; =>This Inner Loop Header: Depth=1
	v_add_co_u32 v4, vcc_lo, s6, v2
	s_wait_alu 0xfffd
	v_add_co_ci_u32_e64 v5, null, s7, v3, vcc_lo
	v_add_co_u32 v0, vcc_lo, v0, s1
	s_wait_alu 0xfffd
	v_add_co_ci_u32_e64 v1, null, 0, v1, vcc_lo
	global_load_b64 v[4:5], v[4:5], off
	v_add_co_u32 v6, vcc_lo, s8, v2
	v_lshlrev_b64_e32 v[8:9], 2, v[0:1]
	s_wait_alu 0xfffd
	v_add_co_ci_u32_e64 v7, null, s9, v3, vcc_lo
	s_wait_alu 0xfffe
	v_add_co_u32 v2, vcc_lo, v2, s10
	s_wait_alu 0xfffd
	v_add_co_ci_u32_e64 v3, null, 0, v3, vcc_lo
	v_cmp_le_i64_e64 s0, s[2:3], v[8:9]
	s_or_b32 s4, s0, s4
	s_wait_loadcnt 0x0
	v_fma_mixlo_f16 v11, s5, v5, 0 op_sel_hi:[0,1,0]
	v_fma_mixlo_f16 v10, s22, v4, 0 op_sel_hi:[0,1,0]
	s_delay_alu instid0(VALU_DEP_2) | instskip(NEXT) | instid1(VALU_DEP_2)
	v_fma_mixhi_f16 v11, s22, v5, 0 op_sel:[0,1,0] op_sel_hi:[0,1,0]
	v_fma_mixhi_f16 v10, s22, v4, 0 op_sel:[0,1,0] op_sel_hi:[0,1,0]
	global_store_b64 v[6:7], v[10:11], off
	s_wait_alu 0xfffe
	s_and_not1_b32 exec_lo, exec_lo, s4
	s_cbranch_execnz .LBB46_24
.LBB46_25:
	s_endpgm
	.section	.rodata,"a",@progbits
	.p2align	6, 0x0
	.amdhsa_kernel _ZN2at6native12_GLOBAL__N_125multi_tensor_apply_kernelINS1_18TensorListMetadataILi2EEENS1_21BinaryOpScalarFunctorIN3c104HalfELi2ELi1ELi1EEEJSt10multipliesIfEfEEEvT_T0_DpT1_
		.amdhsa_group_segment_fixed_size 0
		.amdhsa_private_segment_fixed_size 0
		.amdhsa_kernarg_size 3408
		.amdhsa_user_sgpr_count 2
		.amdhsa_user_sgpr_dispatch_ptr 0
		.amdhsa_user_sgpr_queue_ptr 0
		.amdhsa_user_sgpr_kernarg_segment_ptr 1
		.amdhsa_user_sgpr_dispatch_id 0
		.amdhsa_user_sgpr_private_segment_size 0
		.amdhsa_wavefront_size32 1
		.amdhsa_uses_dynamic_stack 0
		.amdhsa_enable_private_segment 0
		.amdhsa_system_sgpr_workgroup_id_x 1
		.amdhsa_system_sgpr_workgroup_id_y 0
		.amdhsa_system_sgpr_workgroup_id_z 0
		.amdhsa_system_sgpr_workgroup_info 0
		.amdhsa_system_vgpr_workitem_id 0
		.amdhsa_next_free_vgpr 29
		.amdhsa_next_free_sgpr 25
		.amdhsa_reserve_vcc 1
		.amdhsa_float_round_mode_32 0
		.amdhsa_float_round_mode_16_64 0
		.amdhsa_float_denorm_mode_32 3
		.amdhsa_float_denorm_mode_16_64 3
		.amdhsa_fp16_overflow 0
		.amdhsa_workgroup_processor_mode 1
		.amdhsa_memory_ordered 1
		.amdhsa_forward_progress 1
		.amdhsa_inst_pref_size 14
		.amdhsa_round_robin_scheduling 0
		.amdhsa_exception_fp_ieee_invalid_op 0
		.amdhsa_exception_fp_denorm_src 0
		.amdhsa_exception_fp_ieee_div_zero 0
		.amdhsa_exception_fp_ieee_overflow 0
		.amdhsa_exception_fp_ieee_underflow 0
		.amdhsa_exception_fp_ieee_inexact 0
		.amdhsa_exception_int_div_zero 0
	.end_amdhsa_kernel
	.section	.text._ZN2at6native12_GLOBAL__N_125multi_tensor_apply_kernelINS1_18TensorListMetadataILi2EEENS1_21BinaryOpScalarFunctorIN3c104HalfELi2ELi1ELi1EEEJSt10multipliesIfEfEEEvT_T0_DpT1_,"axG",@progbits,_ZN2at6native12_GLOBAL__N_125multi_tensor_apply_kernelINS1_18TensorListMetadataILi2EEENS1_21BinaryOpScalarFunctorIN3c104HalfELi2ELi1ELi1EEEJSt10multipliesIfEfEEEvT_T0_DpT1_,comdat
.Lfunc_end46:
	.size	_ZN2at6native12_GLOBAL__N_125multi_tensor_apply_kernelINS1_18TensorListMetadataILi2EEENS1_21BinaryOpScalarFunctorIN3c104HalfELi2ELi1ELi1EEEJSt10multipliesIfEfEEEvT_T0_DpT1_, .Lfunc_end46-_ZN2at6native12_GLOBAL__N_125multi_tensor_apply_kernelINS1_18TensorListMetadataILi2EEENS1_21BinaryOpScalarFunctorIN3c104HalfELi2ELi1ELi1EEEJSt10multipliesIfEfEEEvT_T0_DpT1_
                                        ; -- End function
	.set _ZN2at6native12_GLOBAL__N_125multi_tensor_apply_kernelINS1_18TensorListMetadataILi2EEENS1_21BinaryOpScalarFunctorIN3c104HalfELi2ELi1ELi1EEEJSt10multipliesIfEfEEEvT_T0_DpT1_.num_vgpr, 29
	.set _ZN2at6native12_GLOBAL__N_125multi_tensor_apply_kernelINS1_18TensorListMetadataILi2EEENS1_21BinaryOpScalarFunctorIN3c104HalfELi2ELi1ELi1EEEJSt10multipliesIfEfEEEvT_T0_DpT1_.num_agpr, 0
	.set _ZN2at6native12_GLOBAL__N_125multi_tensor_apply_kernelINS1_18TensorListMetadataILi2EEENS1_21BinaryOpScalarFunctorIN3c104HalfELi2ELi1ELi1EEEJSt10multipliesIfEfEEEvT_T0_DpT1_.numbered_sgpr, 25
	.set _ZN2at6native12_GLOBAL__N_125multi_tensor_apply_kernelINS1_18TensorListMetadataILi2EEENS1_21BinaryOpScalarFunctorIN3c104HalfELi2ELi1ELi1EEEJSt10multipliesIfEfEEEvT_T0_DpT1_.num_named_barrier, 0
	.set _ZN2at6native12_GLOBAL__N_125multi_tensor_apply_kernelINS1_18TensorListMetadataILi2EEENS1_21BinaryOpScalarFunctorIN3c104HalfELi2ELi1ELi1EEEJSt10multipliesIfEfEEEvT_T0_DpT1_.private_seg_size, 0
	.set _ZN2at6native12_GLOBAL__N_125multi_tensor_apply_kernelINS1_18TensorListMetadataILi2EEENS1_21BinaryOpScalarFunctorIN3c104HalfELi2ELi1ELi1EEEJSt10multipliesIfEfEEEvT_T0_DpT1_.uses_vcc, 1
	.set _ZN2at6native12_GLOBAL__N_125multi_tensor_apply_kernelINS1_18TensorListMetadataILi2EEENS1_21BinaryOpScalarFunctorIN3c104HalfELi2ELi1ELi1EEEJSt10multipliesIfEfEEEvT_T0_DpT1_.uses_flat_scratch, 0
	.set _ZN2at6native12_GLOBAL__N_125multi_tensor_apply_kernelINS1_18TensorListMetadataILi2EEENS1_21BinaryOpScalarFunctorIN3c104HalfELi2ELi1ELi1EEEJSt10multipliesIfEfEEEvT_T0_DpT1_.has_dyn_sized_stack, 0
	.set _ZN2at6native12_GLOBAL__N_125multi_tensor_apply_kernelINS1_18TensorListMetadataILi2EEENS1_21BinaryOpScalarFunctorIN3c104HalfELi2ELi1ELi1EEEJSt10multipliesIfEfEEEvT_T0_DpT1_.has_recursion, 0
	.set _ZN2at6native12_GLOBAL__N_125multi_tensor_apply_kernelINS1_18TensorListMetadataILi2EEENS1_21BinaryOpScalarFunctorIN3c104HalfELi2ELi1ELi1EEEJSt10multipliesIfEfEEEvT_T0_DpT1_.has_indirect_call, 0
	.section	.AMDGPU.csdata,"",@progbits
; Kernel info:
; codeLenInByte = 1688
; TotalNumSgprs: 27
; NumVgprs: 29
; ScratchSize: 0
; MemoryBound: 0
; FloatMode: 240
; IeeeMode: 1
; LDSByteSize: 0 bytes/workgroup (compile time only)
; SGPRBlocks: 0
; VGPRBlocks: 3
; NumSGPRsForWavesPerEU: 27
; NumVGPRsForWavesPerEU: 29
; Occupancy: 16
; WaveLimiterHint : 0
; COMPUTE_PGM_RSRC2:SCRATCH_EN: 0
; COMPUTE_PGM_RSRC2:USER_SGPR: 2
; COMPUTE_PGM_RSRC2:TRAP_HANDLER: 0
; COMPUTE_PGM_RSRC2:TGID_X_EN: 1
; COMPUTE_PGM_RSRC2:TGID_Y_EN: 0
; COMPUTE_PGM_RSRC2:TGID_Z_EN: 0
; COMPUTE_PGM_RSRC2:TIDIG_COMP_CNT: 0
	.section	.text._ZN2at6native12_GLOBAL__N_125multi_tensor_apply_kernelINS1_18TensorListMetadataILi2EEENS1_21BinaryOpScalarFunctorIN3c108BFloat16ELi2ELi1ELi1EEEJSt10multipliesIfEfEEEvT_T0_DpT1_,"axG",@progbits,_ZN2at6native12_GLOBAL__N_125multi_tensor_apply_kernelINS1_18TensorListMetadataILi2EEENS1_21BinaryOpScalarFunctorIN3c108BFloat16ELi2ELi1ELi1EEEJSt10multipliesIfEfEEEvT_T0_DpT1_,comdat
	.globl	_ZN2at6native12_GLOBAL__N_125multi_tensor_apply_kernelINS1_18TensorListMetadataILi2EEENS1_21BinaryOpScalarFunctorIN3c108BFloat16ELi2ELi1ELi1EEEJSt10multipliesIfEfEEEvT_T0_DpT1_ ; -- Begin function _ZN2at6native12_GLOBAL__N_125multi_tensor_apply_kernelINS1_18TensorListMetadataILi2EEENS1_21BinaryOpScalarFunctorIN3c108BFloat16ELi2ELi1ELi1EEEJSt10multipliesIfEfEEEvT_T0_DpT1_
	.p2align	8
	.type	_ZN2at6native12_GLOBAL__N_125multi_tensor_apply_kernelINS1_18TensorListMetadataILi2EEENS1_21BinaryOpScalarFunctorIN3c108BFloat16ELi2ELi1ELi1EEEJSt10multipliesIfEfEEEvT_T0_DpT1_,@function
_ZN2at6native12_GLOBAL__N_125multi_tensor_apply_kernelINS1_18TensorListMetadataILi2EEENS1_21BinaryOpScalarFunctorIN3c108BFloat16ELi2ELi1ELi1EEEJSt10multipliesIfEfEEEvT_T0_DpT1_: ; @_ZN2at6native12_GLOBAL__N_125multi_tensor_apply_kernelINS1_18TensorListMetadataILi2EEENS1_21BinaryOpScalarFunctorIN3c108BFloat16ELi2ELi1ELi1EEEJSt10multipliesIfEfEEEvT_T0_DpT1_
; %bb.0:
	s_load_u8 s8, s[0:1], ttmp9 offset:0x600
	s_mov_b32 s2, ttmp9
	s_mov_b32 s3, 0
	s_delay_alu instid0(SALU_CYCLE_1)
	s_mul_u64 s[4:5], s[2:3], 3
	s_add_nc_u64 s[6:7], s[0:1], s[2:3]
	s_mov_b32 s15, s3
	s_add_nc_u64 s[4:5], s[6:7], s[4:5]
	s_mov_b32 s17, s3
	s_load_b32 s4, s[4:5], 0x740
	s_wait_kmcnt 0x0
	s_lshl_b32 s2, s8, 3
	s_clause 0x3
	s_load_b64 s[6:7], s[0:1], s2 offset:0x0
	s_load_b64 s[8:9], s[0:1], s2 offset:0x200
	;; [unrolled: 1-line block ×3, first 2 shown]
	s_load_b32 s22, s[0:1], 0xc4c
	s_ashr_i32 s5, s4, 31
	s_delay_alu instid0(SALU_CYCLE_1)
	s_lshl_b64 s[10:11], s[4:5], 17
	s_lshl_b64 s[4:5], s[4:5], 16
	s_wait_kmcnt 0x0
	s_add_nc_u64 s[18:19], s[6:7], s[10:11]
	s_and_b32 s14, s8, 7
	s_and_b32 s16, s12, 3
	;; [unrolled: 1-line block ×3, first 2 shown]
	s_or_b64 s[14:15], s[14:15], s[16:17]
	s_sub_nc_u64 s[12:13], s[12:13], s[4:5]
	s_or_b64 s[2:3], s[14:15], s[2:3]
	s_delay_alu instid0(SALU_CYCLE_1)
	s_cmp_eq_u64 s[2:3], 0
	s_mov_b32 s2, -1
	s_cbranch_scc1 .LBB47_21
; %bb.1:
	v_cmp_lt_i64_e64 s2, s[12:13], 1
	s_and_b32 vcc_lo, exec_lo, s2
	s_cbranch_vccnz .LBB47_20
; %bb.2:
	s_load_b32 s2, s[0:1], 0xc5c
	v_cmp_gt_i64_e64 s3, 0x10000, s[12:13]
	v_dual_mov_b32 v10, 0 :: v_dual_lshlrev_b32 v9, 1, v0
	v_cmp_gt_u64_e64 s4, 0x10000, s[12:13]
	s_mov_b32 s19, 0
	s_mov_b64 s[20:21], 0
	s_and_b32 s3, s3, exec_lo
	v_add_co_u32 v1, s5, s6, v9
	s_cselect_b32 s15, s13, 0
	s_cselect_b32 s14, s12, 0x10000
	v_add_co_ci_u32_e64 v2, null, s7, 0, s5
	v_add_co_u32 v3, s5, s8, v9
	s_wait_alu 0xf1ff
	v_add_co_ci_u32_e64 v4, null, s9, 0, s5
	s_wait_kmcnt 0x0
	s_and_b32 s2, s2, 0xffff
	s_and_b32 s3, s4, exec_lo
	s_cselect_b32 s17, s13, 0
	s_cselect_b32 s16, s12, 0x10000
	s_mul_i32 s4, s2, 3
	s_lshl_b32 s18, s2, 2
	v_mad_co_u64_u32 v[7:8], null, s2, 6, v[9:10]
	v_add_co_u32 v14, s5, s18, v9
	s_wait_alu 0xfffe
	v_add_co_u32 v9, s4, s4, v0
	s_wait_alu 0xf1ff
	v_add_co_ci_u32_e64 v10, null, 0, 0, s4
	v_add_co_u32 v13, s4, v0, s2
	s_lshl_b32 s3, s2, 1
	v_add_co_u32 v5, vcc_lo, s6, v7
	v_lshlrev_b32_e32 v21, 1, v13
	v_add_co_ci_u32_e64 v15, null, 0, 0, s5
	v_add_co_ci_u32_e64 v6, null, s7, v8, vcc_lo
	v_add_co_u32 v7, vcc_lo, s8, v7
	s_wait_alu 0xfffe
	v_add_co_u32 v17, s3, s3, v0
	s_wait_alu 0xfffd
	v_add_co_ci_u32_e64 v8, null, s9, v8, vcc_lo
	v_add_co_u32 v11, vcc_lo, s6, v14
	s_wait_alu 0xf1ff
	v_add_co_ci_u32_e64 v18, null, 0, 0, s3
	v_add_co_u32 v19, s3, s6, v21
	s_wait_alu 0xfffd
	v_add_co_ci_u32_e64 v12, null, s7, v15, vcc_lo
	v_add_co_u32 v14, vcc_lo, s8, v14
	s_wait_alu 0xf1ff
	v_add_co_ci_u32_e64 v20, null, s7, 0, s3
	v_add_co_u32 v21, s3, s8, v21
	s_wait_alu 0xfffd
	v_add_co_ci_u32_e64 v15, null, s9, v15, vcc_lo
	v_add_co_ci_u32_e64 v16, null, 0, 0, s4
	s_wait_alu 0xf1ff
	v_add_co_ci_u32_e64 v22, null, s9, 0, s3
	s_lshl_b32 s23, s2, 3
	s_branch .LBB47_4
.LBB47_3:                               ;   in Loop: Header=BB47_4 Depth=1
	s_wait_alu 0xfffe
	s_or_b32 exec_lo, exec_lo, s2
	v_add_co_u32 v1, vcc_lo, v1, s23
	s_wait_alu 0xfffd
	v_add_co_ci_u32_e64 v2, null, 0, v2, vcc_lo
	v_add_co_u32 v3, vcc_lo, v3, s23
	s_wait_alu 0xfffd
	v_add_co_ci_u32_e64 v4, null, 0, v4, vcc_lo
	;; [unrolled: 3-line block ×5, first 2 shown]
	v_add_co_u32 v14, vcc_lo, v14, s23
	s_add_nc_u64 s[20:21], s[20:21], s[18:19]
	s_wait_alu 0xfffd
	v_add_co_ci_u32_e64 v15, null, 0, v15, vcc_lo
	v_add_co_u32 v19, vcc_lo, v19, s23
	s_wait_alu 0xfffe
	v_cmp_lt_i64_e64 s2, s[20:21], s[14:15]
	s_wait_alu 0xfffd
	v_add_co_ci_u32_e64 v20, null, 0, v20, vcc_lo
	v_add_co_u32 v21, vcc_lo, v21, s23
	s_wait_alu 0xfffd
	v_add_co_ci_u32_e64 v22, null, 0, v22, vcc_lo
	s_and_b32 vcc_lo, exec_lo, s2
	s_wait_alu 0xfffe
	s_cbranch_vccz .LBB47_20
.LBB47_4:                               ; =>This Inner Loop Header: Depth=1
	v_add_co_u32 v23, s2, v0, s20
	s_wait_alu 0xf1ff
	v_add_co_ci_u32_e64 v24, null, 0, s21, s2
	s_delay_alu instid0(VALU_DEP_1)
	v_cmp_gt_u64_e32 vcc_lo, s[16:17], v[23:24]
	v_mov_b32_e32 v24, 0
	s_and_saveexec_b32 s3, vcc_lo
	s_cbranch_execz .LBB47_6
; %bb.5:                                ;   in Loop: Header=BB47_4 Depth=1
	v_add_co_u32 v23, s2, v1, s10
	s_wait_alu 0xf1ff
	v_add_co_ci_u32_e64 v24, null, s11, v2, s2
	global_load_u16 v23, v[23:24], off
	s_wait_loadcnt 0x0
	v_lshlrev_b32_e32 v24, 16, v23
.LBB47_6:                               ;   in Loop: Header=BB47_4 Depth=1
	s_wait_alu 0xfffe
	s_or_b32 exec_lo, exec_lo, s3
	v_add_co_u32 v25, s2, v13, s20
	s_wait_alu 0xf1ff
	v_add_co_ci_u32_e64 v26, null, s21, v16, s2
	v_mov_b32_e32 v23, 0
	s_delay_alu instid0(VALU_DEP_2)
	v_cmp_gt_u64_e64 s2, s[16:17], v[25:26]
	v_mov_b32_e32 v25, 0
	s_and_saveexec_b32 s4, s2
	s_cbranch_execz .LBB47_8
; %bb.7:                                ;   in Loop: Header=BB47_4 Depth=1
	v_add_co_u32 v25, s3, v19, s10
	s_wait_alu 0xf1ff
	v_add_co_ci_u32_e64 v26, null, s11, v20, s3
	global_load_u16 v25, v[25:26], off
	s_wait_loadcnt 0x0
	v_lshlrev_b32_e32 v25, 16, v25
.LBB47_8:                               ;   in Loop: Header=BB47_4 Depth=1
	s_wait_alu 0xfffe
	s_or_b32 exec_lo, exec_lo, s4
	v_add_co_u32 v26, s3, v17, s20
	s_wait_alu 0xf1ff
	v_add_co_ci_u32_e64 v27, null, s21, v18, s3
	s_delay_alu instid0(VALU_DEP_1)
	v_cmp_gt_u64_e64 s3, s[16:17], v[26:27]
	s_and_saveexec_b32 s5, s3
	s_cbranch_execz .LBB47_10
; %bb.9:                                ;   in Loop: Header=BB47_4 Depth=1
	v_add_co_u32 v26, s4, v11, s10
	s_wait_alu 0xf1ff
	v_add_co_ci_u32_e64 v27, null, s11, v12, s4
	global_load_u16 v23, v[26:27], off
	s_wait_loadcnt 0x0
	v_lshlrev_b32_e32 v23, 16, v23
.LBB47_10:                              ;   in Loop: Header=BB47_4 Depth=1
	s_wait_alu 0xfffe
	s_or_b32 exec_lo, exec_lo, s5
	v_add_co_u32 v26, s4, v9, s20
	s_wait_alu 0xf1ff
	v_add_co_ci_u32_e64 v27, null, s21, v10, s4
	s_delay_alu instid0(VALU_DEP_1)
	v_cmp_gt_u64_e64 s4, s[16:17], v[26:27]
	v_mov_b32_e32 v26, 0
	s_and_saveexec_b32 s24, s4
	s_cbranch_execnz .LBB47_15
; %bb.11:                               ;   in Loop: Header=BB47_4 Depth=1
	s_or_b32 exec_lo, exec_lo, s24
	s_and_saveexec_b32 s5, vcc_lo
	s_cbranch_execnz .LBB47_16
.LBB47_12:                              ;   in Loop: Header=BB47_4 Depth=1
	s_wait_alu 0xfffe
	s_or_b32 exec_lo, exec_lo, s5
	s_and_saveexec_b32 s5, s2
	s_cbranch_execnz .LBB47_17
.LBB47_13:                              ;   in Loop: Header=BB47_4 Depth=1
	s_wait_alu 0xfffe
	s_or_b32 exec_lo, exec_lo, s5
	s_and_saveexec_b32 s2, s3
	s_cbranch_execnz .LBB47_18
.LBB47_14:                              ;   in Loop: Header=BB47_4 Depth=1
	s_wait_alu 0xfffe
	s_or_b32 exec_lo, exec_lo, s2
	s_and_saveexec_b32 s2, s4
	s_cbranch_execz .LBB47_3
	s_branch .LBB47_19
.LBB47_15:                              ;   in Loop: Header=BB47_4 Depth=1
	v_add_co_u32 v26, s5, v5, s10
	s_wait_alu 0xf1ff
	v_add_co_ci_u32_e64 v27, null, s11, v6, s5
	global_load_u16 v26, v[26:27], off
	s_wait_loadcnt 0x0
	v_lshlrev_b32_e32 v26, 16, v26
	s_or_b32 exec_lo, exec_lo, s24
	s_and_saveexec_b32 s5, vcc_lo
	s_cbranch_execz .LBB47_12
.LBB47_16:                              ;   in Loop: Header=BB47_4 Depth=1
	v_mul_f32_e32 v24, s22, v24
	s_delay_alu instid0(VALU_DEP_1) | instskip(NEXT) | instid1(VALU_DEP_1)
	v_bfe_u32 v27, v24, 16, 1
	v_add3_u32 v27, v24, v27, 0x7fff
	s_delay_alu instid0(VALU_DEP_1)
	v_lshrrev_b32_e32 v29, 16, v27
	v_add_co_u32 v27, vcc_lo, v3, s10
	s_wait_alu 0xfffd
	v_add_co_ci_u32_e64 v28, null, s11, v4, vcc_lo
	v_cmp_o_f32_e32 vcc_lo, v24, v24
	s_wait_alu 0xfffd
	v_cndmask_b32_e32 v24, 0x7fc0, v29, vcc_lo
	global_store_b16 v[27:28], v24, off
	s_wait_alu 0xfffe
	s_or_b32 exec_lo, exec_lo, s5
	s_and_saveexec_b32 s5, s2
	s_cbranch_execz .LBB47_13
.LBB47_17:                              ;   in Loop: Header=BB47_4 Depth=1
	v_mul_f32_e32 v24, s22, v25
	s_delay_alu instid0(VALU_DEP_1) | instskip(SKIP_1) | instid1(VALU_DEP_2)
	v_bfe_u32 v25, v24, 16, 1
	v_cmp_o_f32_e32 vcc_lo, v24, v24
	v_add3_u32 v25, v24, v25, 0x7fff
	s_delay_alu instid0(VALU_DEP_1) | instskip(SKIP_1) | instid1(VALU_DEP_1)
	v_lshrrev_b32_e32 v25, 16, v25
	s_wait_alu 0xfffd
	v_cndmask_b32_e32 v27, 0x7fc0, v25, vcc_lo
	v_add_co_u32 v24, vcc_lo, v21, s10
	s_wait_alu 0xfffd
	v_add_co_ci_u32_e64 v25, null, s11, v22, vcc_lo
	global_store_b16 v[24:25], v27, off
	s_wait_alu 0xfffe
	s_or_b32 exec_lo, exec_lo, s5
	s_and_saveexec_b32 s2, s3
	s_cbranch_execz .LBB47_14
.LBB47_18:                              ;   in Loop: Header=BB47_4 Depth=1
	v_mul_f32_e32 v23, s22, v23
	s_delay_alu instid0(VALU_DEP_1) | instskip(SKIP_1) | instid1(VALU_DEP_2)
	v_bfe_u32 v24, v23, 16, 1
	v_cmp_o_f32_e32 vcc_lo, v23, v23
	v_add3_u32 v24, v23, v24, 0x7fff
	s_delay_alu instid0(VALU_DEP_1) | instskip(SKIP_1) | instid1(VALU_DEP_1)
	v_lshrrev_b32_e32 v24, 16, v24
	s_wait_alu 0xfffd
	v_cndmask_b32_e32 v25, 0x7fc0, v24, vcc_lo
	v_add_co_u32 v23, vcc_lo, v14, s10
	s_wait_alu 0xfffd
	v_add_co_ci_u32_e64 v24, null, s11, v15, vcc_lo
	global_store_b16 v[23:24], v25, off
	s_wait_alu 0xfffe
	s_or_b32 exec_lo, exec_lo, s2
	s_and_saveexec_b32 s2, s4
	s_cbranch_execz .LBB47_3
.LBB47_19:                              ;   in Loop: Header=BB47_4 Depth=1
	v_mul_f32_e32 v23, s22, v26
	s_delay_alu instid0(VALU_DEP_1) | instskip(SKIP_1) | instid1(VALU_DEP_2)
	v_bfe_u32 v24, v23, 16, 1
	v_cmp_o_f32_e32 vcc_lo, v23, v23
	v_add3_u32 v24, v23, v24, 0x7fff
	s_delay_alu instid0(VALU_DEP_1) | instskip(SKIP_1) | instid1(VALU_DEP_1)
	v_lshrrev_b32_e32 v24, 16, v24
	s_wait_alu 0xfffd
	v_cndmask_b32_e32 v25, 0x7fc0, v24, vcc_lo
	v_add_co_u32 v23, vcc_lo, v7, s10
	s_wait_alu 0xfffd
	v_add_co_ci_u32_e64 v24, null, s11, v8, vcc_lo
	global_store_b16 v[23:24], v25, off
	s_branch .LBB47_3
.LBB47_20:
	s_mov_b32 s2, 0
.LBB47_21:
	s_wait_alu 0xfffe
	s_and_not1_b32 vcc_lo, exec_lo, s2
	s_wait_alu 0xfffe
	s_cbranch_vccnz .LBB47_25
; %bb.22:
	v_cmp_gt_i64_e64 s2, 0x10000, s[12:13]
	v_dual_mov_b32 v2, 0 :: v_dual_lshlrev_b32 v1, 2, v0
	s_mov_b32 s4, 0
	s_mov_b32 s5, exec_lo
	s_and_b32 s2, s2, exec_lo
	s_cselect_b32 s3, s13, 0
	s_cselect_b32 s2, s12, 0x10000
	s_wait_alu 0xfffe
	v_cmpx_gt_i64_e64 s[2:3], v[1:2]
	s_cbranch_execz .LBB47_25
; %bb.23:
	s_load_b32 s0, s[0:1], 0xc5c
	v_lshlrev_b32_e32 v3, 3, v0
	v_mov_b32_e32 v1, v2
	s_delay_alu instid0(VALU_DEP_2) | instskip(NEXT) | instid1(VALU_DEP_1)
	v_add_co_u32 v2, s1, s10, v3
	v_add_co_ci_u32_e64 v3, null, s11, 0, s1
	s_wait_kmcnt 0x0
	s_and_b32 s5, s0, 0xffff
	s_wait_alu 0xfffe
	s_lshl_b32 s10, s5, 3
.LBB47_24:                              ; =>This Inner Loop Header: Depth=1
	v_add_co_u32 v4, vcc_lo, s6, v2
	s_wait_alu 0xfffd
	v_add_co_ci_u32_e64 v5, null, s7, v3, vcc_lo
	v_add_co_u32 v0, vcc_lo, v0, s5
	s_wait_alu 0xfffd
	v_add_co_ci_u32_e64 v1, null, 0, v1, vcc_lo
	global_load_b64 v[4:5], v[4:5], off
	v_add_co_u32 v6, vcc_lo, s8, v2
	s_wait_alu 0xfffd
	v_add_co_ci_u32_e64 v7, null, s9, v3, vcc_lo
	v_lshlrev_b64_e32 v[8:9], 2, v[0:1]
	s_wait_loadcnt 0x0
	v_and_b32_e32 v11, 0xffff0000, v4
	v_lshlrev_b32_e32 v10, 16, v4
	v_alignbit_b32 v4, v5, v4, 16
	s_delay_alu instid0(VALU_DEP_2) | instskip(NEXT) | instid1(VALU_DEP_2)
	v_dual_mul_f32 v11, s22, v11 :: v_dual_mul_f32 v10, s22, v10
	v_and_b32_e32 v4, 0xffff0000, v4
	v_and_b32_e32 v5, 0xffff0000, v5
	s_delay_alu instid0(VALU_DEP_3) | instskip(NEXT) | instid1(VALU_DEP_4)
	v_bfe_u32 v13, v11, 16, 1
	v_bfe_u32 v12, v10, 16, 1
	s_delay_alu instid0(VALU_DEP_3) | instskip(SKIP_1) | instid1(VALU_DEP_4)
	v_dual_mul_f32 v4, s22, v4 :: v_dual_mul_f32 v5, s22, v5
	v_cmp_o_f32_e64 s0, v11, v11
	v_add3_u32 v13, v11, v13, 0x7fff
	s_delay_alu instid0(VALU_DEP_4) | instskip(NEXT) | instid1(VALU_DEP_4)
	v_add3_u32 v12, v10, v12, 0x7fff
	v_bfe_u32 v15, v4, 16, 1
	v_bfe_u32 v14, v5, 16, 1
	v_cmp_o_f32_e32 vcc_lo, v5, v5
	v_and_b32_e32 v13, 0xffff0000, v13
	v_lshrrev_b32_e32 v12, 16, v12
	v_add3_u32 v15, v4, v15, 0x7fff
	v_add3_u32 v14, v5, v14, 0x7fff
	v_cmp_o_f32_e64 s1, v10, v10
	s_wait_alu 0xf1ff
	v_cndmask_b32_e64 v10, 0x7fc00000, v13, s0
	v_cmp_le_i64_e64 s0, s[2:3], v[8:9]
	v_lshrrev_b32_e32 v5, 16, v15
	v_and_b32_e32 v14, 0xffff0000, v14
	v_cndmask_b32_e64 v11, 0x7fc0, v12, s1
	s_or_b32 s4, s0, s4
	s_wait_alu 0xfffd
	s_delay_alu instid0(VALU_DEP_2)
	v_cndmask_b32_e32 v12, 0x7fc00000, v14, vcc_lo
	v_cmp_o_f32_e32 vcc_lo, v4, v4
	v_or_b32_e32 v10, v11, v10
	s_wait_alu 0xfffd
	v_cndmask_b32_e32 v4, 0x7fc0, v5, vcc_lo
	s_wait_alu 0xfffe
	v_add_co_u32 v2, vcc_lo, v2, s10
	s_wait_alu 0xfffd
	v_add_co_ci_u32_e64 v3, null, 0, v3, vcc_lo
	v_or3_b32 v5, 0, v4, v12
	v_or3_b32 v4, v10, 0, 0
	global_store_b64 v[6:7], v[4:5], off
	s_and_not1_b32 exec_lo, exec_lo, s4
	s_cbranch_execnz .LBB47_24
.LBB47_25:
	s_endpgm
	.section	.rodata,"a",@progbits
	.p2align	6, 0x0
	.amdhsa_kernel _ZN2at6native12_GLOBAL__N_125multi_tensor_apply_kernelINS1_18TensorListMetadataILi2EEENS1_21BinaryOpScalarFunctorIN3c108BFloat16ELi2ELi1ELi1EEEJSt10multipliesIfEfEEEvT_T0_DpT1_
		.amdhsa_group_segment_fixed_size 0
		.amdhsa_private_segment_fixed_size 0
		.amdhsa_kernarg_size 3408
		.amdhsa_user_sgpr_count 2
		.amdhsa_user_sgpr_dispatch_ptr 0
		.amdhsa_user_sgpr_queue_ptr 0
		.amdhsa_user_sgpr_kernarg_segment_ptr 1
		.amdhsa_user_sgpr_dispatch_id 0
		.amdhsa_user_sgpr_private_segment_size 0
		.amdhsa_wavefront_size32 1
		.amdhsa_uses_dynamic_stack 0
		.amdhsa_enable_private_segment 0
		.amdhsa_system_sgpr_workgroup_id_x 1
		.amdhsa_system_sgpr_workgroup_id_y 0
		.amdhsa_system_sgpr_workgroup_id_z 0
		.amdhsa_system_sgpr_workgroup_info 0
		.amdhsa_system_vgpr_workitem_id 0
		.amdhsa_next_free_vgpr 30
		.amdhsa_next_free_sgpr 25
		.amdhsa_reserve_vcc 1
		.amdhsa_float_round_mode_32 0
		.amdhsa_float_round_mode_16_64 0
		.amdhsa_float_denorm_mode_32 3
		.amdhsa_float_denorm_mode_16_64 3
		.amdhsa_fp16_overflow 0
		.amdhsa_workgroup_processor_mode 1
		.amdhsa_memory_ordered 1
		.amdhsa_forward_progress 1
		.amdhsa_inst_pref_size 17
		.amdhsa_round_robin_scheduling 0
		.amdhsa_exception_fp_ieee_invalid_op 0
		.amdhsa_exception_fp_denorm_src 0
		.amdhsa_exception_fp_ieee_div_zero 0
		.amdhsa_exception_fp_ieee_overflow 0
		.amdhsa_exception_fp_ieee_underflow 0
		.amdhsa_exception_fp_ieee_inexact 0
		.amdhsa_exception_int_div_zero 0
	.end_amdhsa_kernel
	.section	.text._ZN2at6native12_GLOBAL__N_125multi_tensor_apply_kernelINS1_18TensorListMetadataILi2EEENS1_21BinaryOpScalarFunctorIN3c108BFloat16ELi2ELi1ELi1EEEJSt10multipliesIfEfEEEvT_T0_DpT1_,"axG",@progbits,_ZN2at6native12_GLOBAL__N_125multi_tensor_apply_kernelINS1_18TensorListMetadataILi2EEENS1_21BinaryOpScalarFunctorIN3c108BFloat16ELi2ELi1ELi1EEEJSt10multipliesIfEfEEEvT_T0_DpT1_,comdat
.Lfunc_end47:
	.size	_ZN2at6native12_GLOBAL__N_125multi_tensor_apply_kernelINS1_18TensorListMetadataILi2EEENS1_21BinaryOpScalarFunctorIN3c108BFloat16ELi2ELi1ELi1EEEJSt10multipliesIfEfEEEvT_T0_DpT1_, .Lfunc_end47-_ZN2at6native12_GLOBAL__N_125multi_tensor_apply_kernelINS1_18TensorListMetadataILi2EEENS1_21BinaryOpScalarFunctorIN3c108BFloat16ELi2ELi1ELi1EEEJSt10multipliesIfEfEEEvT_T0_DpT1_
                                        ; -- End function
	.set _ZN2at6native12_GLOBAL__N_125multi_tensor_apply_kernelINS1_18TensorListMetadataILi2EEENS1_21BinaryOpScalarFunctorIN3c108BFloat16ELi2ELi1ELi1EEEJSt10multipliesIfEfEEEvT_T0_DpT1_.num_vgpr, 30
	.set _ZN2at6native12_GLOBAL__N_125multi_tensor_apply_kernelINS1_18TensorListMetadataILi2EEENS1_21BinaryOpScalarFunctorIN3c108BFloat16ELi2ELi1ELi1EEEJSt10multipliesIfEfEEEvT_T0_DpT1_.num_agpr, 0
	.set _ZN2at6native12_GLOBAL__N_125multi_tensor_apply_kernelINS1_18TensorListMetadataILi2EEENS1_21BinaryOpScalarFunctorIN3c108BFloat16ELi2ELi1ELi1EEEJSt10multipliesIfEfEEEvT_T0_DpT1_.numbered_sgpr, 25
	.set _ZN2at6native12_GLOBAL__N_125multi_tensor_apply_kernelINS1_18TensorListMetadataILi2EEENS1_21BinaryOpScalarFunctorIN3c108BFloat16ELi2ELi1ELi1EEEJSt10multipliesIfEfEEEvT_T0_DpT1_.num_named_barrier, 0
	.set _ZN2at6native12_GLOBAL__N_125multi_tensor_apply_kernelINS1_18TensorListMetadataILi2EEENS1_21BinaryOpScalarFunctorIN3c108BFloat16ELi2ELi1ELi1EEEJSt10multipliesIfEfEEEvT_T0_DpT1_.private_seg_size, 0
	.set _ZN2at6native12_GLOBAL__N_125multi_tensor_apply_kernelINS1_18TensorListMetadataILi2EEENS1_21BinaryOpScalarFunctorIN3c108BFloat16ELi2ELi1ELi1EEEJSt10multipliesIfEfEEEvT_T0_DpT1_.uses_vcc, 1
	.set _ZN2at6native12_GLOBAL__N_125multi_tensor_apply_kernelINS1_18TensorListMetadataILi2EEENS1_21BinaryOpScalarFunctorIN3c108BFloat16ELi2ELi1ELi1EEEJSt10multipliesIfEfEEEvT_T0_DpT1_.uses_flat_scratch, 0
	.set _ZN2at6native12_GLOBAL__N_125multi_tensor_apply_kernelINS1_18TensorListMetadataILi2EEENS1_21BinaryOpScalarFunctorIN3c108BFloat16ELi2ELi1ELi1EEEJSt10multipliesIfEfEEEvT_T0_DpT1_.has_dyn_sized_stack, 0
	.set _ZN2at6native12_GLOBAL__N_125multi_tensor_apply_kernelINS1_18TensorListMetadataILi2EEENS1_21BinaryOpScalarFunctorIN3c108BFloat16ELi2ELi1ELi1EEEJSt10multipliesIfEfEEEvT_T0_DpT1_.has_recursion, 0
	.set _ZN2at6native12_GLOBAL__N_125multi_tensor_apply_kernelINS1_18TensorListMetadataILi2EEENS1_21BinaryOpScalarFunctorIN3c108BFloat16ELi2ELi1ELi1EEEJSt10multipliesIfEfEEEvT_T0_DpT1_.has_indirect_call, 0
	.section	.AMDGPU.csdata,"",@progbits
; Kernel info:
; codeLenInByte = 2092
; TotalNumSgprs: 27
; NumVgprs: 30
; ScratchSize: 0
; MemoryBound: 0
; FloatMode: 240
; IeeeMode: 1
; LDSByteSize: 0 bytes/workgroup (compile time only)
; SGPRBlocks: 0
; VGPRBlocks: 3
; NumSGPRsForWavesPerEU: 27
; NumVGPRsForWavesPerEU: 30
; Occupancy: 16
; WaveLimiterHint : 0
; COMPUTE_PGM_RSRC2:SCRATCH_EN: 0
; COMPUTE_PGM_RSRC2:USER_SGPR: 2
; COMPUTE_PGM_RSRC2:TRAP_HANDLER: 0
; COMPUTE_PGM_RSRC2:TGID_X_EN: 1
; COMPUTE_PGM_RSRC2:TGID_Y_EN: 0
; COMPUTE_PGM_RSRC2:TGID_Z_EN: 0
; COMPUTE_PGM_RSRC2:TIDIG_COMP_CNT: 0
	.section	.text._ZN2at6native12_GLOBAL__N_125multi_tensor_apply_kernelINS1_18TensorListMetadataILi1EEENS1_21BinaryOpScalarFunctorIhLi1ELi1ELi0EEEJNS1_13power_functorIhEEhEEEvT_T0_DpT1_,"axG",@progbits,_ZN2at6native12_GLOBAL__N_125multi_tensor_apply_kernelINS1_18TensorListMetadataILi1EEENS1_21BinaryOpScalarFunctorIhLi1ELi1ELi0EEEJNS1_13power_functorIhEEhEEEvT_T0_DpT1_,comdat
	.globl	_ZN2at6native12_GLOBAL__N_125multi_tensor_apply_kernelINS1_18TensorListMetadataILi1EEENS1_21BinaryOpScalarFunctorIhLi1ELi1ELi0EEEJNS1_13power_functorIhEEhEEEvT_T0_DpT1_ ; -- Begin function _ZN2at6native12_GLOBAL__N_125multi_tensor_apply_kernelINS1_18TensorListMetadataILi1EEENS1_21BinaryOpScalarFunctorIhLi1ELi1ELi0EEEJNS1_13power_functorIhEEhEEEvT_T0_DpT1_
	.p2align	8
	.type	_ZN2at6native12_GLOBAL__N_125multi_tensor_apply_kernelINS1_18TensorListMetadataILi1EEENS1_21BinaryOpScalarFunctorIhLi1ELi1ELi0EEEJNS1_13power_functorIhEEhEEEvT_T0_DpT1_,@function
_ZN2at6native12_GLOBAL__N_125multi_tensor_apply_kernelINS1_18TensorListMetadataILi1EEENS1_21BinaryOpScalarFunctorIhLi1ELi1ELi0EEEJNS1_13power_functorIhEEhEEEvT_T0_DpT1_: ; @_ZN2at6native12_GLOBAL__N_125multi_tensor_apply_kernelINS1_18TensorListMetadataILi1EEENS1_21BinaryOpScalarFunctorIhLi1ELi1ELi0EEEJNS1_13power_functorIhEEhEEEvT_T0_DpT1_
; %bb.0:
	s_load_u8 s6, s[0:1], ttmp9 offset:0x6e0
	s_mov_b32 s2, ttmp9
	s_mov_b32 s3, 0
	s_delay_alu instid0(SALU_CYCLE_1) | instskip(SKIP_1) | instid1(SALU_CYCLE_1)
	s_mul_u64 s[4:5], s[2:3], 3
	s_add_nc_u64 s[2:3], s[0:1], s[2:3]
	s_add_nc_u64 s[2:3], s[2:3], s[4:5]
	s_load_b32 s2, s[2:3], 0x820
	s_wait_kmcnt 0x0
	s_lshl_b32 s3, s6, 3
	s_clause 0x2
	s_load_b64 s[4:5], s[0:1], s3 offset:0x0
	s_load_b64 s[8:9], s[0:1], s3 offset:0x370
	s_load_b32 s19, s[0:1], 0xd28
	s_ashr_i32 s3, s2, 31
	s_delay_alu instid0(SALU_CYCLE_1) | instskip(SKIP_2) | instid1(SALU_CYCLE_1)
	s_lshl_b64 s[2:3], s[2:3], 16
	s_wait_kmcnt 0x0
	s_add_nc_u64 s[6:7], s[4:5], s[2:3]
	s_or_b32 s4, s8, s6
	s_lshr_b32 s18, s19, 16
	s_and_b32 s4, s4, 3
	s_sub_nc_u64 s[8:9], s[8:9], s[2:3]
	s_cmp_eq_u32 s4, 0
	s_cbranch_scc1 .LBB48_33
; %bb.1:
	v_cmp_lt_i64_e64 s2, s[8:9], 1
	s_and_b32 vcc_lo, exec_lo, s2
	s_cbranch_vccnz .LBB48_32
; %bb.2:
	s_load_b32 s2, s[0:1], 0xd3c
	v_cmp_gt_i64_e64 s3, 0x10000, s[8:9]
	v_cmp_gt_u64_e64 s4, 0x10000, s[8:9]
	s_mov_b32 s15, 0
	s_mov_b64 s[16:17], 0
	s_and_b32 s3, s3, exec_lo
	s_cselect_b32 s11, s9, 0
	s_cselect_b32 s10, s8, 0x10000
	s_wait_kmcnt 0x0
	s_and_b32 s20, s2, 0xffff
	s_and_b32 s2, s4, exec_lo
	s_cselect_b32 s13, s9, 0
	s_cselect_b32 s12, s8, 0x10000
	s_bfe_u32 s2, s19, 0x80010
	s_lshl_b32 s21, s20, 1
	s_cmp_lg_u32 s2, 0
	s_mul_i32 s23, s20, 3
	s_cselect_b32 s22, -1, 0
	s_lshl_b32 s14, s20, 2
	s_branch .LBB48_4
.LBB48_3:                               ;   in Loop: Header=BB48_4 Depth=1
	s_wait_alu 0xfffe
	s_or_b32 exec_lo, exec_lo, s2
	s_add_nc_u64 s[16:17], s[16:17], s[14:15]
	s_wait_alu 0xfffe
	v_cmp_ge_i64_e64 s2, s[16:17], s[10:11]
	s_and_b32 vcc_lo, exec_lo, s2
	s_wait_alu 0xfffe
	s_cbranch_vccnz .LBB48_32
.LBB48_4:                               ; =>This Loop Header: Depth=1
                                        ;     Child Loop BB48_14 Depth 2
                                        ;     Child Loop BB48_17 Depth 2
	;; [unrolled: 1-line block ×4, first 2 shown]
	v_add_co_u32 v1, s2, s16, v0
	s_wait_alu 0xf1ff
	v_add_co_ci_u32_e64 v2, null, s17, 0, s2
	v_mov_b32_e32 v12, 0
	s_delay_alu instid0(VALU_DEP_2)
	v_cmp_gt_u64_e64 s2, s[12:13], v[1:2]
	s_and_saveexec_b32 s3, s2
	s_cbranch_execz .LBB48_6
; %bb.5:                                ;   in Loop: Header=BB48_4 Depth=1
	v_add_co_u32 v3, vcc_lo, s6, v1
	s_wait_alu 0xfffd
	v_add_co_ci_u32_e64 v4, null, s7, v2, vcc_lo
	global_load_u8 v12, v[3:4], off
.LBB48_6:                               ;   in Loop: Header=BB48_4 Depth=1
	s_wait_alu 0xfffe
	s_or_b32 exec_lo, exec_lo, s3
	v_add_co_u32 v3, vcc_lo, v1, s20
	s_wait_alu 0xfffd
	v_add_co_ci_u32_e64 v4, null, 0, v2, vcc_lo
	v_dual_mov_b32 v10, 0 :: v_dual_mov_b32 v13, 0
	s_delay_alu instid0(VALU_DEP_2)
	v_cmp_gt_u64_e64 s3, s[12:13], v[3:4]
	s_and_saveexec_b32 s4, s3
	s_cbranch_execz .LBB48_8
; %bb.7:                                ;   in Loop: Header=BB48_4 Depth=1
	v_add_co_u32 v5, vcc_lo, s6, v3
	s_wait_alu 0xfffd
	v_add_co_ci_u32_e64 v6, null, s7, v4, vcc_lo
	global_load_u8 v13, v[5:6], off
.LBB48_8:                               ;   in Loop: Header=BB48_4 Depth=1
	s_or_b32 exec_lo, exec_lo, s4
	v_add_co_u32 v5, vcc_lo, v1, s21
	s_wait_alu 0xfffd
	v_add_co_ci_u32_e64 v6, null, 0, v2, vcc_lo
	s_delay_alu instid0(VALU_DEP_1)
	v_cmp_gt_u64_e64 s4, s[12:13], v[5:6]
	s_and_saveexec_b32 s5, s4
	s_cbranch_execz .LBB48_10
; %bb.9:                                ;   in Loop: Header=BB48_4 Depth=1
	v_add_co_u32 v7, vcc_lo, s6, v5
	s_wait_alu 0xfffd
	v_add_co_ci_u32_e64 v8, null, s7, v6, vcc_lo
	global_load_u8 v10, v[7:8], off
.LBB48_10:                              ;   in Loop: Header=BB48_4 Depth=1
	s_or_b32 exec_lo, exec_lo, s5
	v_add_co_u32 v7, vcc_lo, v1, s23
	s_wait_alu 0xfffd
	v_add_co_ci_u32_e64 v8, null, 0, v2, vcc_lo
	v_mov_b32_e32 v11, 0
	s_delay_alu instid0(VALU_DEP_2)
	v_cmp_gt_u64_e64 s5, s[12:13], v[7:8]
	s_and_saveexec_b32 s24, s5
	s_cbranch_execz .LBB48_12
; %bb.11:                               ;   in Loop: Header=BB48_4 Depth=1
	v_add_co_u32 v14, vcc_lo, s6, v7
	s_wait_alu 0xfffd
	v_add_co_ci_u32_e64 v15, null, s7, v8, vcc_lo
	global_load_u8 v11, v[14:15], off
.LBB48_12:                              ;   in Loop: Header=BB48_4 Depth=1
	s_or_b32 exec_lo, exec_lo, s24
	v_mov_b32_e32 v9, 1
	s_and_not1_b32 vcc_lo, exec_lo, s22
	s_wait_alu 0xfffe
	s_cbranch_vccnz .LBB48_15
; %bb.13:                               ;   in Loop: Header=BB48_4 Depth=1
	s_mov_b32 s24, s18
.LBB48_14:                              ;   Parent Loop BB48_4 Depth=1
                                        ; =>  This Inner Loop Header: Depth=2
	s_delay_alu instid0(SALU_CYCLE_1)
	s_and_b32 s25, s24, 0xff
	s_bitcmp1_b32 s24, 0
	s_cselect_b32 vcc_lo, -1, 0
	s_bfe_u32 s24, s24, 0x70001
	s_wait_loadcnt 0x0
	s_wait_alu 0xfffe
	v_cndmask_b32_e32 v14, 1, v12, vcc_lo
	v_mul_lo_u16 v12, v12, v12
	s_cmp_gt_u32 s25, 1
	s_delay_alu instid0(VALU_DEP_2)
	v_mul_lo_u16 v9, v14, v9
	s_cbranch_scc1 .LBB48_14
.LBB48_15:                              ;   in Loop: Header=BB48_4 Depth=1
	s_and_not1_b32 vcc_lo, exec_lo, s22
	s_wait_alu 0xfffe
	s_cbranch_vccnz .LBB48_21
; %bb.16:                               ;   in Loop: Header=BB48_4 Depth=1
	s_wait_loadcnt 0x0
	v_mov_b32_e32 v12, 1
	s_mov_b32 s24, s18
.LBB48_17:                              ;   Parent Loop BB48_4 Depth=1
                                        ; =>  This Inner Loop Header: Depth=2
	s_delay_alu instid0(SALU_CYCLE_1)
	s_and_b32 s25, s24, 0xff
	s_bitcmp1_b32 s24, 0
	s_cselect_b32 vcc_lo, -1, 0
	s_bfe_u32 s24, s24, 0x70001
	s_wait_alu 0xfffe
	v_cndmask_b32_e32 v14, 1, v13, vcc_lo
	v_mul_lo_u16 v13, v13, v13
	s_cmp_gt_u32 s25, 1
	s_delay_alu instid0(VALU_DEP_2)
	v_mul_lo_u16 v12, v14, v12
	s_cbranch_scc1 .LBB48_17
; %bb.18:                               ;   in Loop: Header=BB48_4 Depth=1
	v_mov_b32_e32 v13, 1
	s_mov_b32 s24, s18
.LBB48_19:                              ;   Parent Loop BB48_4 Depth=1
                                        ; =>  This Inner Loop Header: Depth=2
	s_delay_alu instid0(SALU_CYCLE_1)
	s_and_b32 s25, s24, 0xff
	s_bitcmp1_b32 s24, 0
	s_cselect_b32 vcc_lo, -1, 0
	s_bfe_u32 s24, s24, 0x70001
	s_wait_alu 0xfffe
	v_cndmask_b32_e32 v14, 1, v10, vcc_lo
	v_mul_lo_u16 v10, v10, v10
	s_cmp_gt_u32 s25, 1
	s_delay_alu instid0(VALU_DEP_2)
	v_mul_lo_u16 v13, v14, v13
	s_cbranch_scc1 .LBB48_19
; %bb.20:                               ;   in Loop: Header=BB48_4 Depth=1
	v_mov_b32_e32 v10, 1
	s_and_not1_b32 vcc_lo, exec_lo, s22
	s_wait_alu 0xfffe
	s_cbranch_vccz .LBB48_22
	s_branch .LBB48_24
.LBB48_21:                              ;   in Loop: Header=BB48_4 Depth=1
	s_wait_loadcnt 0x0
	v_dual_mov_b32 v13, 1 :: v_dual_mov_b32 v12, 1
	v_mov_b32_e32 v10, 1
	s_and_not1_b32 vcc_lo, exec_lo, s22
	s_wait_alu 0xfffe
	s_cbranch_vccnz .LBB48_24
.LBB48_22:                              ;   in Loop: Header=BB48_4 Depth=1
	s_mov_b32 s24, s18
.LBB48_23:                              ;   Parent Loop BB48_4 Depth=1
                                        ; =>  This Inner Loop Header: Depth=2
	s_delay_alu instid0(SALU_CYCLE_1)
	s_and_b32 s25, s24, 0xff
	s_bitcmp1_b32 s24, 0
	s_cselect_b32 vcc_lo, -1, 0
	s_bfe_u32 s24, s24, 0x70001
	s_wait_alu 0xfffe
	v_cndmask_b32_e32 v14, 1, v11, vcc_lo
	v_mul_lo_u16 v11, v11, v11
	s_cmp_gt_u32 s25, 1
	s_delay_alu instid0(VALU_DEP_2)
	v_mul_lo_u16 v10, v14, v10
	s_cbranch_scc1 .LBB48_23
.LBB48_24:                              ;   in Loop: Header=BB48_4 Depth=1
	s_and_saveexec_b32 s24, s2
	s_delay_alu instid0(SALU_CYCLE_1)
	s_xor_b32 s2, exec_lo, s24
	s_cbranch_execz .LBB48_26
; %bb.25:                               ;   in Loop: Header=BB48_4 Depth=1
	v_add_co_u32 v1, vcc_lo, s6, v1
	s_wait_alu 0xfffd
	v_add_co_ci_u32_e64 v2, null, s7, v2, vcc_lo
	global_store_b8 v[1:2], v9, off
.LBB48_26:                              ;   in Loop: Header=BB48_4 Depth=1
	s_wait_alu 0xfffe
	s_or_b32 exec_lo, exec_lo, s2
	s_and_saveexec_b32 s2, s3
	s_cbranch_execnz .LBB48_29
; %bb.27:                               ;   in Loop: Header=BB48_4 Depth=1
	s_wait_alu 0xfffe
	s_or_b32 exec_lo, exec_lo, s2
	s_and_saveexec_b32 s2, s4
	s_cbranch_execnz .LBB48_30
.LBB48_28:                              ;   in Loop: Header=BB48_4 Depth=1
	s_wait_alu 0xfffe
	s_or_b32 exec_lo, exec_lo, s2
	s_and_saveexec_b32 s2, s5
	s_cbranch_execz .LBB48_3
	s_branch .LBB48_31
.LBB48_29:                              ;   in Loop: Header=BB48_4 Depth=1
	v_add_co_u32 v1, vcc_lo, s6, v3
	s_wait_alu 0xfffd
	v_add_co_ci_u32_e64 v2, null, s7, v4, vcc_lo
	global_store_b8 v[1:2], v12, off
	s_wait_alu 0xfffe
	s_or_b32 exec_lo, exec_lo, s2
	s_and_saveexec_b32 s2, s4
	s_cbranch_execz .LBB48_28
.LBB48_30:                              ;   in Loop: Header=BB48_4 Depth=1
	v_add_co_u32 v1, vcc_lo, s6, v5
	s_wait_alu 0xfffd
	v_add_co_ci_u32_e64 v2, null, s7, v6, vcc_lo
	global_store_b8 v[1:2], v13, off
	s_wait_alu 0xfffe
	s_or_b32 exec_lo, exec_lo, s2
	s_and_saveexec_b32 s2, s5
	s_cbranch_execz .LBB48_3
.LBB48_31:                              ;   in Loop: Header=BB48_4 Depth=1
	v_add_co_u32 v1, vcc_lo, s6, v7
	s_wait_alu 0xfffd
	v_add_co_ci_u32_e64 v2, null, s7, v8, vcc_lo
	global_store_b8 v[1:2], v10, off
	s_branch .LBB48_3
.LBB48_32:
	s_cbranch_execz .LBB48_34
	s_branch .LBB48_49
.LBB48_33:
.LBB48_34:
	v_cmp_gt_i64_e64 s2, 0x10000, s[8:9]
	v_dual_mov_b32 v2, 0 :: v_dual_lshlrev_b32 v1, 2, v0
	s_mov_b32 s4, 0
	s_mov_b32 s5, exec_lo
	s_and_b32 s2, s2, exec_lo
	s_cselect_b32 s3, s9, 0
	s_cselect_b32 s2, s8, 0x10000
	s_wait_alu 0xfffe
	v_cmpx_gt_i64_e64 s[2:3], v[1:2]
	s_cbranch_execz .LBB48_49
; %bb.35:
	s_load_b32 s1, s[0:1], 0xd3c
	s_bfe_u32 s0, s19, 0x80010
	v_mov_b32_e32 v1, v2
	s_cmp_lg_u32 s0, 0
	s_cselect_b32 s0, -1, 0
	s_wait_kmcnt 0x0
	s_and_b32 s1, s1, 0xffff
	s_branch .LBB48_38
.LBB48_36:                              ;   in Loop: Header=BB48_38 Depth=1
	s_wait_loadcnt 0x0
	v_dual_mov_b32 v6, 1 :: v_dual_mov_b32 v7, 1
.LBB48_37:                              ;   in Loop: Header=BB48_38 Depth=1
	v_add_co_u32 v0, vcc_lo, v0, s1
	s_wait_alu 0xfffd
	v_add_co_ci_u32_e64 v1, null, 0, v1, vcc_lo
	v_perm_b32 v4, v4, v5, 0xc0c0004
	v_perm_b32 v5, v7, v6, 0xc0c0004
	s_delay_alu instid0(VALU_DEP_3) | instskip(NEXT) | instid1(VALU_DEP_2)
	v_lshlrev_b64_e32 v[8:9], 2, v[0:1]
	v_lshl_or_b32 v4, v5, 16, v4
	s_delay_alu instid0(VALU_DEP_2) | instskip(SKIP_2) | instid1(SALU_CYCLE_1)
	v_cmp_le_i64_e32 vcc_lo, s[2:3], v[8:9]
	global_store_b32 v[2:3], v4, off
	s_or_b32 s4, vcc_lo, s4
	s_and_not1_b32 exec_lo, exec_lo, s4
	s_cbranch_execz .LBB48_49
.LBB48_38:                              ; =>This Loop Header: Depth=1
                                        ;     Child Loop BB48_40 Depth 2
                                        ;     Child Loop BB48_42 Depth 2
	;; [unrolled: 1-line block ×4, first 2 shown]
	v_lshlrev_b64_e32 v[2:3], 2, v[0:1]
	s_delay_alu instid0(VALU_DEP_1) | instskip(SKIP_1) | instid1(VALU_DEP_2)
	v_add_co_u32 v2, vcc_lo, s6, v2
	s_wait_alu 0xfffd
	v_add_co_ci_u32_e64 v3, null, s7, v3, vcc_lo
	s_and_not1_b32 vcc_lo, exec_lo, s0
	global_load_b32 v6, v[2:3], off
	s_wait_alu 0xfffe
	s_cbranch_vccnz .LBB48_44
; %bb.39:                               ;   in Loop: Header=BB48_38 Depth=1
	s_wait_loadcnt 0x0
	v_dual_mov_b32 v4, 1 :: v_dual_mov_b32 v5, v6
	s_mov_b32 s5, s18
.LBB48_40:                              ;   Parent Loop BB48_38 Depth=1
                                        ; =>  This Inner Loop Header: Depth=2
	s_delay_alu instid0(SALU_CYCLE_1)
	s_and_b32 s8, s5, 0xff
	s_bitcmp1_b32 s5, 0
	s_cselect_b32 vcc_lo, -1, 0
	s_bfe_u32 s5, s5, 0x70001
	s_wait_alu 0xfffe
	v_cndmask_b32_e32 v7, 1, v5, vcc_lo
	v_mul_lo_u16 v5, v5, v5
	s_cmp_gt_u32 s8, 1
	s_delay_alu instid0(VALU_DEP_2)
	v_mul_lo_u16 v4, v7, v4
	s_cbranch_scc1 .LBB48_40
; %bb.41:                               ;   in Loop: Header=BB48_38 Depth=1
	v_lshrrev_b32_e32 v7, 8, v6
	v_mov_b32_e32 v5, 1
	s_mov_b32 s5, s18
.LBB48_42:                              ;   Parent Loop BB48_38 Depth=1
                                        ; =>  This Inner Loop Header: Depth=2
	s_delay_alu instid0(SALU_CYCLE_1)
	s_and_b32 s8, s5, 0xff
	s_bitcmp1_b32 s5, 0
	s_cselect_b32 vcc_lo, -1, 0
	s_bfe_u32 s5, s5, 0x70001
	s_wait_alu 0xfffe
	v_cndmask_b32_e32 v8, 1, v7, vcc_lo
	v_mul_lo_u16 v7, v7, v7
	s_cmp_gt_u32 s8, 1
	s_delay_alu instid0(VALU_DEP_2)
	v_mul_lo_u16 v5, v8, v5
	s_cbranch_scc1 .LBB48_42
; %bb.43:                               ;   in Loop: Header=BB48_38 Depth=1
	s_and_not1_b32 vcc_lo, exec_lo, s0
	s_wait_alu 0xfffe
	s_cbranch_vccz .LBB48_45
	s_branch .LBB48_36
.LBB48_44:                              ;   in Loop: Header=BB48_38 Depth=1
	v_dual_mov_b32 v5, 1 :: v_dual_mov_b32 v4, 1
	s_and_not1_b32 vcc_lo, exec_lo, s0
	s_wait_alu 0xfffe
	s_cbranch_vccnz .LBB48_36
.LBB48_45:                              ;   in Loop: Header=BB48_38 Depth=1
	s_wait_loadcnt 0x0
	v_lshrrev_b32_e32 v8, 16, v6
	v_mov_b32_e32 v7, 1
	s_mov_b32 s5, s18
.LBB48_46:                              ;   Parent Loop BB48_38 Depth=1
                                        ; =>  This Inner Loop Header: Depth=2
	s_delay_alu instid0(SALU_CYCLE_1)
	s_and_b32 s8, s5, 0xff
	s_bitcmp1_b32 s5, 0
	s_cselect_b32 vcc_lo, -1, 0
	s_bfe_u32 s5, s5, 0x70001
	s_wait_alu 0xfffe
	v_cndmask_b32_e32 v9, 1, v8, vcc_lo
	v_mul_lo_u16 v8, v8, v8
	s_cmp_gt_u32 s8, 1
	s_delay_alu instid0(VALU_DEP_2)
	v_mul_lo_u16 v7, v9, v7
	s_cbranch_scc1 .LBB48_46
; %bb.47:                               ;   in Loop: Header=BB48_38 Depth=1
	v_lshrrev_b32_e32 v8, 24, v6
	v_mov_b32_e32 v6, 1
	s_mov_b32 s5, s18
.LBB48_48:                              ;   Parent Loop BB48_38 Depth=1
                                        ; =>  This Inner Loop Header: Depth=2
	s_delay_alu instid0(SALU_CYCLE_1)
	s_and_b32 s8, s5, 0xff
	s_bitcmp1_b32 s5, 0
	s_cselect_b32 vcc_lo, -1, 0
	s_bfe_u32 s5, s5, 0x70001
	s_wait_alu 0xfffe
	v_cndmask_b32_e32 v9, 1, v8, vcc_lo
	v_mul_lo_u16 v8, v8, v8
	s_cmp_gt_u32 s8, 1
	s_delay_alu instid0(VALU_DEP_2)
	v_mul_lo_u16 v6, v9, v6
	s_cbranch_scc1 .LBB48_48
	s_branch .LBB48_37
.LBB48_49:
	s_endpgm
	.section	.rodata,"a",@progbits
	.p2align	6, 0x0
	.amdhsa_kernel _ZN2at6native12_GLOBAL__N_125multi_tensor_apply_kernelINS1_18TensorListMetadataILi1EEENS1_21BinaryOpScalarFunctorIhLi1ELi1ELi0EEEJNS1_13power_functorIhEEhEEEvT_T0_DpT1_
		.amdhsa_group_segment_fixed_size 0
		.amdhsa_private_segment_fixed_size 0
		.amdhsa_kernarg_size 3632
		.amdhsa_user_sgpr_count 2
		.amdhsa_user_sgpr_dispatch_ptr 0
		.amdhsa_user_sgpr_queue_ptr 0
		.amdhsa_user_sgpr_kernarg_segment_ptr 1
		.amdhsa_user_sgpr_dispatch_id 0
		.amdhsa_user_sgpr_private_segment_size 0
		.amdhsa_wavefront_size32 1
		.amdhsa_uses_dynamic_stack 0
		.amdhsa_enable_private_segment 0
		.amdhsa_system_sgpr_workgroup_id_x 1
		.amdhsa_system_sgpr_workgroup_id_y 0
		.amdhsa_system_sgpr_workgroup_id_z 0
		.amdhsa_system_sgpr_workgroup_info 0
		.amdhsa_system_vgpr_workitem_id 0
		.amdhsa_next_free_vgpr 16
		.amdhsa_next_free_sgpr 26
		.amdhsa_reserve_vcc 1
		.amdhsa_float_round_mode_32 0
		.amdhsa_float_round_mode_16_64 0
		.amdhsa_float_denorm_mode_32 3
		.amdhsa_float_denorm_mode_16_64 3
		.amdhsa_fp16_overflow 0
		.amdhsa_workgroup_processor_mode 1
		.amdhsa_memory_ordered 1
		.amdhsa_forward_progress 1
		.amdhsa_inst_pref_size 15
		.amdhsa_round_robin_scheduling 0
		.amdhsa_exception_fp_ieee_invalid_op 0
		.amdhsa_exception_fp_denorm_src 0
		.amdhsa_exception_fp_ieee_div_zero 0
		.amdhsa_exception_fp_ieee_overflow 0
		.amdhsa_exception_fp_ieee_underflow 0
		.amdhsa_exception_fp_ieee_inexact 0
		.amdhsa_exception_int_div_zero 0
	.end_amdhsa_kernel
	.section	.text._ZN2at6native12_GLOBAL__N_125multi_tensor_apply_kernelINS1_18TensorListMetadataILi1EEENS1_21BinaryOpScalarFunctorIhLi1ELi1ELi0EEEJNS1_13power_functorIhEEhEEEvT_T0_DpT1_,"axG",@progbits,_ZN2at6native12_GLOBAL__N_125multi_tensor_apply_kernelINS1_18TensorListMetadataILi1EEENS1_21BinaryOpScalarFunctorIhLi1ELi1ELi0EEEJNS1_13power_functorIhEEhEEEvT_T0_DpT1_,comdat
.Lfunc_end48:
	.size	_ZN2at6native12_GLOBAL__N_125multi_tensor_apply_kernelINS1_18TensorListMetadataILi1EEENS1_21BinaryOpScalarFunctorIhLi1ELi1ELi0EEEJNS1_13power_functorIhEEhEEEvT_T0_DpT1_, .Lfunc_end48-_ZN2at6native12_GLOBAL__N_125multi_tensor_apply_kernelINS1_18TensorListMetadataILi1EEENS1_21BinaryOpScalarFunctorIhLi1ELi1ELi0EEEJNS1_13power_functorIhEEhEEEvT_T0_DpT1_
                                        ; -- End function
	.set _ZN2at6native12_GLOBAL__N_125multi_tensor_apply_kernelINS1_18TensorListMetadataILi1EEENS1_21BinaryOpScalarFunctorIhLi1ELi1ELi0EEEJNS1_13power_functorIhEEhEEEvT_T0_DpT1_.num_vgpr, 16
	.set _ZN2at6native12_GLOBAL__N_125multi_tensor_apply_kernelINS1_18TensorListMetadataILi1EEENS1_21BinaryOpScalarFunctorIhLi1ELi1ELi0EEEJNS1_13power_functorIhEEhEEEvT_T0_DpT1_.num_agpr, 0
	.set _ZN2at6native12_GLOBAL__N_125multi_tensor_apply_kernelINS1_18TensorListMetadataILi1EEENS1_21BinaryOpScalarFunctorIhLi1ELi1ELi0EEEJNS1_13power_functorIhEEhEEEvT_T0_DpT1_.numbered_sgpr, 26
	.set _ZN2at6native12_GLOBAL__N_125multi_tensor_apply_kernelINS1_18TensorListMetadataILi1EEENS1_21BinaryOpScalarFunctorIhLi1ELi1ELi0EEEJNS1_13power_functorIhEEhEEEvT_T0_DpT1_.num_named_barrier, 0
	.set _ZN2at6native12_GLOBAL__N_125multi_tensor_apply_kernelINS1_18TensorListMetadataILi1EEENS1_21BinaryOpScalarFunctorIhLi1ELi1ELi0EEEJNS1_13power_functorIhEEhEEEvT_T0_DpT1_.private_seg_size, 0
	.set _ZN2at6native12_GLOBAL__N_125multi_tensor_apply_kernelINS1_18TensorListMetadataILi1EEENS1_21BinaryOpScalarFunctorIhLi1ELi1ELi0EEEJNS1_13power_functorIhEEhEEEvT_T0_DpT1_.uses_vcc, 1
	.set _ZN2at6native12_GLOBAL__N_125multi_tensor_apply_kernelINS1_18TensorListMetadataILi1EEENS1_21BinaryOpScalarFunctorIhLi1ELi1ELi0EEEJNS1_13power_functorIhEEhEEEvT_T0_DpT1_.uses_flat_scratch, 0
	.set _ZN2at6native12_GLOBAL__N_125multi_tensor_apply_kernelINS1_18TensorListMetadataILi1EEENS1_21BinaryOpScalarFunctorIhLi1ELi1ELi0EEEJNS1_13power_functorIhEEhEEEvT_T0_DpT1_.has_dyn_sized_stack, 0
	.set _ZN2at6native12_GLOBAL__N_125multi_tensor_apply_kernelINS1_18TensorListMetadataILi1EEENS1_21BinaryOpScalarFunctorIhLi1ELi1ELi0EEEJNS1_13power_functorIhEEhEEEvT_T0_DpT1_.has_recursion, 0
	.set _ZN2at6native12_GLOBAL__N_125multi_tensor_apply_kernelINS1_18TensorListMetadataILi1EEENS1_21BinaryOpScalarFunctorIhLi1ELi1ELi0EEEJNS1_13power_functorIhEEhEEEvT_T0_DpT1_.has_indirect_call, 0
	.section	.AMDGPU.csdata,"",@progbits
; Kernel info:
; codeLenInByte = 1832
; TotalNumSgprs: 28
; NumVgprs: 16
; ScratchSize: 0
; MemoryBound: 0
; FloatMode: 240
; IeeeMode: 1
; LDSByteSize: 0 bytes/workgroup (compile time only)
; SGPRBlocks: 0
; VGPRBlocks: 1
; NumSGPRsForWavesPerEU: 28
; NumVGPRsForWavesPerEU: 16
; Occupancy: 16
; WaveLimiterHint : 0
; COMPUTE_PGM_RSRC2:SCRATCH_EN: 0
; COMPUTE_PGM_RSRC2:USER_SGPR: 2
; COMPUTE_PGM_RSRC2:TRAP_HANDLER: 0
; COMPUTE_PGM_RSRC2:TGID_X_EN: 1
; COMPUTE_PGM_RSRC2:TGID_Y_EN: 0
; COMPUTE_PGM_RSRC2:TGID_Z_EN: 0
; COMPUTE_PGM_RSRC2:TIDIG_COMP_CNT: 0
	.section	.text._ZN2at6native12_GLOBAL__N_125multi_tensor_apply_kernelINS1_18TensorListMetadataILi1EEENS1_21BinaryOpScalarFunctorIaLi1ELi1ELi0EEEJNS1_13power_functorIaEEaEEEvT_T0_DpT1_,"axG",@progbits,_ZN2at6native12_GLOBAL__N_125multi_tensor_apply_kernelINS1_18TensorListMetadataILi1EEENS1_21BinaryOpScalarFunctorIaLi1ELi1ELi0EEEJNS1_13power_functorIaEEaEEEvT_T0_DpT1_,comdat
	.globl	_ZN2at6native12_GLOBAL__N_125multi_tensor_apply_kernelINS1_18TensorListMetadataILi1EEENS1_21BinaryOpScalarFunctorIaLi1ELi1ELi0EEEJNS1_13power_functorIaEEaEEEvT_T0_DpT1_ ; -- Begin function _ZN2at6native12_GLOBAL__N_125multi_tensor_apply_kernelINS1_18TensorListMetadataILi1EEENS1_21BinaryOpScalarFunctorIaLi1ELi1ELi0EEEJNS1_13power_functorIaEEaEEEvT_T0_DpT1_
	.p2align	8
	.type	_ZN2at6native12_GLOBAL__N_125multi_tensor_apply_kernelINS1_18TensorListMetadataILi1EEENS1_21BinaryOpScalarFunctorIaLi1ELi1ELi0EEEJNS1_13power_functorIaEEaEEEvT_T0_DpT1_,@function
_ZN2at6native12_GLOBAL__N_125multi_tensor_apply_kernelINS1_18TensorListMetadataILi1EEENS1_21BinaryOpScalarFunctorIaLi1ELi1ELi0EEEJNS1_13power_functorIaEEaEEEvT_T0_DpT1_: ; @_ZN2at6native12_GLOBAL__N_125multi_tensor_apply_kernelINS1_18TensorListMetadataILi1EEENS1_21BinaryOpScalarFunctorIaLi1ELi1ELi0EEEJNS1_13power_functorIaEEaEEEvT_T0_DpT1_
; %bb.0:
	s_load_u8 s6, s[0:1], ttmp9 offset:0x6e0
	s_mov_b32 s2, ttmp9
	s_mov_b32 s3, 0
	s_delay_alu instid0(SALU_CYCLE_1) | instskip(SKIP_1) | instid1(SALU_CYCLE_1)
	s_mul_u64 s[4:5], s[2:3], 3
	s_add_nc_u64 s[2:3], s[0:1], s[2:3]
	s_add_nc_u64 s[2:3], s[2:3], s[4:5]
	s_load_b32 s2, s[2:3], 0x820
	s_wait_kmcnt 0x0
	s_lshl_b32 s3, s6, 3
	s_clause 0x2
	s_load_b64 s[4:5], s[0:1], s3 offset:0x0
	s_load_b64 s[10:11], s[0:1], s3 offset:0x370
	s_load_b32 s20, s[0:1], 0xd28
	s_ashr_i32 s3, s2, 31
	s_delay_alu instid0(SALU_CYCLE_1) | instskip(SKIP_2) | instid1(SALU_CYCLE_1)
	s_lshl_b64 s[2:3], s[2:3], 16
	s_wait_kmcnt 0x0
	s_add_nc_u64 s[8:9], s[4:5], s[2:3]
	s_or_b32 s4, s10, s8
	s_lshr_b32 s7, s20, 16
	s_and_b32 s4, s4, 3
	s_sub_nc_u64 s[10:11], s[10:11], s[2:3]
	s_cmp_eq_u32 s4, 0
	s_cbranch_scc1 .LBB49_73
; %bb.1:
	v_cmp_lt_i64_e64 s2, s[10:11], 1
	s_and_b32 vcc_lo, exec_lo, s2
	s_cbranch_vccnz .LBB49_72
; %bb.2:
	s_load_b32 s2, s[0:1], 0xd3c
	v_cmp_gt_i64_e64 s3, 0x10000, s[10:11]
	v_cmp_gt_u64_e64 s4, 0x10000, s[10:11]
	s_mov_b32 s17, 0
	s_mov_b64 s[18:19], 0
	s_and_b32 s3, s3, exec_lo
	s_cselect_b32 s13, s11, 0
	s_cselect_b32 s12, s10, 0x10000
	s_wait_kmcnt 0x0
	s_and_b32 s21, s2, 0xffff
	s_and_b32 s2, s4, exec_lo
	s_cselect_b32 s15, s11, 0
	s_cselect_b32 s14, s10, 0x10000
	s_bfe_i32 s2, s20, 0x80010
	s_lshl_b32 s22, s21, 1
	s_cmp_gt_i32 s2, -1
	s_mul_i32 s24, s21, 3
	s_cselect_b32 s23, -1, 0
	s_bfe_u32 s2, s20, 0x80010
	s_delay_alu instid0(SALU_CYCLE_1)
	s_cmp_lg_u32 s2, 0
	s_cselect_b32 s25, -1, 0
	s_bfe_u32 s2, s20, 0x10010
	v_cndmask_b32_e64 v9, 0, 1, s25
	s_cmp_eq_u32 s2, 0
	s_cselect_b32 s26, 1, 0xffff
	s_lshl_b32 s16, s21, 2
	s_branch .LBB49_4
.LBB49_3:                               ;   in Loop: Header=BB49_4 Depth=1
	s_wait_alu 0xfffe
	s_or_b32 exec_lo, exec_lo, s2
	s_add_nc_u64 s[18:19], s[18:19], s[16:17]
	s_wait_alu 0xfffe
	v_cmp_ge_i64_e64 s2, s[18:19], s[12:13]
	s_and_b32 vcc_lo, exec_lo, s2
	s_wait_alu 0xfffe
	s_cbranch_vccnz .LBB49_72
.LBB49_4:                               ; =>This Loop Header: Depth=1
                                        ;     Child Loop BB49_15 Depth 2
                                        ;     Child Loop BB49_20 Depth 2
	;; [unrolled: 1-line block ×4, first 2 shown]
	v_add_co_u32 v1, s2, s18, v0
	s_wait_alu 0xf1ff
	v_add_co_ci_u32_e64 v2, null, s19, 0, s2
	s_wait_loadcnt 0x0
	v_mov_b32_e32 v13, 0
	s_delay_alu instid0(VALU_DEP_2)
	v_cmp_gt_u64_e64 s2, s[14:15], v[1:2]
	s_and_saveexec_b32 s3, s2
	s_cbranch_execz .LBB49_6
; %bb.5:                                ;   in Loop: Header=BB49_4 Depth=1
	v_add_co_u32 v3, vcc_lo, s8, v1
	s_wait_alu 0xfffd
	v_add_co_ci_u32_e64 v4, null, s9, v2, vcc_lo
	global_load_u8 v13, v[3:4], off
.LBB49_6:                               ;   in Loop: Header=BB49_4 Depth=1
	s_wait_alu 0xfffe
	s_or_b32 exec_lo, exec_lo, s3
	v_add_co_u32 v3, vcc_lo, v1, s21
	s_wait_alu 0xfffd
	v_add_co_ci_u32_e64 v4, null, 0, v2, vcc_lo
	v_mov_b32_e32 v12, 0
	v_mov_b32_e32 v14, 0
	s_delay_alu instid0(VALU_DEP_3)
	v_cmp_gt_u64_e64 s3, s[14:15], v[3:4]
	s_and_saveexec_b32 s4, s3
	s_cbranch_execz .LBB49_8
; %bb.7:                                ;   in Loop: Header=BB49_4 Depth=1
	v_add_co_u32 v5, vcc_lo, s8, v3
	s_wait_alu 0xfffd
	v_add_co_ci_u32_e64 v6, null, s9, v4, vcc_lo
	global_load_u8 v14, v[5:6], off
.LBB49_8:                               ;   in Loop: Header=BB49_4 Depth=1
	s_or_b32 exec_lo, exec_lo, s4
	v_add_co_u32 v5, vcc_lo, v1, s22
	s_wait_alu 0xfffd
	v_add_co_ci_u32_e64 v6, null, 0, v2, vcc_lo
	s_delay_alu instid0(VALU_DEP_1)
	v_cmp_gt_u64_e64 s4, s[14:15], v[5:6]
	s_and_saveexec_b32 s5, s4
	s_cbranch_execz .LBB49_10
; %bb.9:                                ;   in Loop: Header=BB49_4 Depth=1
	v_add_co_u32 v7, vcc_lo, s8, v5
	s_wait_alu 0xfffd
	v_add_co_ci_u32_e64 v8, null, s9, v6, vcc_lo
	global_load_u8 v12, v[7:8], off
.LBB49_10:                              ;   in Loop: Header=BB49_4 Depth=1
	s_or_b32 exec_lo, exec_lo, s5
	v_add_co_u32 v7, vcc_lo, v1, s24
	s_wait_alu 0xfffd
	v_add_co_ci_u32_e64 v8, null, 0, v2, vcc_lo
	v_mov_b32_e32 v11, 0
	s_delay_alu instid0(VALU_DEP_2)
	v_cmp_gt_u64_e64 s5, s[14:15], v[7:8]
	s_and_saveexec_b32 s6, s5
	s_cbranch_execz .LBB49_12
; %bb.11:                               ;   in Loop: Header=BB49_4 Depth=1
	v_add_co_u32 v10, vcc_lo, s8, v7
	s_wait_alu 0xfffd
	v_add_co_ci_u32_e64 v11, null, s9, v8, vcc_lo
	global_load_u8 v11, v[10:11], off
.LBB49_12:                              ;   in Loop: Header=BB49_4 Depth=1
	s_or_b32 exec_lo, exec_lo, s6
	v_cmp_ne_u32_e64 s6, 1, v9
	s_and_b32 vcc_lo, exec_lo, s23
	s_mov_b32 s27, -1
                                        ; implicit-def: $vgpr10
	s_wait_alu 0xfffe
	s_cbranch_vccz .LBB49_36
; %bb.13:                               ;   in Loop: Header=BB49_4 Depth=1
	v_mov_b32_e32 v10, 1
	s_and_b32 vcc_lo, exec_lo, s6
	s_wait_alu 0xfffe
	s_cbranch_vccnz .LBB49_16
; %bb.14:                               ;   in Loop: Header=BB49_4 Depth=1
	s_wait_loadcnt 0x0
	v_mov_b32_e32 v15, v13
	s_mov_b32 s6, s7
.LBB49_15:                              ;   Parent Loop BB49_4 Depth=1
                                        ; =>  This Inner Loop Header: Depth=2
	s_delay_alu instid0(SALU_CYCLE_1)
	s_bfe_i32 s27, s6, 0x80000
	s_bitcmp1_b32 s6, 0
	s_wait_alu 0xfffe
	s_sext_i32_i16 s27, s27
	s_cselect_b32 vcc_lo, -1, 0
	s_bfe_u32 s6, s6, 0x70001
	s_wait_alu 0xfffe
	v_cndmask_b32_e32 v16, 1, v15, vcc_lo
	v_mul_lo_u16 v15, v15, v15
	s_cmp_gt_i32 s27, 1
	s_delay_alu instid0(VALU_DEP_2)
	v_mul_lo_u16 v10, v16, v10
	s_cbranch_scc1 .LBB49_15
.LBB49_16:                              ;   in Loop: Header=BB49_4 Depth=1
	s_cbranch_execz .LBB49_37
.LBB49_17:                              ;   in Loop: Header=BB49_4 Depth=1
	s_and_not1_b32 vcc_lo, exec_lo, s23
	s_mov_b32 s6, -1
                                        ; implicit-def: $vgpr13
	s_wait_alu 0xfffe
	s_cbranch_vccnz .LBB49_44
.LBB49_18:                              ;   in Loop: Header=BB49_4 Depth=1
	s_wait_loadcnt 0x0
	v_mov_b32_e32 v13, 1
	s_and_not1_b32 vcc_lo, exec_lo, s25
	s_wait_alu 0xfffe
	s_cbranch_vccnz .LBB49_21
; %bb.19:                               ;   in Loop: Header=BB49_4 Depth=1
	v_mov_b32_e32 v15, v14
	s_mov_b32 s6, s7
.LBB49_20:                              ;   Parent Loop BB49_4 Depth=1
                                        ; =>  This Inner Loop Header: Depth=2
	s_delay_alu instid0(SALU_CYCLE_1)
	s_bfe_i32 s27, s6, 0x80000
	s_bitcmp1_b32 s6, 0
	s_wait_alu 0xfffe
	s_sext_i32_i16 s27, s27
	s_cselect_b32 vcc_lo, -1, 0
	s_bfe_u32 s6, s6, 0x70001
	s_wait_alu 0xfffe
	v_cndmask_b32_e32 v16, 1, v15, vcc_lo
	v_mul_lo_u16 v15, v15, v15
	s_cmp_lt_i32 s27, 2
	s_delay_alu instid0(VALU_DEP_2)
	v_mul_lo_u16 v13, v16, v13
	s_cbranch_scc0 .LBB49_20
.LBB49_21:                              ;   in Loop: Header=BB49_4 Depth=1
	s_cbranch_execz .LBB49_45
.LBB49_22:                              ;   in Loop: Header=BB49_4 Depth=1
	s_and_not1_b32 vcc_lo, exec_lo, s23
	s_mov_b32 s6, -1
                                        ; implicit-def: $vgpr14
	s_wait_alu 0xfffe
	s_cbranch_vccnz .LBB49_52
.LBB49_23:                              ;   in Loop: Header=BB49_4 Depth=1
	s_wait_loadcnt 0x0
	v_mov_b32_e32 v14, 1
	s_and_not1_b32 vcc_lo, exec_lo, s25
	s_wait_alu 0xfffe
	s_cbranch_vccnz .LBB49_26
; %bb.24:                               ;   in Loop: Header=BB49_4 Depth=1
	v_mov_b32_e32 v15, v12
	s_mov_b32 s6, s7
.LBB49_25:                              ;   Parent Loop BB49_4 Depth=1
                                        ; =>  This Inner Loop Header: Depth=2
	s_delay_alu instid0(SALU_CYCLE_1)
	s_bfe_i32 s27, s6, 0x80000
	s_bitcmp1_b32 s6, 0
	s_wait_alu 0xfffe
	s_sext_i32_i16 s27, s27
	s_cselect_b32 vcc_lo, -1, 0
	s_bfe_u32 s6, s6, 0x70001
	s_wait_alu 0xfffe
	v_cndmask_b32_e32 v16, 1, v15, vcc_lo
	v_mul_lo_u16 v15, v15, v15
	s_cmp_lt_i32 s27, 2
	s_delay_alu instid0(VALU_DEP_2)
	v_mul_lo_u16 v14, v16, v14
	s_cbranch_scc0 .LBB49_25
.LBB49_26:                              ;   in Loop: Header=BB49_4 Depth=1
	s_cbranch_execz .LBB49_53
.LBB49_27:                              ;   in Loop: Header=BB49_4 Depth=1
	s_and_not1_b32 vcc_lo, exec_lo, s23
	s_mov_b32 s6, -1
                                        ; implicit-def: $vgpr12
	s_wait_alu 0xfffe
	s_cbranch_vccnz .LBB49_60
.LBB49_28:                              ;   in Loop: Header=BB49_4 Depth=1
	s_wait_loadcnt 0x0
	v_mov_b32_e32 v12, 1
	s_and_not1_b32 vcc_lo, exec_lo, s25
	s_wait_alu 0xfffe
	s_cbranch_vccnz .LBB49_31
; %bb.29:                               ;   in Loop: Header=BB49_4 Depth=1
	v_mov_b32_e32 v15, v11
	s_mov_b32 s6, s7
.LBB49_30:                              ;   Parent Loop BB49_4 Depth=1
                                        ; =>  This Inner Loop Header: Depth=2
	s_delay_alu instid0(SALU_CYCLE_1)
	s_bfe_i32 s27, s6, 0x80000
	s_bitcmp1_b32 s6, 0
	s_wait_alu 0xfffe
	s_sext_i32_i16 s27, s27
	s_cselect_b32 vcc_lo, -1, 0
	s_bfe_u32 s6, s6, 0x70001
	s_wait_alu 0xfffe
	v_cndmask_b32_e32 v16, 1, v15, vcc_lo
	v_mul_lo_u16 v15, v15, v15
	s_cmp_lt_i32 s27, 2
	s_delay_alu instid0(VALU_DEP_2)
	v_mul_lo_u16 v12, v16, v12
	s_cbranch_scc0 .LBB49_30
.LBB49_31:                              ;   in Loop: Header=BB49_4 Depth=1
	s_cbranch_execz .LBB49_61
.LBB49_32:                              ;   in Loop: Header=BB49_4 Depth=1
	s_and_saveexec_b32 s6, s2
	s_delay_alu instid0(SALU_CYCLE_1)
	s_xor_b32 s2, exec_lo, s6
	s_cbranch_execz .LBB49_68
.LBB49_33:                              ;   in Loop: Header=BB49_4 Depth=1
	v_add_co_u32 v1, vcc_lo, s8, v1
	s_wait_alu 0xfffd
	v_add_co_ci_u32_e64 v2, null, s9, v2, vcc_lo
	global_store_b8 v[1:2], v10, off
	s_wait_alu 0xfffe
	s_or_b32 exec_lo, exec_lo, s2
	s_and_saveexec_b32 s2, s3
	s_cbranch_execnz .LBB49_69
.LBB49_34:                              ;   in Loop: Header=BB49_4 Depth=1
	s_wait_alu 0xfffe
	s_or_b32 exec_lo, exec_lo, s2
	s_and_saveexec_b32 s2, s4
	s_cbranch_execz .LBB49_70
.LBB49_35:                              ;   in Loop: Header=BB49_4 Depth=1
	v_add_co_u32 v1, vcc_lo, s8, v5
	s_wait_alu 0xfffd
	v_add_co_ci_u32_e64 v2, null, s9, v6, vcc_lo
	s_wait_loadcnt 0x0
	global_store_b8 v[1:2], v14, off
	s_wait_alu 0xfffe
	s_or_b32 exec_lo, exec_lo, s2
	s_and_saveexec_b32 s2, s5
	s_cbranch_execz .LBB49_3
	s_branch .LBB49_71
.LBB49_36:                              ;   in Loop: Header=BB49_4 Depth=1
	s_and_not1_b32 vcc_lo, exec_lo, s27
	s_wait_alu 0xfffe
	s_cbranch_vccnz .LBB49_17
.LBB49_37:                              ;   in Loop: Header=BB49_4 Depth=1
	s_wait_loadcnt 0x0
	v_and_b32_e32 v13, 0xff, v13
	s_mov_b32 s6, exec_lo
	s_delay_alu instid0(VALU_DEP_1)
	v_cmpx_lt_i16_e32 0xfe, v13
	s_xor_b32 s6, exec_lo, s6
; %bb.38:                               ;   in Loop: Header=BB49_4 Depth=1
                                        ; implicit-def: $vgpr13
; %bb.39:                               ;   in Loop: Header=BB49_4 Depth=1
	s_delay_alu instid0(SALU_CYCLE_1)
	s_or_saveexec_b32 s6, s6
	v_mov_b32_e32 v10, s26
	s_xor_b32 exec_lo, exec_lo, s6
	s_cbranch_execz .LBB49_43
; %bb.40:                               ;   in Loop: Header=BB49_4 Depth=1
	v_mov_b32_e32 v10, 1
	s_mov_b32 s27, exec_lo
	v_cmpx_ne_u16_e32 1, v13
; %bb.41:                               ;   in Loop: Header=BB49_4 Depth=1
	v_mov_b32_e32 v10, 0
; %bb.42:                               ;   in Loop: Header=BB49_4 Depth=1
	s_wait_alu 0xfffe
	s_or_b32 exec_lo, exec_lo, s27
.LBB49_43:                              ;   in Loop: Header=BB49_4 Depth=1
	s_delay_alu instid0(SALU_CYCLE_1) | instskip(NEXT) | instid1(SALU_CYCLE_1)
	s_or_b32 exec_lo, exec_lo, s6
	s_and_not1_b32 vcc_lo, exec_lo, s23
	s_mov_b32 s6, -1
                                        ; implicit-def: $vgpr13
	s_wait_alu 0xfffe
	s_cbranch_vccz .LBB49_18
.LBB49_44:                              ;   in Loop: Header=BB49_4 Depth=1
	s_and_not1_b32 vcc_lo, exec_lo, s6
	s_wait_alu 0xfffe
	s_cbranch_vccnz .LBB49_22
.LBB49_45:                              ;   in Loop: Header=BB49_4 Depth=1
	s_wait_loadcnt 0x0
	v_and_b32_e32 v14, 0xff, v14
	s_mov_b32 s6, exec_lo
	s_delay_alu instid0(VALU_DEP_1)
	v_cmpx_lt_i16_e32 0xfe, v14
	s_xor_b32 s6, exec_lo, s6
; %bb.46:                               ;   in Loop: Header=BB49_4 Depth=1
                                        ; implicit-def: $vgpr14
; %bb.47:                               ;   in Loop: Header=BB49_4 Depth=1
	s_delay_alu instid0(SALU_CYCLE_1)
	s_or_saveexec_b32 s6, s6
	v_mov_b32_e32 v13, s26
	s_xor_b32 exec_lo, exec_lo, s6
	s_cbranch_execz .LBB49_51
; %bb.48:                               ;   in Loop: Header=BB49_4 Depth=1
	v_mov_b32_e32 v13, 1
	s_mov_b32 s27, exec_lo
	v_cmpx_ne_u16_e32 1, v14
; %bb.49:                               ;   in Loop: Header=BB49_4 Depth=1
	v_mov_b32_e32 v13, 0
; %bb.50:                               ;   in Loop: Header=BB49_4 Depth=1
	s_wait_alu 0xfffe
	s_or_b32 exec_lo, exec_lo, s27
.LBB49_51:                              ;   in Loop: Header=BB49_4 Depth=1
	s_delay_alu instid0(SALU_CYCLE_1) | instskip(NEXT) | instid1(SALU_CYCLE_1)
	s_or_b32 exec_lo, exec_lo, s6
	s_and_not1_b32 vcc_lo, exec_lo, s23
	s_mov_b32 s6, -1
                                        ; implicit-def: $vgpr14
	s_wait_alu 0xfffe
	s_cbranch_vccz .LBB49_23
.LBB49_52:                              ;   in Loop: Header=BB49_4 Depth=1
	s_and_not1_b32 vcc_lo, exec_lo, s6
	s_wait_alu 0xfffe
	s_cbranch_vccnz .LBB49_27
.LBB49_53:                              ;   in Loop: Header=BB49_4 Depth=1
	s_wait_loadcnt 0x0
	v_and_b32_e32 v12, 0xff, v12
	s_mov_b32 s6, exec_lo
	s_delay_alu instid0(VALU_DEP_1)
	v_cmpx_lt_i16_e32 0xfe, v12
	s_xor_b32 s6, exec_lo, s6
; %bb.54:                               ;   in Loop: Header=BB49_4 Depth=1
                                        ; implicit-def: $vgpr12
; %bb.55:                               ;   in Loop: Header=BB49_4 Depth=1
	s_delay_alu instid0(SALU_CYCLE_1)
	s_or_saveexec_b32 s6, s6
	v_mov_b32_e32 v14, s26
	s_xor_b32 exec_lo, exec_lo, s6
	s_cbranch_execz .LBB49_59
; %bb.56:                               ;   in Loop: Header=BB49_4 Depth=1
	v_mov_b32_e32 v14, 1
	s_mov_b32 s27, exec_lo
	v_cmpx_ne_u16_e32 1, v12
; %bb.57:                               ;   in Loop: Header=BB49_4 Depth=1
	v_mov_b32_e32 v14, 0
; %bb.58:                               ;   in Loop: Header=BB49_4 Depth=1
	s_wait_alu 0xfffe
	s_or_b32 exec_lo, exec_lo, s27
.LBB49_59:                              ;   in Loop: Header=BB49_4 Depth=1
	s_delay_alu instid0(SALU_CYCLE_1) | instskip(NEXT) | instid1(SALU_CYCLE_1)
	s_or_b32 exec_lo, exec_lo, s6
	s_and_not1_b32 vcc_lo, exec_lo, s23
	s_mov_b32 s6, -1
                                        ; implicit-def: $vgpr12
	s_wait_alu 0xfffe
	s_cbranch_vccz .LBB49_28
.LBB49_60:                              ;   in Loop: Header=BB49_4 Depth=1
	s_and_not1_b32 vcc_lo, exec_lo, s6
	s_wait_alu 0xfffe
	s_cbranch_vccnz .LBB49_32
.LBB49_61:                              ;   in Loop: Header=BB49_4 Depth=1
	s_wait_loadcnt 0x0
	v_and_b32_e32 v11, 0xff, v11
	s_mov_b32 s6, exec_lo
	s_delay_alu instid0(VALU_DEP_1)
	v_cmpx_lt_i16_e32 0xfe, v11
	s_xor_b32 s6, exec_lo, s6
; %bb.62:                               ;   in Loop: Header=BB49_4 Depth=1
                                        ; implicit-def: $vgpr11
; %bb.63:                               ;   in Loop: Header=BB49_4 Depth=1
	s_delay_alu instid0(SALU_CYCLE_1)
	s_or_saveexec_b32 s6, s6
	v_mov_b32_e32 v12, s26
	s_xor_b32 exec_lo, exec_lo, s6
	s_cbranch_execz .LBB49_67
; %bb.64:                               ;   in Loop: Header=BB49_4 Depth=1
	v_mov_b32_e32 v12, 1
	s_mov_b32 s27, exec_lo
	v_cmpx_ne_u16_e32 1, v11
; %bb.65:                               ;   in Loop: Header=BB49_4 Depth=1
	v_mov_b32_e32 v12, 0
; %bb.66:                               ;   in Loop: Header=BB49_4 Depth=1
	s_wait_alu 0xfffe
	s_or_b32 exec_lo, exec_lo, s27
.LBB49_67:                              ;   in Loop: Header=BB49_4 Depth=1
	s_delay_alu instid0(SALU_CYCLE_1) | instskip(SKIP_1) | instid1(SALU_CYCLE_1)
	s_or_b32 exec_lo, exec_lo, s6
	s_and_saveexec_b32 s6, s2
	s_xor_b32 s2, exec_lo, s6
	s_cbranch_execnz .LBB49_33
.LBB49_68:                              ;   in Loop: Header=BB49_4 Depth=1
	s_wait_alu 0xfffe
	s_or_b32 exec_lo, exec_lo, s2
	s_and_saveexec_b32 s2, s3
	s_cbranch_execz .LBB49_34
.LBB49_69:                              ;   in Loop: Header=BB49_4 Depth=1
	v_add_co_u32 v1, vcc_lo, s8, v3
	s_wait_alu 0xfffd
	v_add_co_ci_u32_e64 v2, null, s9, v4, vcc_lo
	s_wait_loadcnt 0x0
	global_store_b8 v[1:2], v13, off
	s_wait_alu 0xfffe
	s_or_b32 exec_lo, exec_lo, s2
	s_and_saveexec_b32 s2, s4
	s_cbranch_execnz .LBB49_35
.LBB49_70:                              ;   in Loop: Header=BB49_4 Depth=1
	s_wait_alu 0xfffe
	s_or_b32 exec_lo, exec_lo, s2
	s_and_saveexec_b32 s2, s5
	s_cbranch_execz .LBB49_3
.LBB49_71:                              ;   in Loop: Header=BB49_4 Depth=1
	v_add_co_u32 v1, vcc_lo, s8, v7
	s_wait_alu 0xfffd
	v_add_co_ci_u32_e64 v2, null, s9, v8, vcc_lo
	s_wait_loadcnt 0x0
	global_store_b8 v[1:2], v12, off
	s_branch .LBB49_3
.LBB49_72:
	s_cbranch_execz .LBB49_74
	s_branch .LBB49_129
.LBB49_73:
.LBB49_74:
	v_cmp_gt_i64_e64 s2, 0x10000, s[10:11]
	v_dual_mov_b32 v2, 0 :: v_dual_lshlrev_b32 v1, 2, v0
	s_mov_b32 s4, 0
	s_mov_b32 s5, exec_lo
	s_and_b32 s2, s2, exec_lo
	s_cselect_b32 s3, s11, 0
	s_cselect_b32 s2, s10, 0x10000
	s_wait_alu 0xfffe
	v_cmpx_gt_i64_e64 s[2:3], v[1:2]
	s_cbranch_execz .LBB49_129
; %bb.75:
	s_load_b32 s0, s[0:1], 0xd3c
	s_bfe_i32 s1, s20, 0x80010
	v_mov_b32_e32 v1, v2
	s_cmp_gt_i32 s1, -1
	s_cselect_b32 s1, -1, 0
	s_bfe_u32 s5, s20, 0x80010
	s_delay_alu instid0(SALU_CYCLE_1)
	s_cmp_lg_u32 s5, 0
	s_cselect_b32 s5, -1, 0
	s_bfe_u32 s6, s20, 0x10010
	v_cndmask_b32_e64 v4, 0, 1, s5
	s_cmp_eq_u32 s6, 0
	s_cselect_b32 s6, 1, 0xffff
	s_wait_kmcnt 0x0
	s_and_b32 s10, s0, 0xffff
	s_branch .LBB49_79
.LBB49_76:                              ;   in Loop: Header=BB49_79 Depth=1
	s_wait_alu 0xfffe
	s_or_b32 exec_lo, exec_lo, s11
.LBB49_77:                              ;   in Loop: Header=BB49_79 Depth=1
	s_delay_alu instid0(SALU_CYCLE_1)
	s_or_b32 exec_lo, exec_lo, s0
.LBB49_78:                              ;   in Loop: Header=BB49_79 Depth=1
	v_add_co_u32 v0, vcc_lo, v0, s10
	s_wait_alu 0xfffd
	v_add_co_ci_u32_e64 v1, null, 0, v1, vcc_lo
	v_perm_b32 v5, v5, v7, 0xc0c0004
	v_perm_b32 v6, v8, v6, 0xc0c0004
	s_delay_alu instid0(VALU_DEP_3) | instskip(NEXT) | instid1(VALU_DEP_2)
	v_lshlrev_b64_e32 v[9:10], 2, v[0:1]
	v_lshl_or_b32 v5, v6, 16, v5
	s_delay_alu instid0(VALU_DEP_2)
	v_cmp_le_i64_e32 vcc_lo, s[2:3], v[9:10]
	global_store_b32 v[2:3], v5, off
	s_or_b32 s4, vcc_lo, s4
	s_wait_alu 0xfffe
	s_and_not1_b32 exec_lo, exec_lo, s4
	s_cbranch_execz .LBB49_129
.LBB49_79:                              ; =>This Loop Header: Depth=1
                                        ;     Child Loop BB49_82 Depth 2
                                        ;     Child Loop BB49_87 Depth 2
	;; [unrolled: 1-line block ×4, first 2 shown]
	v_lshlrev_b64_e32 v[2:3], 2, v[0:1]
	v_cmp_ne_u32_e64 s0, 1, v4
	s_mov_b32 s11, -1
                                        ; implicit-def: $vgpr5
	v_add_co_u32 v2, vcc_lo, s8, v2
	s_wait_alu 0xfffd
	v_add_co_ci_u32_e64 v3, null, s9, v3, vcc_lo
	s_and_b32 vcc_lo, exec_lo, s1
	global_load_b32 v6, v[2:3], off
	s_wait_alu 0xfffe
	s_cbranch_vccz .LBB49_99
; %bb.80:                               ;   in Loop: Header=BB49_79 Depth=1
	v_mov_b32_e32 v5, 1
	s_and_b32 vcc_lo, exec_lo, s0
	s_wait_alu 0xfffe
	s_cbranch_vccnz .LBB49_83
; %bb.81:                               ;   in Loop: Header=BB49_79 Depth=1
	s_wait_loadcnt 0x0
	v_mov_b32_e32 v7, v6
	s_mov_b32 s0, s7
.LBB49_82:                              ;   Parent Loop BB49_79 Depth=1
                                        ; =>  This Inner Loop Header: Depth=2
	s_delay_alu instid0(SALU_CYCLE_1)
	s_bfe_i32 s11, s0, 0x80000
	s_bitcmp1_b32 s0, 0
	s_wait_alu 0xfffe
	s_sext_i32_i16 s11, s11
	s_cselect_b32 vcc_lo, -1, 0
	s_bfe_u32 s0, s0, 0x70001
	s_wait_alu 0xfffe
	v_cndmask_b32_e32 v8, 1, v7, vcc_lo
	v_mul_lo_u16 v7, v7, v7
	s_cmp_gt_i32 s11, 1
	s_delay_alu instid0(VALU_DEP_2)
	v_mul_lo_u16 v5, v8, v5
	s_cbranch_scc1 .LBB49_82
.LBB49_83:                              ;   in Loop: Header=BB49_79 Depth=1
	s_cbranch_execz .LBB49_100
.LBB49_84:                              ;   in Loop: Header=BB49_79 Depth=1
	s_wait_loadcnt 0x0
	v_lshrrev_b32_e32 v8, 8, v6
	s_and_not1_b32 vcc_lo, exec_lo, s1
	s_mov_b32 s0, -1
                                        ; implicit-def: $vgpr7
	s_wait_alu 0xfffe
	s_cbranch_vccnz .LBB49_107
.LBB49_85:                              ;   in Loop: Header=BB49_79 Depth=1
	v_mov_b32_e32 v7, 1
	s_and_not1_b32 vcc_lo, exec_lo, s5
	s_wait_alu 0xfffe
	s_cbranch_vccnz .LBB49_88
; %bb.86:                               ;   in Loop: Header=BB49_79 Depth=1
	v_mov_b32_e32 v9, v8
	s_mov_b32 s0, s7
.LBB49_87:                              ;   Parent Loop BB49_79 Depth=1
                                        ; =>  This Inner Loop Header: Depth=2
	s_delay_alu instid0(SALU_CYCLE_1)
	s_bfe_i32 s11, s0, 0x80000
	s_bitcmp1_b32 s0, 0
	s_wait_alu 0xfffe
	s_sext_i32_i16 s11, s11
	s_cselect_b32 vcc_lo, -1, 0
	s_bfe_u32 s0, s0, 0x70001
	s_wait_alu 0xfffe
	v_cndmask_b32_e32 v10, 1, v9, vcc_lo
	v_mul_lo_u16 v9, v9, v9
	s_cmp_lt_i32 s11, 2
	s_delay_alu instid0(VALU_DEP_2)
	v_mul_lo_u16 v7, v10, v7
	s_cbranch_scc0 .LBB49_87
.LBB49_88:                              ;   in Loop: Header=BB49_79 Depth=1
	s_cbranch_execz .LBB49_108
.LBB49_89:                              ;   in Loop: Header=BB49_79 Depth=1
	v_lshrrev_b32_e32 v9, 16, v6
	s_and_not1_b32 vcc_lo, exec_lo, s1
	s_mov_b32 s0, -1
                                        ; implicit-def: $vgpr8
	s_wait_alu 0xfffe
	s_cbranch_vccnz .LBB49_115
.LBB49_90:                              ;   in Loop: Header=BB49_79 Depth=1
	v_mov_b32_e32 v8, 1
	s_and_not1_b32 vcc_lo, exec_lo, s5
	s_wait_alu 0xfffe
	s_cbranch_vccnz .LBB49_93
; %bb.91:                               ;   in Loop: Header=BB49_79 Depth=1
	v_mov_b32_e32 v10, v9
	s_mov_b32 s0, s7
.LBB49_92:                              ;   Parent Loop BB49_79 Depth=1
                                        ; =>  This Inner Loop Header: Depth=2
	s_delay_alu instid0(SALU_CYCLE_1)
	s_bfe_i32 s11, s0, 0x80000
	s_bitcmp1_b32 s0, 0
	s_wait_alu 0xfffe
	s_sext_i32_i16 s11, s11
	s_cselect_b32 vcc_lo, -1, 0
	s_bfe_u32 s0, s0, 0x70001
	s_wait_alu 0xfffe
	v_cndmask_b32_e32 v11, 1, v10, vcc_lo
	v_mul_lo_u16 v10, v10, v10
	s_cmp_lt_i32 s11, 2
	s_delay_alu instid0(VALU_DEP_2)
	v_mul_lo_u16 v8, v11, v8
	s_cbranch_scc0 .LBB49_92
.LBB49_93:                              ;   in Loop: Header=BB49_79 Depth=1
	s_cbranch_execz .LBB49_116
.LBB49_94:                              ;   in Loop: Header=BB49_79 Depth=1
	v_lshrrev_b32_e32 v9, 24, v6
	s_and_not1_b32 vcc_lo, exec_lo, s1
	s_mov_b32 s0, -1
                                        ; implicit-def: $vgpr6
	s_wait_alu 0xfffe
	s_cbranch_vccnz .LBB49_123
.LBB49_95:                              ;   in Loop: Header=BB49_79 Depth=1
	v_mov_b32_e32 v6, 1
	s_and_not1_b32 vcc_lo, exec_lo, s5
	s_wait_alu 0xfffe
	s_cbranch_vccnz .LBB49_98
; %bb.96:                               ;   in Loop: Header=BB49_79 Depth=1
	v_mov_b32_e32 v10, v9
	s_mov_b32 s0, s7
.LBB49_97:                              ;   Parent Loop BB49_79 Depth=1
                                        ; =>  This Inner Loop Header: Depth=2
	s_delay_alu instid0(SALU_CYCLE_1)
	s_bfe_i32 s11, s0, 0x80000
	s_bitcmp1_b32 s0, 0
	s_wait_alu 0xfffe
	s_sext_i32_i16 s11, s11
	s_cselect_b32 vcc_lo, -1, 0
	s_bfe_u32 s0, s0, 0x70001
	s_wait_alu 0xfffe
	v_cndmask_b32_e32 v11, 1, v10, vcc_lo
	v_mul_lo_u16 v10, v10, v10
	s_cmp_lt_i32 s11, 2
	s_delay_alu instid0(VALU_DEP_2)
	v_mul_lo_u16 v6, v11, v6
	s_cbranch_scc0 .LBB49_97
.LBB49_98:                              ;   in Loop: Header=BB49_79 Depth=1
	s_cbranch_execnz .LBB49_78
	s_branch .LBB49_124
.LBB49_99:                              ;   in Loop: Header=BB49_79 Depth=1
	s_and_not1_b32 vcc_lo, exec_lo, s11
	s_wait_alu 0xfffe
	s_cbranch_vccnz .LBB49_84
.LBB49_100:                             ;   in Loop: Header=BB49_79 Depth=1
	s_wait_loadcnt 0x0
	v_and_b32_e32 v7, 0xff, v6
	s_mov_b32 s0, exec_lo
	s_delay_alu instid0(VALU_DEP_1)
	v_cmpx_lt_i16_e32 0xfe, v7
	s_xor_b32 s0, exec_lo, s0
; %bb.101:                              ;   in Loop: Header=BB49_79 Depth=1
                                        ; implicit-def: $vgpr7
; %bb.102:                              ;   in Loop: Header=BB49_79 Depth=1
	s_delay_alu instid0(SALU_CYCLE_1)
	s_or_saveexec_b32 s0, s0
	v_mov_b32_e32 v5, s6
	s_xor_b32 exec_lo, exec_lo, s0
	s_cbranch_execz .LBB49_106
; %bb.103:                              ;   in Loop: Header=BB49_79 Depth=1
	v_mov_b32_e32 v5, 1
	s_mov_b32 s11, exec_lo
	v_cmpx_ne_u16_e32 1, v7
; %bb.104:                              ;   in Loop: Header=BB49_79 Depth=1
	v_mov_b32_e32 v5, 0
; %bb.105:                              ;   in Loop: Header=BB49_79 Depth=1
	s_wait_alu 0xfffe
	s_or_b32 exec_lo, exec_lo, s11
.LBB49_106:                             ;   in Loop: Header=BB49_79 Depth=1
	s_delay_alu instid0(SALU_CYCLE_1)
	s_or_b32 exec_lo, exec_lo, s0
	v_lshrrev_b32_e32 v8, 8, v6
	s_and_not1_b32 vcc_lo, exec_lo, s1
	s_mov_b32 s0, -1
                                        ; implicit-def: $vgpr7
	s_wait_alu 0xfffe
	s_cbranch_vccz .LBB49_85
.LBB49_107:                             ;   in Loop: Header=BB49_79 Depth=1
	s_and_not1_b32 vcc_lo, exec_lo, s0
	s_wait_alu 0xfffe
	s_cbranch_vccnz .LBB49_89
.LBB49_108:                             ;   in Loop: Header=BB49_79 Depth=1
	v_and_b32_e32 v8, 0xff, v8
	s_mov_b32 s0, exec_lo
	s_delay_alu instid0(VALU_DEP_1)
	v_cmpx_lt_i16_e32 0xfe, v8
	s_xor_b32 s0, exec_lo, s0
; %bb.109:                              ;   in Loop: Header=BB49_79 Depth=1
                                        ; implicit-def: $vgpr8
; %bb.110:                              ;   in Loop: Header=BB49_79 Depth=1
	s_delay_alu instid0(SALU_CYCLE_1)
	s_or_saveexec_b32 s0, s0
	v_mov_b32_e32 v7, s6
	s_xor_b32 exec_lo, exec_lo, s0
	s_cbranch_execz .LBB49_114
; %bb.111:                              ;   in Loop: Header=BB49_79 Depth=1
	v_mov_b32_e32 v7, 1
	s_mov_b32 s11, exec_lo
	v_cmpx_ne_u16_e32 1, v8
; %bb.112:                              ;   in Loop: Header=BB49_79 Depth=1
	v_mov_b32_e32 v7, 0
; %bb.113:                              ;   in Loop: Header=BB49_79 Depth=1
	s_wait_alu 0xfffe
	s_or_b32 exec_lo, exec_lo, s11
.LBB49_114:                             ;   in Loop: Header=BB49_79 Depth=1
	s_delay_alu instid0(SALU_CYCLE_1)
	s_or_b32 exec_lo, exec_lo, s0
	v_lshrrev_b32_e32 v9, 16, v6
	s_and_not1_b32 vcc_lo, exec_lo, s1
	s_mov_b32 s0, -1
                                        ; implicit-def: $vgpr8
	s_wait_alu 0xfffe
	s_cbranch_vccz .LBB49_90
.LBB49_115:                             ;   in Loop: Header=BB49_79 Depth=1
	s_and_not1_b32 vcc_lo, exec_lo, s0
	s_wait_alu 0xfffe
	s_cbranch_vccnz .LBB49_94
.LBB49_116:                             ;   in Loop: Header=BB49_79 Depth=1
	v_and_b32_e32 v9, 0xff, v9
	s_mov_b32 s0, exec_lo
	s_delay_alu instid0(VALU_DEP_1)
	v_cmpx_lt_i16_e32 0xfe, v9
	s_xor_b32 s0, exec_lo, s0
; %bb.117:                              ;   in Loop: Header=BB49_79 Depth=1
                                        ; implicit-def: $vgpr9
; %bb.118:                              ;   in Loop: Header=BB49_79 Depth=1
	s_delay_alu instid0(SALU_CYCLE_1)
	s_or_saveexec_b32 s0, s0
	v_mov_b32_e32 v8, s6
	s_xor_b32 exec_lo, exec_lo, s0
	s_cbranch_execz .LBB49_122
; %bb.119:                              ;   in Loop: Header=BB49_79 Depth=1
	v_mov_b32_e32 v8, 1
	s_mov_b32 s11, exec_lo
	v_cmpx_ne_u16_e32 1, v9
; %bb.120:                              ;   in Loop: Header=BB49_79 Depth=1
	v_mov_b32_e32 v8, 0
; %bb.121:                              ;   in Loop: Header=BB49_79 Depth=1
	s_wait_alu 0xfffe
	s_or_b32 exec_lo, exec_lo, s11
.LBB49_122:                             ;   in Loop: Header=BB49_79 Depth=1
	s_delay_alu instid0(SALU_CYCLE_1)
	s_or_b32 exec_lo, exec_lo, s0
	v_lshrrev_b32_e32 v9, 24, v6
	s_and_not1_b32 vcc_lo, exec_lo, s1
	s_mov_b32 s0, -1
                                        ; implicit-def: $vgpr6
	s_wait_alu 0xfffe
	s_cbranch_vccz .LBB49_95
.LBB49_123:                             ;   in Loop: Header=BB49_79 Depth=1
	s_and_not1_b32 vcc_lo, exec_lo, s0
	s_wait_alu 0xfffe
	s_cbranch_vccnz .LBB49_78
.LBB49_124:                             ;   in Loop: Header=BB49_79 Depth=1
	s_mov_b32 s0, exec_lo
	v_cmpx_lt_i16_e32 0xfe, v9
	s_xor_b32 s0, exec_lo, s0
; %bb.125:                              ;   in Loop: Header=BB49_79 Depth=1
                                        ; implicit-def: $vgpr9
; %bb.126:                              ;   in Loop: Header=BB49_79 Depth=1
	s_delay_alu instid0(SALU_CYCLE_1)
	s_or_saveexec_b32 s0, s0
	v_mov_b32_e32 v6, s6
	s_xor_b32 exec_lo, exec_lo, s0
	s_cbranch_execz .LBB49_77
; %bb.127:                              ;   in Loop: Header=BB49_79 Depth=1
	v_mov_b32_e32 v6, 1
	s_mov_b32 s11, exec_lo
	v_cmpx_ne_u16_e32 1, v9
	s_cbranch_execz .LBB49_76
; %bb.128:                              ;   in Loop: Header=BB49_79 Depth=1
	v_mov_b32_e32 v6, 0
	s_branch .LBB49_76
.LBB49_129:
	s_endpgm
	.section	.rodata,"a",@progbits
	.p2align	6, 0x0
	.amdhsa_kernel _ZN2at6native12_GLOBAL__N_125multi_tensor_apply_kernelINS1_18TensorListMetadataILi1EEENS1_21BinaryOpScalarFunctorIaLi1ELi1ELi0EEEJNS1_13power_functorIaEEaEEEvT_T0_DpT1_
		.amdhsa_group_segment_fixed_size 0
		.amdhsa_private_segment_fixed_size 0
		.amdhsa_kernarg_size 3632
		.amdhsa_user_sgpr_count 2
		.amdhsa_user_sgpr_dispatch_ptr 0
		.amdhsa_user_sgpr_queue_ptr 0
		.amdhsa_user_sgpr_kernarg_segment_ptr 1
		.amdhsa_user_sgpr_dispatch_id 0
		.amdhsa_user_sgpr_private_segment_size 0
		.amdhsa_wavefront_size32 1
		.amdhsa_uses_dynamic_stack 0
		.amdhsa_enable_private_segment 0
		.amdhsa_system_sgpr_workgroup_id_x 1
		.amdhsa_system_sgpr_workgroup_id_y 0
		.amdhsa_system_sgpr_workgroup_id_z 0
		.amdhsa_system_sgpr_workgroup_info 0
		.amdhsa_system_vgpr_workitem_id 0
		.amdhsa_next_free_vgpr 17
		.amdhsa_next_free_sgpr 28
		.amdhsa_reserve_vcc 1
		.amdhsa_float_round_mode_32 0
		.amdhsa_float_round_mode_16_64 0
		.amdhsa_float_denorm_mode_32 3
		.amdhsa_float_denorm_mode_16_64 3
		.amdhsa_fp16_overflow 0
		.amdhsa_workgroup_processor_mode 1
		.amdhsa_memory_ordered 1
		.amdhsa_forward_progress 1
		.amdhsa_inst_pref_size 25
		.amdhsa_round_robin_scheduling 0
		.amdhsa_exception_fp_ieee_invalid_op 0
		.amdhsa_exception_fp_denorm_src 0
		.amdhsa_exception_fp_ieee_div_zero 0
		.amdhsa_exception_fp_ieee_overflow 0
		.amdhsa_exception_fp_ieee_underflow 0
		.amdhsa_exception_fp_ieee_inexact 0
		.amdhsa_exception_int_div_zero 0
	.end_amdhsa_kernel
	.section	.text._ZN2at6native12_GLOBAL__N_125multi_tensor_apply_kernelINS1_18TensorListMetadataILi1EEENS1_21BinaryOpScalarFunctorIaLi1ELi1ELi0EEEJNS1_13power_functorIaEEaEEEvT_T0_DpT1_,"axG",@progbits,_ZN2at6native12_GLOBAL__N_125multi_tensor_apply_kernelINS1_18TensorListMetadataILi1EEENS1_21BinaryOpScalarFunctorIaLi1ELi1ELi0EEEJNS1_13power_functorIaEEaEEEvT_T0_DpT1_,comdat
.Lfunc_end49:
	.size	_ZN2at6native12_GLOBAL__N_125multi_tensor_apply_kernelINS1_18TensorListMetadataILi1EEENS1_21BinaryOpScalarFunctorIaLi1ELi1ELi0EEEJNS1_13power_functorIaEEaEEEvT_T0_DpT1_, .Lfunc_end49-_ZN2at6native12_GLOBAL__N_125multi_tensor_apply_kernelINS1_18TensorListMetadataILi1EEENS1_21BinaryOpScalarFunctorIaLi1ELi1ELi0EEEJNS1_13power_functorIaEEaEEEvT_T0_DpT1_
                                        ; -- End function
	.set _ZN2at6native12_GLOBAL__N_125multi_tensor_apply_kernelINS1_18TensorListMetadataILi1EEENS1_21BinaryOpScalarFunctorIaLi1ELi1ELi0EEEJNS1_13power_functorIaEEaEEEvT_T0_DpT1_.num_vgpr, 17
	.set _ZN2at6native12_GLOBAL__N_125multi_tensor_apply_kernelINS1_18TensorListMetadataILi1EEENS1_21BinaryOpScalarFunctorIaLi1ELi1ELi0EEEJNS1_13power_functorIaEEaEEEvT_T0_DpT1_.num_agpr, 0
	.set _ZN2at6native12_GLOBAL__N_125multi_tensor_apply_kernelINS1_18TensorListMetadataILi1EEENS1_21BinaryOpScalarFunctorIaLi1ELi1ELi0EEEJNS1_13power_functorIaEEaEEEvT_T0_DpT1_.numbered_sgpr, 28
	.set _ZN2at6native12_GLOBAL__N_125multi_tensor_apply_kernelINS1_18TensorListMetadataILi1EEENS1_21BinaryOpScalarFunctorIaLi1ELi1ELi0EEEJNS1_13power_functorIaEEaEEEvT_T0_DpT1_.num_named_barrier, 0
	.set _ZN2at6native12_GLOBAL__N_125multi_tensor_apply_kernelINS1_18TensorListMetadataILi1EEENS1_21BinaryOpScalarFunctorIaLi1ELi1ELi0EEEJNS1_13power_functorIaEEaEEEvT_T0_DpT1_.private_seg_size, 0
	.set _ZN2at6native12_GLOBAL__N_125multi_tensor_apply_kernelINS1_18TensorListMetadataILi1EEENS1_21BinaryOpScalarFunctorIaLi1ELi1ELi0EEEJNS1_13power_functorIaEEaEEEvT_T0_DpT1_.uses_vcc, 1
	.set _ZN2at6native12_GLOBAL__N_125multi_tensor_apply_kernelINS1_18TensorListMetadataILi1EEENS1_21BinaryOpScalarFunctorIaLi1ELi1ELi0EEEJNS1_13power_functorIaEEaEEEvT_T0_DpT1_.uses_flat_scratch, 0
	.set _ZN2at6native12_GLOBAL__N_125multi_tensor_apply_kernelINS1_18TensorListMetadataILi1EEENS1_21BinaryOpScalarFunctorIaLi1ELi1ELi0EEEJNS1_13power_functorIaEEaEEEvT_T0_DpT1_.has_dyn_sized_stack, 0
	.set _ZN2at6native12_GLOBAL__N_125multi_tensor_apply_kernelINS1_18TensorListMetadataILi1EEENS1_21BinaryOpScalarFunctorIaLi1ELi1ELi0EEEJNS1_13power_functorIaEEaEEEvT_T0_DpT1_.has_recursion, 0
	.set _ZN2at6native12_GLOBAL__N_125multi_tensor_apply_kernelINS1_18TensorListMetadataILi1EEENS1_21BinaryOpScalarFunctorIaLi1ELi1ELi0EEEJNS1_13power_functorIaEEaEEEvT_T0_DpT1_.has_indirect_call, 0
	.section	.AMDGPU.csdata,"",@progbits
; Kernel info:
; codeLenInByte = 3076
; TotalNumSgprs: 30
; NumVgprs: 17
; ScratchSize: 0
; MemoryBound: 0
; FloatMode: 240
; IeeeMode: 1
; LDSByteSize: 0 bytes/workgroup (compile time only)
; SGPRBlocks: 0
; VGPRBlocks: 2
; NumSGPRsForWavesPerEU: 30
; NumVGPRsForWavesPerEU: 17
; Occupancy: 16
; WaveLimiterHint : 0
; COMPUTE_PGM_RSRC2:SCRATCH_EN: 0
; COMPUTE_PGM_RSRC2:USER_SGPR: 2
; COMPUTE_PGM_RSRC2:TRAP_HANDLER: 0
; COMPUTE_PGM_RSRC2:TGID_X_EN: 1
; COMPUTE_PGM_RSRC2:TGID_Y_EN: 0
; COMPUTE_PGM_RSRC2:TGID_Z_EN: 0
; COMPUTE_PGM_RSRC2:TIDIG_COMP_CNT: 0
	.section	.text._ZN2at6native12_GLOBAL__N_125multi_tensor_apply_kernelINS1_18TensorListMetadataILi1EEENS1_21BinaryOpScalarFunctorIiLi1ELi1ELi0EEEJNS1_13power_functorIiEEiEEEvT_T0_DpT1_,"axG",@progbits,_ZN2at6native12_GLOBAL__N_125multi_tensor_apply_kernelINS1_18TensorListMetadataILi1EEENS1_21BinaryOpScalarFunctorIiLi1ELi1ELi0EEEJNS1_13power_functorIiEEiEEEvT_T0_DpT1_,comdat
	.globl	_ZN2at6native12_GLOBAL__N_125multi_tensor_apply_kernelINS1_18TensorListMetadataILi1EEENS1_21BinaryOpScalarFunctorIiLi1ELi1ELi0EEEJNS1_13power_functorIiEEiEEEvT_T0_DpT1_ ; -- Begin function _ZN2at6native12_GLOBAL__N_125multi_tensor_apply_kernelINS1_18TensorListMetadataILi1EEENS1_21BinaryOpScalarFunctorIiLi1ELi1ELi0EEEJNS1_13power_functorIiEEiEEEvT_T0_DpT1_
	.p2align	8
	.type	_ZN2at6native12_GLOBAL__N_125multi_tensor_apply_kernelINS1_18TensorListMetadataILi1EEENS1_21BinaryOpScalarFunctorIiLi1ELi1ELi0EEEJNS1_13power_functorIiEEiEEEvT_T0_DpT1_,@function
_ZN2at6native12_GLOBAL__N_125multi_tensor_apply_kernelINS1_18TensorListMetadataILi1EEENS1_21BinaryOpScalarFunctorIiLi1ELi1ELi0EEEJNS1_13power_functorIiEEiEEEvT_T0_DpT1_: ; @_ZN2at6native12_GLOBAL__N_125multi_tensor_apply_kernelINS1_18TensorListMetadataILi1EEENS1_21BinaryOpScalarFunctorIiLi1ELi1ELi0EEEJNS1_13power_functorIiEEiEEEvT_T0_DpT1_
; %bb.0:
	s_load_u8 s8, s[0:1], ttmp9 offset:0x6e0
	s_mov_b32 s2, ttmp9
	s_mov_b32 s3, 0
	s_delay_alu instid0(SALU_CYCLE_1) | instskip(SKIP_1) | instid1(SALU_CYCLE_1)
	s_mul_u64 s[4:5], s[2:3], 3
	s_add_nc_u64 s[6:7], s[0:1], s[2:3]
	s_add_nc_u64 s[4:5], s[6:7], s[4:5]
	s_load_b32 s4, s[4:5], 0x820
	s_wait_kmcnt 0x0
	s_lshl_b32 s2, s8, 3
	s_clause 0x2
	s_load_b64 s[8:9], s[0:1], s2 offset:0x0
	s_load_b64 s[10:11], s[0:1], s2 offset:0x370
	s_load_b32 s7, s[0:1], 0xd2c
	s_ashr_i32 s5, s4, 31
	s_delay_alu instid0(SALU_CYCLE_1)
	s_lshl_b64 s[12:13], s[4:5], 18
	s_lshl_b64 s[4:5], s[4:5], 16
	s_wait_kmcnt 0x0
	s_add_nc_u64 s[8:9], s[8:9], s[12:13]
	s_and_b32 s12, s10, 3
	s_and_b32 s2, s8, 15
	s_mov_b32 s13, s3
	s_sub_nc_u64 s[10:11], s[10:11], s[4:5]
	s_or_b64 s[2:3], s[2:3], s[12:13]
	s_delay_alu instid0(SALU_CYCLE_1)
	s_cmp_eq_u64 s[2:3], 0
	s_cbranch_scc1 .LBB50_81
; %bb.1:
	v_cmp_lt_i64_e64 s2, s[10:11], 1
	s_and_b32 vcc_lo, exec_lo, s2
	s_cbranch_vccnz .LBB50_80
; %bb.2:
	s_load_b32 s2, s[0:1], 0xd3c
	v_cmp_gt_i64_e64 s3, 0x10000, s[10:11]
	v_cmp_gt_u64_e64 s4, 0x10000, s[10:11]
	s_mov_b32 s13, 0
	s_mov_b64 s[18:19], 0
	s_and_b32 s3, s3, exec_lo
	s_cselect_b32 s15, s11, 0
	s_cselect_b32 s14, s10, 0x10000
	s_wait_kmcnt 0x0
	s_and_b32 s20, s2, 0xffff
	s_and_b32 s2, s4, exec_lo
	s_cselect_b32 s17, s11, 0
	s_cselect_b32 s16, s10, 0x10000
	s_lshl_b32 s21, s20, 1
	s_cmp_gt_i32 s7, -1
	s_mul_i32 s22, s20, 3
	s_cselect_b32 s23, -1, 0
	s_cmp_lg_u32 s7, 0
	s_cselect_b32 s24, -1, 0
	s_bitcmp0_b32 s7, 0
	v_cndmask_b32_e64 v9, 0, 1, s24
	s_cselect_b32 s25, 1, -1
	s_lshl_b32 s12, s20, 2
	s_branch .LBB50_4
.LBB50_3:                               ;   in Loop: Header=BB50_4 Depth=1
	s_wait_alu 0xfffe
	s_or_b32 exec_lo, exec_lo, s2
	s_add_nc_u64 s[18:19], s[18:19], s[12:13]
	s_wait_alu 0xfffe
	v_cmp_ge_i64_e64 s2, s[18:19], s[14:15]
	s_and_b32 vcc_lo, exec_lo, s2
	s_wait_alu 0xfffe
	s_cbranch_vccnz .LBB50_80
.LBB50_4:                               ; =>This Loop Header: Depth=1
                                        ;     Child Loop BB50_26 Depth 2
                                        ;     Child Loop BB50_36 Depth 2
                                        ;     Child Loop BB50_46 Depth 2
                                        ;     Child Loop BB50_56 Depth 2
	v_add_co_u32 v7, s2, s18, v0
	s_wait_alu 0xf1ff
	v_add_co_ci_u32_e64 v8, null, s19, 0, s2
	s_wait_loadcnt 0x0
	v_mov_b32_e32 v13, 0
	s_delay_alu instid0(VALU_DEP_2)
	v_cmp_gt_u64_e64 s2, s[16:17], v[7:8]
	v_lshlrev_b64_e32 v[1:2], 2, v[7:8]
	s_and_saveexec_b32 s3, s2
	s_cbranch_execz .LBB50_6
; %bb.5:                                ;   in Loop: Header=BB50_4 Depth=1
	s_delay_alu instid0(VALU_DEP_1) | instskip(SKIP_1) | instid1(VALU_DEP_2)
	v_add_co_u32 v3, vcc_lo, s8, v1
	s_wait_alu 0xfffd
	v_add_co_ci_u32_e64 v4, null, s9, v2, vcc_lo
	global_load_b32 v13, v[3:4], off
.LBB50_6:                               ;   in Loop: Header=BB50_4 Depth=1
	s_wait_alu 0xfffe
	s_or_b32 exec_lo, exec_lo, s3
	v_add_co_u32 v3, vcc_lo, v7, s20
	s_wait_alu 0xfffd
	v_add_co_ci_u32_e64 v4, null, 0, v8, vcc_lo
	v_mov_b32_e32 v12, 0
	v_mov_b32_e32 v14, 0
	s_delay_alu instid0(VALU_DEP_3)
	v_cmp_gt_u64_e64 s3, s[16:17], v[3:4]
	v_lshlrev_b64_e32 v[3:4], 2, v[3:4]
	s_and_saveexec_b32 s4, s3
	s_cbranch_execz .LBB50_8
; %bb.7:                                ;   in Loop: Header=BB50_4 Depth=1
	s_delay_alu instid0(VALU_DEP_1) | instskip(SKIP_1) | instid1(VALU_DEP_2)
	v_add_co_u32 v5, vcc_lo, s8, v3
	s_wait_alu 0xfffd
	v_add_co_ci_u32_e64 v6, null, s9, v4, vcc_lo
	global_load_b32 v14, v[5:6], off
.LBB50_8:                               ;   in Loop: Header=BB50_4 Depth=1
	s_or_b32 exec_lo, exec_lo, s4
	v_add_co_u32 v5, vcc_lo, v7, s21
	s_wait_alu 0xfffd
	v_add_co_ci_u32_e64 v6, null, 0, v8, vcc_lo
	s_delay_alu instid0(VALU_DEP_1)
	v_cmp_gt_u64_e64 s4, s[16:17], v[5:6]
	v_lshlrev_b64_e32 v[5:6], 2, v[5:6]
	s_and_saveexec_b32 s5, s4
	s_cbranch_execz .LBB50_10
; %bb.9:                                ;   in Loop: Header=BB50_4 Depth=1
	s_delay_alu instid0(VALU_DEP_1) | instskip(SKIP_1) | instid1(VALU_DEP_2)
	v_add_co_u32 v10, vcc_lo, s8, v5
	s_wait_alu 0xfffd
	v_add_co_ci_u32_e64 v11, null, s9, v6, vcc_lo
	global_load_b32 v12, v[10:11], off
.LBB50_10:                              ;   in Loop: Header=BB50_4 Depth=1
	s_or_b32 exec_lo, exec_lo, s5
	v_add_co_u32 v7, vcc_lo, v7, s22
	s_wait_alu 0xfffd
	v_add_co_ci_u32_e64 v8, null, 0, v8, vcc_lo
	v_mov_b32_e32 v10, 0
	s_delay_alu instid0(VALU_DEP_2)
	v_cmp_gt_u64_e64 s5, s[16:17], v[7:8]
	v_lshlrev_b64_e32 v[7:8], 2, v[7:8]
	s_and_saveexec_b32 s6, s5
	s_cbranch_execz .LBB50_12
; %bb.11:                               ;   in Loop: Header=BB50_4 Depth=1
	s_delay_alu instid0(VALU_DEP_1) | instskip(SKIP_1) | instid1(VALU_DEP_2)
	v_add_co_u32 v10, vcc_lo, s8, v7
	s_wait_alu 0xfffd
	v_add_co_ci_u32_e64 v11, null, s9, v8, vcc_lo
	global_load_b32 v10, v[10:11], off
.LBB50_12:                              ;   in Loop: Header=BB50_4 Depth=1
	s_or_b32 exec_lo, exec_lo, s6
	v_cmp_ne_u32_e64 s6, 1, v9
	s_and_b32 vcc_lo, exec_lo, s23
	s_mov_b32 s26, -1
                                        ; implicit-def: $vgpr11
	s_wait_alu 0xfffe
	s_cbranch_vccnz .LBB50_24
; %bb.13:                               ;   in Loop: Header=BB50_4 Depth=1
	s_and_not1_b32 vcc_lo, exec_lo, s26
	s_wait_alu 0xfffe
	s_cbranch_vccz .LBB50_28
.LBB50_14:                              ;   in Loop: Header=BB50_4 Depth=1
	s_and_not1_b32 vcc_lo, exec_lo, s23
	s_mov_b32 s6, -1
                                        ; implicit-def: $vgpr13
	s_wait_alu 0xfffe
	s_cbranch_vccz .LBB50_34
.LBB50_15:                              ;   in Loop: Header=BB50_4 Depth=1
	s_and_not1_b32 vcc_lo, exec_lo, s6
	s_wait_alu 0xfffe
	s_cbranch_vccz .LBB50_38
.LBB50_16:                              ;   in Loop: Header=BB50_4 Depth=1
	s_and_not1_b32 vcc_lo, exec_lo, s23
	s_mov_b32 s6, -1
                                        ; implicit-def: $vgpr14
	s_wait_alu 0xfffe
	s_cbranch_vccz .LBB50_44
.LBB50_17:                              ;   in Loop: Header=BB50_4 Depth=1
	s_and_not1_b32 vcc_lo, exec_lo, s6
	s_wait_alu 0xfffe
	s_cbranch_vccz .LBB50_48
.LBB50_18:                              ;   in Loop: Header=BB50_4 Depth=1
	s_and_not1_b32 vcc_lo, exec_lo, s23
	s_mov_b32 s6, -1
                                        ; implicit-def: $vgpr12
	s_wait_alu 0xfffe
	s_cbranch_vccz .LBB50_54
.LBB50_19:                              ;   in Loop: Header=BB50_4 Depth=1
	s_and_not1_b32 vcc_lo, exec_lo, s6
	s_wait_alu 0xfffe
	s_cbranch_vccz .LBB50_58
.LBB50_20:                              ;   in Loop: Header=BB50_4 Depth=1
	s_and_saveexec_b32 s6, s2
	s_delay_alu instid0(SALU_CYCLE_1)
	s_xor_b32 s2, exec_lo, s6
	s_cbranch_execnz .LBB50_64
.LBB50_21:                              ;   in Loop: Header=BB50_4 Depth=1
	s_wait_alu 0xfffe
	s_or_b32 exec_lo, exec_lo, s2
	s_and_saveexec_b32 s2, s3
	s_cbranch_execnz .LBB50_65
.LBB50_22:                              ;   in Loop: Header=BB50_4 Depth=1
	s_wait_alu 0xfffe
	s_or_b32 exec_lo, exec_lo, s2
	s_and_saveexec_b32 s2, s4
	s_cbranch_execnz .LBB50_66
.LBB50_23:                              ;   in Loop: Header=BB50_4 Depth=1
	s_wait_alu 0xfffe
	s_or_b32 exec_lo, exec_lo, s2
	s_and_saveexec_b32 s2, s5
	s_cbranch_execz .LBB50_3
	s_branch .LBB50_67
.LBB50_24:                              ;   in Loop: Header=BB50_4 Depth=1
	v_mov_b32_e32 v11, 1
	s_and_b32 vcc_lo, exec_lo, s6
	s_wait_alu 0xfffe
	s_cbranch_vccnz .LBB50_27
; %bb.25:                               ;   in Loop: Header=BB50_4 Depth=1
	s_wait_loadcnt 0x0
	v_mov_b32_e32 v15, v13
	s_mov_b32 s6, s7
.LBB50_26:                              ;   Parent Loop BB50_4 Depth=1
                                        ; =>  This Inner Loop Header: Depth=2
	s_delay_alu instid0(SALU_CYCLE_1)
	s_bitcmp1_b32 s6, 0
	s_cselect_b32 vcc_lo, -1, 0
	s_lshr_b32 s26, s6, 1
	s_wait_alu 0xfffe
	v_cndmask_b32_e32 v16, 1, v15, vcc_lo
	v_mul_lo_u32 v15, v15, v15
	s_cmp_gt_u32 s6, 1
	s_mov_b32 s6, s26
	s_delay_alu instid0(VALU_DEP_2)
	v_mul_lo_u32 v11, v16, v11
	s_cbranch_scc1 .LBB50_26
.LBB50_27:                              ;   in Loop: Header=BB50_4 Depth=1
	s_cbranch_execnz .LBB50_14
.LBB50_28:                              ;   in Loop: Header=BB50_4 Depth=1
	s_mov_b32 s6, 0
	s_mov_b32 s26, 0
	s_mov_b32 s27, exec_lo
	s_wait_loadcnt 0x0
	v_cmpx_lt_i32_e32 0, v13
	s_xor_b32 s27, exec_lo, s27
	s_cbranch_execnz .LBB50_68
; %bb.29:                               ;   in Loop: Header=BB50_4 Depth=1
	s_and_not1_saveexec_b32 s27, s27
	s_cbranch_execnz .LBB50_69
.LBB50_30:                              ;   in Loop: Header=BB50_4 Depth=1
	s_or_b32 exec_lo, exec_lo, s27
	s_and_saveexec_b32 s27, s26
	s_delay_alu instid0(SALU_CYCLE_1)
	s_xor_b32 s26, exec_lo, s27
	s_cbranch_execnz .LBB50_70
.LBB50_31:                              ;   in Loop: Header=BB50_4 Depth=1
	s_or_b32 exec_lo, exec_lo, s26
	s_and_saveexec_b32 s26, s6
.LBB50_32:                              ;   in Loop: Header=BB50_4 Depth=1
	v_mov_b32_e32 v13, s25
.LBB50_33:                              ;   in Loop: Header=BB50_4 Depth=1
	s_or_b32 exec_lo, exec_lo, s26
	s_delay_alu instid0(VALU_DEP_1)
	v_mov_b32_e32 v11, v13
	s_and_not1_b32 vcc_lo, exec_lo, s23
	s_mov_b32 s6, -1
                                        ; implicit-def: $vgpr13
	s_wait_alu 0xfffe
	s_cbranch_vccnz .LBB50_15
.LBB50_34:                              ;   in Loop: Header=BB50_4 Depth=1
	s_wait_loadcnt 0x0
	v_mov_b32_e32 v13, 1
	s_and_not1_b32 vcc_lo, exec_lo, s24
	s_wait_alu 0xfffe
	s_cbranch_vccnz .LBB50_37
; %bb.35:                               ;   in Loop: Header=BB50_4 Depth=1
	v_mov_b32_e32 v15, v14
	s_mov_b32 s6, s7
.LBB50_36:                              ;   Parent Loop BB50_4 Depth=1
                                        ; =>  This Inner Loop Header: Depth=2
	s_delay_alu instid0(SALU_CYCLE_1)
	s_bitcmp1_b32 s6, 0
	s_cselect_b32 vcc_lo, -1, 0
	s_lshr_b32 s26, s6, 1
	s_wait_alu 0xfffe
	v_cndmask_b32_e32 v16, 1, v15, vcc_lo
	v_mul_lo_u32 v15, v15, v15
	s_cmp_lt_u32 s6, 2
	s_mov_b32 s6, s26
	s_delay_alu instid0(VALU_DEP_2)
	v_mul_lo_u32 v13, v16, v13
	s_cbranch_scc0 .LBB50_36
.LBB50_37:                              ;   in Loop: Header=BB50_4 Depth=1
	s_cbranch_execnz .LBB50_16
.LBB50_38:                              ;   in Loop: Header=BB50_4 Depth=1
	s_mov_b32 s6, 0
	s_mov_b32 s26, 0
	s_mov_b32 s27, exec_lo
	s_wait_loadcnt 0x0
	v_cmpx_lt_i32_e32 0, v14
	s_xor_b32 s27, exec_lo, s27
	s_cbranch_execnz .LBB50_71
; %bb.39:                               ;   in Loop: Header=BB50_4 Depth=1
	s_and_not1_saveexec_b32 s27, s27
	s_cbranch_execnz .LBB50_72
.LBB50_40:                              ;   in Loop: Header=BB50_4 Depth=1
	s_or_b32 exec_lo, exec_lo, s27
	s_and_saveexec_b32 s27, s26
	s_delay_alu instid0(SALU_CYCLE_1)
	s_xor_b32 s26, exec_lo, s27
	s_cbranch_execnz .LBB50_73
.LBB50_41:                              ;   in Loop: Header=BB50_4 Depth=1
	s_or_b32 exec_lo, exec_lo, s26
	s_and_saveexec_b32 s26, s6
.LBB50_42:                              ;   in Loop: Header=BB50_4 Depth=1
	v_mov_b32_e32 v14, s25
.LBB50_43:                              ;   in Loop: Header=BB50_4 Depth=1
	s_or_b32 exec_lo, exec_lo, s26
	s_delay_alu instid0(VALU_DEP_1)
	v_mov_b32_e32 v13, v14
	s_and_not1_b32 vcc_lo, exec_lo, s23
	s_mov_b32 s6, -1
                                        ; implicit-def: $vgpr14
	s_wait_alu 0xfffe
	s_cbranch_vccnz .LBB50_17
.LBB50_44:                              ;   in Loop: Header=BB50_4 Depth=1
	s_wait_loadcnt 0x0
	v_mov_b32_e32 v14, 1
	s_and_not1_b32 vcc_lo, exec_lo, s24
	s_wait_alu 0xfffe
	s_cbranch_vccnz .LBB50_47
; %bb.45:                               ;   in Loop: Header=BB50_4 Depth=1
	v_mov_b32_e32 v15, v12
	s_mov_b32 s6, s7
.LBB50_46:                              ;   Parent Loop BB50_4 Depth=1
                                        ; =>  This Inner Loop Header: Depth=2
	s_delay_alu instid0(SALU_CYCLE_1)
	s_bitcmp1_b32 s6, 0
	s_cselect_b32 vcc_lo, -1, 0
	s_lshr_b32 s26, s6, 1
	s_wait_alu 0xfffe
	v_cndmask_b32_e32 v16, 1, v15, vcc_lo
	v_mul_lo_u32 v15, v15, v15
	s_cmp_lt_u32 s6, 2
	s_mov_b32 s6, s26
	s_delay_alu instid0(VALU_DEP_2)
	v_mul_lo_u32 v14, v16, v14
	s_cbranch_scc0 .LBB50_46
.LBB50_47:                              ;   in Loop: Header=BB50_4 Depth=1
	s_cbranch_execnz .LBB50_18
.LBB50_48:                              ;   in Loop: Header=BB50_4 Depth=1
	s_mov_b32 s6, 0
	s_mov_b32 s26, 0
	s_mov_b32 s27, exec_lo
	s_wait_loadcnt 0x0
	v_cmpx_lt_i32_e32 0, v12
	s_xor_b32 s27, exec_lo, s27
	s_cbranch_execnz .LBB50_74
; %bb.49:                               ;   in Loop: Header=BB50_4 Depth=1
	s_and_not1_saveexec_b32 s27, s27
	s_cbranch_execnz .LBB50_75
.LBB50_50:                              ;   in Loop: Header=BB50_4 Depth=1
	s_or_b32 exec_lo, exec_lo, s27
	s_and_saveexec_b32 s27, s26
	s_delay_alu instid0(SALU_CYCLE_1)
	s_xor_b32 s26, exec_lo, s27
	s_cbranch_execnz .LBB50_76
.LBB50_51:                              ;   in Loop: Header=BB50_4 Depth=1
	s_or_b32 exec_lo, exec_lo, s26
	s_and_saveexec_b32 s26, s6
.LBB50_52:                              ;   in Loop: Header=BB50_4 Depth=1
	v_mov_b32_e32 v12, s25
.LBB50_53:                              ;   in Loop: Header=BB50_4 Depth=1
	s_or_b32 exec_lo, exec_lo, s26
	s_delay_alu instid0(VALU_DEP_1)
	v_mov_b32_e32 v14, v12
	s_and_not1_b32 vcc_lo, exec_lo, s23
	s_mov_b32 s6, -1
                                        ; implicit-def: $vgpr12
	s_wait_alu 0xfffe
	s_cbranch_vccnz .LBB50_19
.LBB50_54:                              ;   in Loop: Header=BB50_4 Depth=1
	s_wait_loadcnt 0x0
	v_mov_b32_e32 v12, 1
	s_and_not1_b32 vcc_lo, exec_lo, s24
	s_wait_alu 0xfffe
	s_cbranch_vccnz .LBB50_57
; %bb.55:                               ;   in Loop: Header=BB50_4 Depth=1
	v_mov_b32_e32 v15, v10
	s_mov_b32 s6, s7
.LBB50_56:                              ;   Parent Loop BB50_4 Depth=1
                                        ; =>  This Inner Loop Header: Depth=2
	s_delay_alu instid0(SALU_CYCLE_1)
	s_bitcmp1_b32 s6, 0
	s_cselect_b32 vcc_lo, -1, 0
	s_lshr_b32 s26, s6, 1
	s_wait_alu 0xfffe
	v_cndmask_b32_e32 v16, 1, v15, vcc_lo
	v_mul_lo_u32 v15, v15, v15
	s_cmp_lt_u32 s6, 2
	s_mov_b32 s6, s26
	s_delay_alu instid0(VALU_DEP_2)
	v_mul_lo_u32 v12, v16, v12
	s_cbranch_scc0 .LBB50_56
.LBB50_57:                              ;   in Loop: Header=BB50_4 Depth=1
	s_cbranch_execnz .LBB50_20
.LBB50_58:                              ;   in Loop: Header=BB50_4 Depth=1
	s_mov_b32 s6, 0
	s_mov_b32 s26, 0
	s_mov_b32 s27, exec_lo
	s_wait_loadcnt 0x0
	v_cmpx_lt_i32_e32 0, v10
	s_xor_b32 s27, exec_lo, s27
	s_cbranch_execnz .LBB50_77
; %bb.59:                               ;   in Loop: Header=BB50_4 Depth=1
	s_and_not1_saveexec_b32 s27, s27
	s_cbranch_execnz .LBB50_78
.LBB50_60:                              ;   in Loop: Header=BB50_4 Depth=1
	s_or_b32 exec_lo, exec_lo, s27
	s_and_saveexec_b32 s27, s26
	s_delay_alu instid0(SALU_CYCLE_1)
	s_xor_b32 s26, exec_lo, s27
	s_cbranch_execnz .LBB50_79
.LBB50_61:                              ;   in Loop: Header=BB50_4 Depth=1
	s_or_b32 exec_lo, exec_lo, s26
	s_and_saveexec_b32 s26, s6
.LBB50_62:                              ;   in Loop: Header=BB50_4 Depth=1
	v_mov_b32_e32 v10, s25
.LBB50_63:                              ;   in Loop: Header=BB50_4 Depth=1
	s_or_b32 exec_lo, exec_lo, s26
	s_delay_alu instid0(VALU_DEP_1) | instskip(SKIP_1) | instid1(SALU_CYCLE_1)
	v_mov_b32_e32 v12, v10
	s_and_saveexec_b32 s6, s2
	s_xor_b32 s2, exec_lo, s6
	s_cbranch_execz .LBB50_21
.LBB50_64:                              ;   in Loop: Header=BB50_4 Depth=1
	v_add_co_u32 v1, vcc_lo, s8, v1
	s_wait_alu 0xfffd
	v_add_co_ci_u32_e64 v2, null, s9, v2, vcc_lo
	global_store_b32 v[1:2], v11, off
	s_wait_alu 0xfffe
	s_or_b32 exec_lo, exec_lo, s2
	s_and_saveexec_b32 s2, s3
	s_cbranch_execz .LBB50_22
.LBB50_65:                              ;   in Loop: Header=BB50_4 Depth=1
	v_add_co_u32 v1, vcc_lo, s8, v3
	s_wait_alu 0xfffd
	v_add_co_ci_u32_e64 v2, null, s9, v4, vcc_lo
	s_wait_loadcnt 0x0
	global_store_b32 v[1:2], v13, off
	s_wait_alu 0xfffe
	s_or_b32 exec_lo, exec_lo, s2
	s_and_saveexec_b32 s2, s4
	s_cbranch_execz .LBB50_23
.LBB50_66:                              ;   in Loop: Header=BB50_4 Depth=1
	v_add_co_u32 v1, vcc_lo, s8, v5
	s_wait_alu 0xfffd
	v_add_co_ci_u32_e64 v2, null, s9, v6, vcc_lo
	s_wait_loadcnt 0x0
	global_store_b32 v[1:2], v14, off
	s_wait_alu 0xfffe
	s_or_b32 exec_lo, exec_lo, s2
	s_and_saveexec_b32 s2, s5
	s_cbranch_execz .LBB50_3
.LBB50_67:                              ;   in Loop: Header=BB50_4 Depth=1
	v_add_co_u32 v1, vcc_lo, s8, v7
	s_wait_alu 0xfffd
	v_add_co_ci_u32_e64 v2, null, s9, v8, vcc_lo
	s_wait_loadcnt 0x0
	global_store_b32 v[1:2], v12, off
	s_branch .LBB50_3
.LBB50_68:                              ;   in Loop: Header=BB50_4 Depth=1
	v_cmp_ne_u32_e32 vcc_lo, 1, v13
	s_and_b32 s26, vcc_lo, exec_lo
	s_and_not1_saveexec_b32 s27, s27
	s_cbranch_execz .LBB50_30
.LBB50_69:                              ;   in Loop: Header=BB50_4 Depth=1
	v_cmp_ne_u32_e32 vcc_lo, -1, v13
	s_and_not1_b32 s26, s26, exec_lo
	s_mov_b32 s6, exec_lo
	s_and_b32 s28, vcc_lo, exec_lo
	s_delay_alu instid0(SALU_CYCLE_1) | instskip(SKIP_2) | instid1(SALU_CYCLE_1)
	s_or_b32 s26, s26, s28
	s_or_b32 exec_lo, exec_lo, s27
	s_and_saveexec_b32 s27, s26
	s_xor_b32 s26, exec_lo, s27
	s_cbranch_execz .LBB50_31
.LBB50_70:                              ;   in Loop: Header=BB50_4 Depth=1
	v_mov_b32_e32 v13, 0
	s_and_not1_b32 s6, s6, exec_lo
	s_or_b32 exec_lo, exec_lo, s26
	s_and_saveexec_b32 s26, s6
	s_cbranch_execnz .LBB50_32
	s_branch .LBB50_33
.LBB50_71:                              ;   in Loop: Header=BB50_4 Depth=1
	v_cmp_ne_u32_e32 vcc_lo, 1, v14
	s_and_b32 s26, vcc_lo, exec_lo
	s_and_not1_saveexec_b32 s27, s27
	s_cbranch_execz .LBB50_40
.LBB50_72:                              ;   in Loop: Header=BB50_4 Depth=1
	v_cmp_ne_u32_e32 vcc_lo, -1, v14
	s_and_not1_b32 s26, s26, exec_lo
	s_mov_b32 s6, exec_lo
	s_and_b32 s28, vcc_lo, exec_lo
	s_delay_alu instid0(SALU_CYCLE_1) | instskip(SKIP_2) | instid1(SALU_CYCLE_1)
	s_or_b32 s26, s26, s28
	s_or_b32 exec_lo, exec_lo, s27
	s_and_saveexec_b32 s27, s26
	s_xor_b32 s26, exec_lo, s27
	s_cbranch_execz .LBB50_41
.LBB50_73:                              ;   in Loop: Header=BB50_4 Depth=1
	v_mov_b32_e32 v14, 0
	s_and_not1_b32 s6, s6, exec_lo
	s_or_b32 exec_lo, exec_lo, s26
	s_and_saveexec_b32 s26, s6
	s_cbranch_execnz .LBB50_42
	s_branch .LBB50_43
.LBB50_74:                              ;   in Loop: Header=BB50_4 Depth=1
	v_cmp_ne_u32_e32 vcc_lo, 1, v12
	s_and_b32 s26, vcc_lo, exec_lo
	s_and_not1_saveexec_b32 s27, s27
	s_cbranch_execz .LBB50_50
.LBB50_75:                              ;   in Loop: Header=BB50_4 Depth=1
	v_cmp_ne_u32_e32 vcc_lo, -1, v12
	s_and_not1_b32 s26, s26, exec_lo
	s_mov_b32 s6, exec_lo
	s_and_b32 s28, vcc_lo, exec_lo
	s_delay_alu instid0(SALU_CYCLE_1) | instskip(SKIP_2) | instid1(SALU_CYCLE_1)
	s_or_b32 s26, s26, s28
	s_or_b32 exec_lo, exec_lo, s27
	s_and_saveexec_b32 s27, s26
	s_xor_b32 s26, exec_lo, s27
	s_cbranch_execz .LBB50_51
.LBB50_76:                              ;   in Loop: Header=BB50_4 Depth=1
	v_mov_b32_e32 v12, 0
	s_and_not1_b32 s6, s6, exec_lo
	s_or_b32 exec_lo, exec_lo, s26
	s_and_saveexec_b32 s26, s6
	s_cbranch_execnz .LBB50_52
	s_branch .LBB50_53
.LBB50_77:                              ;   in Loop: Header=BB50_4 Depth=1
	v_cmp_ne_u32_e32 vcc_lo, 1, v10
	s_and_b32 s26, vcc_lo, exec_lo
	s_and_not1_saveexec_b32 s27, s27
	s_cbranch_execz .LBB50_60
.LBB50_78:                              ;   in Loop: Header=BB50_4 Depth=1
	v_cmp_ne_u32_e32 vcc_lo, -1, v10
	s_and_not1_b32 s26, s26, exec_lo
	s_mov_b32 s6, exec_lo
	s_and_b32 s28, vcc_lo, exec_lo
	s_delay_alu instid0(SALU_CYCLE_1) | instskip(SKIP_2) | instid1(SALU_CYCLE_1)
	s_or_b32 s26, s26, s28
	s_or_b32 exec_lo, exec_lo, s27
	s_and_saveexec_b32 s27, s26
	s_xor_b32 s26, exec_lo, s27
	s_cbranch_execz .LBB50_61
.LBB50_79:                              ;   in Loop: Header=BB50_4 Depth=1
	v_mov_b32_e32 v10, 0
	s_and_not1_b32 s6, s6, exec_lo
	s_or_b32 exec_lo, exec_lo, s26
	s_and_saveexec_b32 s26, s6
	s_cbranch_execnz .LBB50_62
	s_branch .LBB50_63
.LBB50_80:
	s_cbranch_execz .LBB50_82
	s_branch .LBB50_145
.LBB50_81:
.LBB50_82:
	v_cmp_gt_i64_e64 s2, 0x10000, s[10:11]
	v_dual_mov_b32 v2, 0 :: v_dual_lshlrev_b32 v1, 2, v0
	s_mov_b32 s4, 0
	s_mov_b32 s5, exec_lo
	s_and_b32 s2, s2, exec_lo
	s_cselect_b32 s3, s11, 0
	s_cselect_b32 s2, s10, 0x10000
	s_wait_alu 0xfffe
	v_cmpx_gt_i64_e64 s[2:3], v[1:2]
	s_cbranch_execz .LBB50_145
; %bb.83:
	s_load_b32 s0, s[0:1], 0xd3c
	s_cmp_gt_i32 s7, -1
	v_mov_b32_e32 v1, v2
	s_cselect_b32 s1, -1, 0
	s_cmp_lg_u32 s7, 0
	s_cselect_b32 s5, -1, 0
	s_bitcmp0_b32 s7, 0
	s_wait_loadcnt 0x0
	v_cndmask_b32_e64 v12, 0, 1, s5
	s_cselect_b32 s6, 1, -1
	s_wait_kmcnt 0x0
	s_and_b32 s10, s0, 0xffff
	s_branch .LBB50_86
.LBB50_84:                              ;   in Loop: Header=BB50_86 Depth=1
	s_wait_alu 0xfffe
	s_or_b32 exec_lo, exec_lo, s11
	s_delay_alu instid0(VALU_DEP_1)
	v_mov_b32_e32 v9, v5
.LBB50_85:                              ;   in Loop: Header=BB50_86 Depth=1
	v_add_co_u32 v0, vcc_lo, v0, s10
	s_wait_alu 0xfffd
	v_add_co_ci_u32_e64 v1, null, 0, v1, vcc_lo
	global_store_b128 v[10:11], v[6:9], off
	s_wait_loadcnt 0x0
	v_lshlrev_b64_e32 v[2:3], 2, v[0:1]
	s_delay_alu instid0(VALU_DEP_1)
	v_cmp_le_i64_e32 vcc_lo, s[2:3], v[2:3]
	s_or_b32 s4, vcc_lo, s4
	s_wait_alu 0xfffe
	s_and_not1_b32 exec_lo, exec_lo, s4
	s_cbranch_execz .LBB50_145
.LBB50_86:                              ; =>This Loop Header: Depth=1
                                        ;     Child Loop BB50_96 Depth 2
                                        ;     Child Loop BB50_109 Depth 2
	;; [unrolled: 1-line block ×4, first 2 shown]
	v_lshlrev_b64_e32 v[2:3], 4, v[0:1]
	v_cmp_ne_u32_e64 s0, 1, v12
	s_mov_b32 s11, -1
                                        ; implicit-def: $vgpr6
	v_add_co_u32 v10, vcc_lo, s8, v2
	s_wait_alu 0xfffd
	v_add_co_ci_u32_e64 v11, null, s9, v3, vcc_lo
	s_and_b32 vcc_lo, exec_lo, s1
	global_load_b128 v[2:5], v[10:11], off
	s_wait_alu 0xfffe
	s_cbranch_vccnz .LBB50_94
; %bb.87:                               ;   in Loop: Header=BB50_86 Depth=1
	s_and_not1_b32 vcc_lo, exec_lo, s11
	s_wait_alu 0xfffe
	s_cbranch_vccz .LBB50_98
.LBB50_88:                              ;   in Loop: Header=BB50_86 Depth=1
	s_and_not1_b32 vcc_lo, exec_lo, s1
	s_mov_b32 s0, -1
	s_wait_alu 0xfffe
	s_cbranch_vccz .LBB50_107
.LBB50_89:                              ;   in Loop: Header=BB50_86 Depth=1
	s_and_not1_b32 vcc_lo, exec_lo, s0
	s_wait_alu 0xfffe
	s_cbranch_vccz .LBB50_111
.LBB50_90:                              ;   in Loop: Header=BB50_86 Depth=1
	s_and_not1_b32 vcc_lo, exec_lo, s1
	s_mov_b32 s0, -1
	s_wait_alu 0xfffe
	s_cbranch_vccz .LBB50_117
.LBB50_91:                              ;   in Loop: Header=BB50_86 Depth=1
	s_and_not1_b32 vcc_lo, exec_lo, s0
	s_wait_alu 0xfffe
	s_cbranch_vccz .LBB50_121
.LBB50_92:                              ;   in Loop: Header=BB50_86 Depth=1
	s_and_not1_b32 vcc_lo, exec_lo, s1
	s_mov_b32 s0, -1
	s_wait_alu 0xfffe
	s_cbranch_vccz .LBB50_127
.LBB50_93:                              ;   in Loop: Header=BB50_86 Depth=1
	s_and_not1_b32 vcc_lo, exec_lo, s0
	s_wait_alu 0xfffe
	s_cbranch_vccnz .LBB50_85
	s_branch .LBB50_131
.LBB50_94:                              ;   in Loop: Header=BB50_86 Depth=1
	v_mov_b32_e32 v6, 1
	s_and_b32 vcc_lo, exec_lo, s0
	s_wait_alu 0xfffe
	s_cbranch_vccnz .LBB50_97
; %bb.95:                               ;   in Loop: Header=BB50_86 Depth=1
	s_wait_loadcnt 0x0
	v_mov_b32_e32 v7, v2
	s_mov_b32 s0, s7
.LBB50_96:                              ;   Parent Loop BB50_86 Depth=1
                                        ; =>  This Inner Loop Header: Depth=2
	s_delay_alu instid0(SALU_CYCLE_1)
	s_bitcmp1_b32 s0, 0
	s_cselect_b32 vcc_lo, -1, 0
	s_lshr_b32 s11, s0, 1
	s_wait_alu 0xfffe
	v_cndmask_b32_e32 v8, 1, v7, vcc_lo
	v_mul_lo_u32 v7, v7, v7
	s_cmp_gt_u32 s0, 1
	s_mov_b32 s0, s11
	s_delay_alu instid0(VALU_DEP_2)
	v_mul_lo_u32 v6, v8, v6
	s_cbranch_scc1 .LBB50_96
.LBB50_97:                              ;   in Loop: Header=BB50_86 Depth=1
	s_cbranch_execnz .LBB50_88
.LBB50_98:                              ;   in Loop: Header=BB50_86 Depth=1
	s_mov_b32 s0, 0
	s_mov_b32 s11, 0
	s_mov_b32 s12, exec_lo
	s_wait_loadcnt 0x0
	v_cmpx_lt_i32_e32 0, v2
	s_xor_b32 s12, exec_lo, s12
; %bb.99:                               ;   in Loop: Header=BB50_86 Depth=1
	v_cmp_ne_u32_e32 vcc_lo, 1, v2
	s_and_b32 s11, vcc_lo, exec_lo
; %bb.100:                              ;   in Loop: Header=BB50_86 Depth=1
	s_and_not1_saveexec_b32 s12, s12
; %bb.101:                              ;   in Loop: Header=BB50_86 Depth=1
	v_cmp_ne_u32_e32 vcc_lo, -1, v2
	s_wait_alu 0xfffe
	s_and_not1_b32 s11, s11, exec_lo
	s_mov_b32 s0, exec_lo
	s_and_b32 s13, vcc_lo, exec_lo
	s_wait_alu 0xfffe
	s_or_b32 s11, s11, s13
; %bb.102:                              ;   in Loop: Header=BB50_86 Depth=1
	s_or_b32 exec_lo, exec_lo, s12
	v_mov_b32_e32 v6, v2
	s_wait_alu 0xfffe
	s_and_saveexec_b32 s12, s11
	s_delay_alu instid0(SALU_CYCLE_1)
	s_xor_b32 s11, exec_lo, s12
; %bb.103:                              ;   in Loop: Header=BB50_86 Depth=1
	v_mov_b32_e32 v6, 0
	s_and_not1_b32 s0, s0, exec_lo
; %bb.104:                              ;   in Loop: Header=BB50_86 Depth=1
	s_wait_alu 0xfffe
	s_or_b32 exec_lo, exec_lo, s11
	s_and_saveexec_b32 s11, s0
; %bb.105:                              ;   in Loop: Header=BB50_86 Depth=1
	v_mov_b32_e32 v6, s6
; %bb.106:                              ;   in Loop: Header=BB50_86 Depth=1
	s_wait_alu 0xfffe
	s_or_b32 exec_lo, exec_lo, s11
	s_delay_alu instid0(SALU_CYCLE_1)
	s_and_not1_b32 vcc_lo, exec_lo, s1
	s_mov_b32 s0, -1
	s_wait_alu 0xfffe
	s_cbranch_vccnz .LBB50_89
.LBB50_107:                             ;   in Loop: Header=BB50_86 Depth=1
	v_mov_b32_e32 v7, 1
	s_and_not1_b32 vcc_lo, exec_lo, s5
	s_wait_alu 0xfffe
	s_cbranch_vccnz .LBB50_110
; %bb.108:                              ;   in Loop: Header=BB50_86 Depth=1
	s_wait_loadcnt 0x0
	v_mov_b32_e32 v2, v3
	s_mov_b32 s0, s7
.LBB50_109:                             ;   Parent Loop BB50_86 Depth=1
                                        ; =>  This Inner Loop Header: Depth=2
	s_delay_alu instid0(SALU_CYCLE_1)
	s_bitcmp1_b32 s0, 0
	s_cselect_b32 vcc_lo, -1, 0
	s_lshr_b32 s11, s0, 1
	s_wait_alu 0xfffe
	v_cndmask_b32_e32 v8, 1, v2, vcc_lo
	v_mul_lo_u32 v2, v2, v2
	s_cmp_lt_u32 s0, 2
	s_mov_b32 s0, s11
	s_delay_alu instid0(VALU_DEP_2)
	v_mul_lo_u32 v7, v8, v7
	s_cbranch_scc0 .LBB50_109
.LBB50_110:                             ;   in Loop: Header=BB50_86 Depth=1
	s_cbranch_execnz .LBB50_90
.LBB50_111:                             ;   in Loop: Header=BB50_86 Depth=1
	s_mov_b32 s0, 0
	s_mov_b32 s11, 0
	s_mov_b32 s12, exec_lo
	s_wait_loadcnt 0x0
	v_cmpx_lt_i32_e32 0, v3
	s_xor_b32 s12, exec_lo, s12
	s_cbranch_execnz .LBB50_135
; %bb.112:                              ;   in Loop: Header=BB50_86 Depth=1
	s_and_not1_saveexec_b32 s12, s12
	s_cbranch_execnz .LBB50_136
.LBB50_113:                             ;   in Loop: Header=BB50_86 Depth=1
	s_or_b32 exec_lo, exec_lo, s12
	s_wait_alu 0xfffe
	s_and_saveexec_b32 s12, s11
	s_delay_alu instid0(SALU_CYCLE_1)
	s_xor_b32 s11, exec_lo, s12
	s_cbranch_execnz .LBB50_137
.LBB50_114:                             ;   in Loop: Header=BB50_86 Depth=1
	s_wait_alu 0xfffe
	s_or_b32 exec_lo, exec_lo, s11
	s_and_saveexec_b32 s11, s0
.LBB50_115:                             ;   in Loop: Header=BB50_86 Depth=1
	v_mov_b32_e32 v3, s6
.LBB50_116:                             ;   in Loop: Header=BB50_86 Depth=1
	s_wait_alu 0xfffe
	s_or_b32 exec_lo, exec_lo, s11
	s_delay_alu instid0(VALU_DEP_1)
	v_mov_b32_e32 v7, v3
	s_and_not1_b32 vcc_lo, exec_lo, s1
	s_mov_b32 s0, -1
	s_wait_alu 0xfffe
	s_cbranch_vccnz .LBB50_91
.LBB50_117:                             ;   in Loop: Header=BB50_86 Depth=1
	v_mov_b32_e32 v8, 1
	s_and_not1_b32 vcc_lo, exec_lo, s5
	s_wait_alu 0xfffe
	s_cbranch_vccnz .LBB50_120
; %bb.118:                              ;   in Loop: Header=BB50_86 Depth=1
	s_wait_loadcnt 0x0
	v_mov_b32_e32 v2, v4
	s_mov_b32 s0, s7
.LBB50_119:                             ;   Parent Loop BB50_86 Depth=1
                                        ; =>  This Inner Loop Header: Depth=2
	s_delay_alu instid0(SALU_CYCLE_1)
	s_bitcmp1_b32 s0, 0
	s_cselect_b32 vcc_lo, -1, 0
	s_lshr_b32 s11, s0, 1
	s_wait_alu 0xfffe
	v_cndmask_b32_e32 v3, 1, v2, vcc_lo
	v_mul_lo_u32 v2, v2, v2
	s_cmp_lt_u32 s0, 2
	s_mov_b32 s0, s11
	s_delay_alu instid0(VALU_DEP_2)
	v_mul_lo_u32 v8, v3, v8
	s_cbranch_scc0 .LBB50_119
.LBB50_120:                             ;   in Loop: Header=BB50_86 Depth=1
	s_cbranch_execnz .LBB50_92
.LBB50_121:                             ;   in Loop: Header=BB50_86 Depth=1
	s_mov_b32 s0, 0
	s_mov_b32 s11, 0
	s_mov_b32 s12, exec_lo
	s_wait_loadcnt 0x0
	v_cmpx_lt_i32_e32 0, v4
	s_xor_b32 s12, exec_lo, s12
	s_cbranch_execnz .LBB50_138
; %bb.122:                              ;   in Loop: Header=BB50_86 Depth=1
	s_and_not1_saveexec_b32 s12, s12
	s_cbranch_execnz .LBB50_139
.LBB50_123:                             ;   in Loop: Header=BB50_86 Depth=1
	s_or_b32 exec_lo, exec_lo, s12
	s_wait_alu 0xfffe
	s_and_saveexec_b32 s12, s11
	s_delay_alu instid0(SALU_CYCLE_1)
	s_xor_b32 s11, exec_lo, s12
	s_cbranch_execnz .LBB50_140
.LBB50_124:                             ;   in Loop: Header=BB50_86 Depth=1
	s_wait_alu 0xfffe
	s_or_b32 exec_lo, exec_lo, s11
	s_and_saveexec_b32 s11, s0
.LBB50_125:                             ;   in Loop: Header=BB50_86 Depth=1
	v_mov_b32_e32 v4, s6
.LBB50_126:                             ;   in Loop: Header=BB50_86 Depth=1
	s_wait_alu 0xfffe
	s_or_b32 exec_lo, exec_lo, s11
	s_delay_alu instid0(VALU_DEP_1)
	v_mov_b32_e32 v8, v4
	s_and_not1_b32 vcc_lo, exec_lo, s1
	s_mov_b32 s0, -1
	s_wait_alu 0xfffe
	s_cbranch_vccnz .LBB50_93
.LBB50_127:                             ;   in Loop: Header=BB50_86 Depth=1
	v_mov_b32_e32 v9, 1
	s_and_not1_b32 vcc_lo, exec_lo, s5
	s_wait_alu 0xfffe
	s_cbranch_vccnz .LBB50_130
; %bb.128:                              ;   in Loop: Header=BB50_86 Depth=1
	s_wait_loadcnt 0x0
	v_mov_b32_e32 v2, v5
	s_mov_b32 s0, s7
.LBB50_129:                             ;   Parent Loop BB50_86 Depth=1
                                        ; =>  This Inner Loop Header: Depth=2
	s_delay_alu instid0(SALU_CYCLE_1)
	s_bitcmp1_b32 s0, 0
	s_cselect_b32 vcc_lo, -1, 0
	s_lshr_b32 s11, s0, 1
	s_wait_alu 0xfffe
	v_cndmask_b32_e32 v3, 1, v2, vcc_lo
	v_mul_lo_u32 v2, v2, v2
	s_cmp_lt_u32 s0, 2
	s_mov_b32 s0, s11
	s_delay_alu instid0(VALU_DEP_2)
	v_mul_lo_u32 v9, v3, v9
	s_cbranch_scc0 .LBB50_129
.LBB50_130:                             ;   in Loop: Header=BB50_86 Depth=1
	s_cbranch_execnz .LBB50_85
.LBB50_131:                             ;   in Loop: Header=BB50_86 Depth=1
	s_mov_b32 s0, 0
	s_mov_b32 s11, 0
	s_mov_b32 s12, exec_lo
	s_wait_loadcnt 0x0
	v_cmpx_lt_i32_e32 0, v5
	s_xor_b32 s12, exec_lo, s12
	s_cbranch_execnz .LBB50_141
; %bb.132:                              ;   in Loop: Header=BB50_86 Depth=1
	s_and_not1_saveexec_b32 s12, s12
	s_cbranch_execnz .LBB50_142
.LBB50_133:                             ;   in Loop: Header=BB50_86 Depth=1
	s_or_b32 exec_lo, exec_lo, s12
	s_wait_alu 0xfffe
	s_and_saveexec_b32 s12, s11
	s_delay_alu instid0(SALU_CYCLE_1)
	s_xor_b32 s11, exec_lo, s12
	s_cbranch_execnz .LBB50_143
.LBB50_134:                             ;   in Loop: Header=BB50_86 Depth=1
	s_wait_alu 0xfffe
	s_or_b32 exec_lo, exec_lo, s11
	s_and_saveexec_b32 s11, s0
	s_cbranch_execz .LBB50_84
	s_branch .LBB50_144
.LBB50_135:                             ;   in Loop: Header=BB50_86 Depth=1
	v_cmp_ne_u32_e32 vcc_lo, 1, v3
	s_and_b32 s11, vcc_lo, exec_lo
	s_and_not1_saveexec_b32 s12, s12
	s_cbranch_execz .LBB50_113
.LBB50_136:                             ;   in Loop: Header=BB50_86 Depth=1
	v_cmp_ne_u32_e32 vcc_lo, -1, v3
	s_wait_alu 0xfffe
	s_and_not1_b32 s11, s11, exec_lo
	s_mov_b32 s0, exec_lo
	s_and_b32 s13, vcc_lo, exec_lo
	s_wait_alu 0xfffe
	s_or_b32 s11, s11, s13
	s_or_b32 exec_lo, exec_lo, s12
	s_wait_alu 0xfffe
	s_and_saveexec_b32 s12, s11
	s_delay_alu instid0(SALU_CYCLE_1)
	s_xor_b32 s11, exec_lo, s12
	s_cbranch_execz .LBB50_114
.LBB50_137:                             ;   in Loop: Header=BB50_86 Depth=1
	v_mov_b32_e32 v3, 0
	s_and_not1_b32 s0, s0, exec_lo
	s_wait_alu 0xfffe
	s_or_b32 exec_lo, exec_lo, s11
	s_and_saveexec_b32 s11, s0
	s_cbranch_execnz .LBB50_115
	s_branch .LBB50_116
.LBB50_138:                             ;   in Loop: Header=BB50_86 Depth=1
	v_cmp_ne_u32_e32 vcc_lo, 1, v4
	s_and_b32 s11, vcc_lo, exec_lo
	s_and_not1_saveexec_b32 s12, s12
	s_cbranch_execz .LBB50_123
.LBB50_139:                             ;   in Loop: Header=BB50_86 Depth=1
	v_cmp_ne_u32_e32 vcc_lo, -1, v4
	s_wait_alu 0xfffe
	s_and_not1_b32 s11, s11, exec_lo
	s_mov_b32 s0, exec_lo
	s_and_b32 s13, vcc_lo, exec_lo
	s_wait_alu 0xfffe
	s_or_b32 s11, s11, s13
	s_or_b32 exec_lo, exec_lo, s12
	s_wait_alu 0xfffe
	s_and_saveexec_b32 s12, s11
	s_delay_alu instid0(SALU_CYCLE_1)
	s_xor_b32 s11, exec_lo, s12
	s_cbranch_execz .LBB50_124
.LBB50_140:                             ;   in Loop: Header=BB50_86 Depth=1
	v_mov_b32_e32 v4, 0
	s_and_not1_b32 s0, s0, exec_lo
	s_wait_alu 0xfffe
	s_or_b32 exec_lo, exec_lo, s11
	s_and_saveexec_b32 s11, s0
	s_cbranch_execnz .LBB50_125
	s_branch .LBB50_126
.LBB50_141:                             ;   in Loop: Header=BB50_86 Depth=1
	v_cmp_ne_u32_e32 vcc_lo, 1, v5
	s_and_b32 s11, vcc_lo, exec_lo
	s_and_not1_saveexec_b32 s12, s12
	s_cbranch_execz .LBB50_133
.LBB50_142:                             ;   in Loop: Header=BB50_86 Depth=1
	v_cmp_ne_u32_e32 vcc_lo, -1, v5
	s_wait_alu 0xfffe
	s_and_not1_b32 s11, s11, exec_lo
	s_mov_b32 s0, exec_lo
	s_and_b32 s13, vcc_lo, exec_lo
	s_wait_alu 0xfffe
	s_or_b32 s11, s11, s13
	s_or_b32 exec_lo, exec_lo, s12
	s_wait_alu 0xfffe
	s_and_saveexec_b32 s12, s11
	s_delay_alu instid0(SALU_CYCLE_1)
	s_xor_b32 s11, exec_lo, s12
	s_cbranch_execz .LBB50_134
.LBB50_143:                             ;   in Loop: Header=BB50_86 Depth=1
	v_mov_b32_e32 v5, 0
	s_and_not1_b32 s0, s0, exec_lo
	s_wait_alu 0xfffe
	s_or_b32 exec_lo, exec_lo, s11
	s_and_saveexec_b32 s11, s0
	s_cbranch_execz .LBB50_84
.LBB50_144:                             ;   in Loop: Header=BB50_86 Depth=1
	v_mov_b32_e32 v5, s6
	s_branch .LBB50_84
.LBB50_145:
	s_endpgm
	.section	.rodata,"a",@progbits
	.p2align	6, 0x0
	.amdhsa_kernel _ZN2at6native12_GLOBAL__N_125multi_tensor_apply_kernelINS1_18TensorListMetadataILi1EEENS1_21BinaryOpScalarFunctorIiLi1ELi1ELi0EEEJNS1_13power_functorIiEEiEEEvT_T0_DpT1_
		.amdhsa_group_segment_fixed_size 0
		.amdhsa_private_segment_fixed_size 0
		.amdhsa_kernarg_size 3632
		.amdhsa_user_sgpr_count 2
		.amdhsa_user_sgpr_dispatch_ptr 0
		.amdhsa_user_sgpr_queue_ptr 0
		.amdhsa_user_sgpr_kernarg_segment_ptr 1
		.amdhsa_user_sgpr_dispatch_id 0
		.amdhsa_user_sgpr_private_segment_size 0
		.amdhsa_wavefront_size32 1
		.amdhsa_uses_dynamic_stack 0
		.amdhsa_enable_private_segment 0
		.amdhsa_system_sgpr_workgroup_id_x 1
		.amdhsa_system_sgpr_workgroup_id_y 0
		.amdhsa_system_sgpr_workgroup_id_z 0
		.amdhsa_system_sgpr_workgroup_info 0
		.amdhsa_system_vgpr_workitem_id 0
		.amdhsa_next_free_vgpr 17
		.amdhsa_next_free_sgpr 29
		.amdhsa_reserve_vcc 1
		.amdhsa_float_round_mode_32 0
		.amdhsa_float_round_mode_16_64 0
		.amdhsa_float_denorm_mode_32 3
		.amdhsa_float_denorm_mode_16_64 3
		.amdhsa_fp16_overflow 0
		.amdhsa_workgroup_processor_mode 1
		.amdhsa_memory_ordered 1
		.amdhsa_forward_progress 1
		.amdhsa_inst_pref_size 28
		.amdhsa_round_robin_scheduling 0
		.amdhsa_exception_fp_ieee_invalid_op 0
		.amdhsa_exception_fp_denorm_src 0
		.amdhsa_exception_fp_ieee_div_zero 0
		.amdhsa_exception_fp_ieee_overflow 0
		.amdhsa_exception_fp_ieee_underflow 0
		.amdhsa_exception_fp_ieee_inexact 0
		.amdhsa_exception_int_div_zero 0
	.end_amdhsa_kernel
	.section	.text._ZN2at6native12_GLOBAL__N_125multi_tensor_apply_kernelINS1_18TensorListMetadataILi1EEENS1_21BinaryOpScalarFunctorIiLi1ELi1ELi0EEEJNS1_13power_functorIiEEiEEEvT_T0_DpT1_,"axG",@progbits,_ZN2at6native12_GLOBAL__N_125multi_tensor_apply_kernelINS1_18TensorListMetadataILi1EEENS1_21BinaryOpScalarFunctorIiLi1ELi1ELi0EEEJNS1_13power_functorIiEEiEEEvT_T0_DpT1_,comdat
.Lfunc_end50:
	.size	_ZN2at6native12_GLOBAL__N_125multi_tensor_apply_kernelINS1_18TensorListMetadataILi1EEENS1_21BinaryOpScalarFunctorIiLi1ELi1ELi0EEEJNS1_13power_functorIiEEiEEEvT_T0_DpT1_, .Lfunc_end50-_ZN2at6native12_GLOBAL__N_125multi_tensor_apply_kernelINS1_18TensorListMetadataILi1EEENS1_21BinaryOpScalarFunctorIiLi1ELi1ELi0EEEJNS1_13power_functorIiEEiEEEvT_T0_DpT1_
                                        ; -- End function
	.set _ZN2at6native12_GLOBAL__N_125multi_tensor_apply_kernelINS1_18TensorListMetadataILi1EEENS1_21BinaryOpScalarFunctorIiLi1ELi1ELi0EEEJNS1_13power_functorIiEEiEEEvT_T0_DpT1_.num_vgpr, 17
	.set _ZN2at6native12_GLOBAL__N_125multi_tensor_apply_kernelINS1_18TensorListMetadataILi1EEENS1_21BinaryOpScalarFunctorIiLi1ELi1ELi0EEEJNS1_13power_functorIiEEiEEEvT_T0_DpT1_.num_agpr, 0
	.set _ZN2at6native12_GLOBAL__N_125multi_tensor_apply_kernelINS1_18TensorListMetadataILi1EEENS1_21BinaryOpScalarFunctorIiLi1ELi1ELi0EEEJNS1_13power_functorIiEEiEEEvT_T0_DpT1_.numbered_sgpr, 29
	.set _ZN2at6native12_GLOBAL__N_125multi_tensor_apply_kernelINS1_18TensorListMetadataILi1EEENS1_21BinaryOpScalarFunctorIiLi1ELi1ELi0EEEJNS1_13power_functorIiEEiEEEvT_T0_DpT1_.num_named_barrier, 0
	.set _ZN2at6native12_GLOBAL__N_125multi_tensor_apply_kernelINS1_18TensorListMetadataILi1EEENS1_21BinaryOpScalarFunctorIiLi1ELi1ELi0EEEJNS1_13power_functorIiEEiEEEvT_T0_DpT1_.private_seg_size, 0
	.set _ZN2at6native12_GLOBAL__N_125multi_tensor_apply_kernelINS1_18TensorListMetadataILi1EEENS1_21BinaryOpScalarFunctorIiLi1ELi1ELi0EEEJNS1_13power_functorIiEEiEEEvT_T0_DpT1_.uses_vcc, 1
	.set _ZN2at6native12_GLOBAL__N_125multi_tensor_apply_kernelINS1_18TensorListMetadataILi1EEENS1_21BinaryOpScalarFunctorIiLi1ELi1ELi0EEEJNS1_13power_functorIiEEiEEEvT_T0_DpT1_.uses_flat_scratch, 0
	.set _ZN2at6native12_GLOBAL__N_125multi_tensor_apply_kernelINS1_18TensorListMetadataILi1EEENS1_21BinaryOpScalarFunctorIiLi1ELi1ELi0EEEJNS1_13power_functorIiEEiEEEvT_T0_DpT1_.has_dyn_sized_stack, 0
	.set _ZN2at6native12_GLOBAL__N_125multi_tensor_apply_kernelINS1_18TensorListMetadataILi1EEENS1_21BinaryOpScalarFunctorIiLi1ELi1ELi0EEEJNS1_13power_functorIiEEiEEEvT_T0_DpT1_.has_recursion, 0
	.set _ZN2at6native12_GLOBAL__N_125multi_tensor_apply_kernelINS1_18TensorListMetadataILi1EEENS1_21BinaryOpScalarFunctorIiLi1ELi1ELi0EEEJNS1_13power_functorIiEEiEEEvT_T0_DpT1_.has_indirect_call, 0
	.section	.AMDGPU.csdata,"",@progbits
; Kernel info:
; codeLenInByte = 3564
; TotalNumSgprs: 31
; NumVgprs: 17
; ScratchSize: 0
; MemoryBound: 1
; FloatMode: 240
; IeeeMode: 1
; LDSByteSize: 0 bytes/workgroup (compile time only)
; SGPRBlocks: 0
; VGPRBlocks: 2
; NumSGPRsForWavesPerEU: 31
; NumVGPRsForWavesPerEU: 17
; Occupancy: 16
; WaveLimiterHint : 0
; COMPUTE_PGM_RSRC2:SCRATCH_EN: 0
; COMPUTE_PGM_RSRC2:USER_SGPR: 2
; COMPUTE_PGM_RSRC2:TRAP_HANDLER: 0
; COMPUTE_PGM_RSRC2:TGID_X_EN: 1
; COMPUTE_PGM_RSRC2:TGID_Y_EN: 0
; COMPUTE_PGM_RSRC2:TGID_Z_EN: 0
; COMPUTE_PGM_RSRC2:TIDIG_COMP_CNT: 0
	.section	.text._ZN2at6native12_GLOBAL__N_125multi_tensor_apply_kernelINS1_18TensorListMetadataILi1EEENS1_21BinaryOpScalarFunctorIlLi1ELi1ELi0EEEJNS1_13power_functorIlEElEEEvT_T0_DpT1_,"axG",@progbits,_ZN2at6native12_GLOBAL__N_125multi_tensor_apply_kernelINS1_18TensorListMetadataILi1EEENS1_21BinaryOpScalarFunctorIlLi1ELi1ELi0EEEJNS1_13power_functorIlEElEEEvT_T0_DpT1_,comdat
	.globl	_ZN2at6native12_GLOBAL__N_125multi_tensor_apply_kernelINS1_18TensorListMetadataILi1EEENS1_21BinaryOpScalarFunctorIlLi1ELi1ELi0EEEJNS1_13power_functorIlEElEEEvT_T0_DpT1_ ; -- Begin function _ZN2at6native12_GLOBAL__N_125multi_tensor_apply_kernelINS1_18TensorListMetadataILi1EEENS1_21BinaryOpScalarFunctorIlLi1ELi1ELi0EEEJNS1_13power_functorIlEElEEEvT_T0_DpT1_
	.p2align	8
	.type	_ZN2at6native12_GLOBAL__N_125multi_tensor_apply_kernelINS1_18TensorListMetadataILi1EEENS1_21BinaryOpScalarFunctorIlLi1ELi1ELi0EEEJNS1_13power_functorIlEElEEEvT_T0_DpT1_,@function
_ZN2at6native12_GLOBAL__N_125multi_tensor_apply_kernelINS1_18TensorListMetadataILi1EEENS1_21BinaryOpScalarFunctorIlLi1ELi1ELi0EEEJNS1_13power_functorIlEElEEEvT_T0_DpT1_: ; @_ZN2at6native12_GLOBAL__N_125multi_tensor_apply_kernelINS1_18TensorListMetadataILi1EEENS1_21BinaryOpScalarFunctorIlLi1ELi1ELi0EEEJNS1_13power_functorIlEElEEEvT_T0_DpT1_
; %bb.0:
	s_load_u8 s8, s[0:1], ttmp9 offset:0x6e0
	s_mov_b32 s2, ttmp9
	s_mov_b32 s3, 0
	s_delay_alu instid0(SALU_CYCLE_1) | instskip(SKIP_1) | instid1(SALU_CYCLE_1)
	s_mul_u64 s[4:5], s[2:3], 3
	s_add_nc_u64 s[6:7], s[0:1], s[2:3]
	s_add_nc_u64 s[4:5], s[6:7], s[4:5]
	s_load_b32 s4, s[4:5], 0x820
	s_wait_kmcnt 0x0
	s_lshl_b32 s2, s8, 3
	s_clause 0x2
	s_load_b64 s[6:7], s[0:1], s2 offset:0x0
	s_load_b64 s[12:13], s[0:1], s2 offset:0x370
	s_load_b64 s[8:9], s[0:1], 0xd30
	s_ashr_i32 s5, s4, 31
	s_delay_alu instid0(SALU_CYCLE_1)
	s_lshl_b64 s[10:11], s[4:5], 19
	s_lshl_b64 s[4:5], s[4:5], 16
	s_wait_kmcnt 0x0
	s_add_nc_u64 s[10:11], s[6:7], s[10:11]
	s_and_b32 s6, s12, 3
	s_and_b32 s2, s10, 31
	s_mov_b32 s7, s3
	s_sub_nc_u64 s[12:13], s[12:13], s[4:5]
	s_or_b64 s[2:3], s[2:3], s[6:7]
	s_delay_alu instid0(SALU_CYCLE_1)
	s_cmp_eq_u64 s[2:3], 0
	s_cbranch_scc1 .LBB51_81
; %bb.1:
	v_cmp_lt_i64_e64 s2, s[12:13], 1
	s_and_b32 vcc_lo, exec_lo, s2
	s_cbranch_vccnz .LBB51_80
; %bb.2:
	s_load_b32 s2, s[0:1], 0xd44
	v_cmp_gt_i64_e64 s3, 0x10000, s[12:13]
	v_cmp_gt_u64_e64 s4, 0x10000, s[12:13]
	s_mov_b32 s15, 0
	v_cmp_gt_i64_e64 s26, s[8:9], -1
	s_mov_b64 s[16:17], 0
	s_and_b32 s3, s3, exec_lo
	s_cselect_b32 s19, s13, 0
	s_cselect_b32 s18, s12, 0x10000
	s_wait_kmcnt 0x0
	s_and_b32 s24, s2, 0xffff
	s_and_b32 s2, s4, exec_lo
	s_cselect_b32 s21, s13, 0
	s_cselect_b32 s20, s12, 0x10000
	s_lshl_b32 s25, s24, 1
	s_cmp_lg_u64 s[8:9], 0
	s_mul_i32 s28, s24, 3
	s_cselect_b32 s27, -1, 0
	s_and_b32 s14, s8, 1
	v_cndmask_b32_e64 v21, 0, 1, s27
	s_cmp_eq_u64 s[14:15], 0
	s_cselect_b32 s23, 0, -1
	s_cselect_b32 s22, 1, -1
	s_lshl_b32 s14, s24, 2
	s_branch .LBB51_4
.LBB51_3:                               ;   in Loop: Header=BB51_4 Depth=1
	s_wait_alu 0xfffe
	s_or_b32 exec_lo, exec_lo, s2
	s_add_nc_u64 s[16:17], s[16:17], s[14:15]
	s_wait_alu 0xfffe
	v_cmp_ge_i64_e64 s2, s[16:17], s[18:19]
	s_and_b32 vcc_lo, exec_lo, s2
	s_wait_alu 0xfffe
	s_cbranch_vccnz .LBB51_80
.LBB51_4:                               ; =>This Loop Header: Depth=1
                                        ;     Child Loop BB51_26 Depth 2
                                        ;     Child Loop BB51_36 Depth 2
	;; [unrolled: 1-line block ×4, first 2 shown]
	v_add_co_u32 v7, s2, s16, v0
	s_wait_alu 0xf1ff
	v_add_co_ci_u32_e64 v8, null, s17, 0, s2
	s_wait_loadcnt 0x0
	v_mov_b32_e32 v17, 0
	v_dual_mov_b32 v18, 0 :: v_dual_mov_b32 v15, 0
	s_delay_alu instid0(VALU_DEP_3)
	v_cmp_gt_u64_e64 s2, s[20:21], v[7:8]
	v_lshlrev_b64_e32 v[1:2], 3, v[7:8]
	v_mov_b32_e32 v16, 0
	s_and_saveexec_b32 s3, s2
	s_cbranch_execz .LBB51_6
; %bb.5:                                ;   in Loop: Header=BB51_4 Depth=1
	s_delay_alu instid0(VALU_DEP_2)
	v_add_co_u32 v3, vcc_lo, s10, v1
	s_wait_alu 0xfffd
	v_add_co_ci_u32_e64 v4, null, s11, v2, vcc_lo
	global_load_b64 v[15:16], v[3:4], off
.LBB51_6:                               ;   in Loop: Header=BB51_4 Depth=1
	s_wait_alu 0xfffe
	s_or_b32 exec_lo, exec_lo, s3
	v_add_co_u32 v3, vcc_lo, v7, s24
	s_wait_alu 0xfffd
	v_add_co_ci_u32_e64 v4, null, 0, v8, vcc_lo
	s_delay_alu instid0(VALU_DEP_1)
	v_cmp_gt_u64_e64 s3, s[20:21], v[3:4]
	v_lshlrev_b64_e32 v[3:4], 3, v[3:4]
	s_and_saveexec_b32 s4, s3
	s_cbranch_execz .LBB51_8
; %bb.7:                                ;   in Loop: Header=BB51_4 Depth=1
	s_delay_alu instid0(VALU_DEP_1) | instskip(SKIP_1) | instid1(VALU_DEP_2)
	v_add_co_u32 v5, vcc_lo, s10, v3
	s_wait_alu 0xfffd
	v_add_co_ci_u32_e64 v6, null, s11, v4, vcc_lo
	global_load_b64 v[17:18], v[5:6], off
.LBB51_8:                               ;   in Loop: Header=BB51_4 Depth=1
	s_or_b32 exec_lo, exec_lo, s4
	v_add_co_u32 v5, vcc_lo, v7, s25
	s_wait_alu 0xfffd
	v_add_co_ci_u32_e64 v6, null, 0, v8, vcc_lo
	v_mov_b32_e32 v9, 0
	v_dual_mov_b32 v10, 0 :: v_dual_mov_b32 v13, 0
	s_delay_alu instid0(VALU_DEP_3)
	v_cmp_gt_u64_e64 s4, s[20:21], v[5:6]
	v_lshlrev_b64_e32 v[5:6], 3, v[5:6]
	v_mov_b32_e32 v14, 0
	s_and_saveexec_b32 s5, s4
	s_cbranch_execz .LBB51_10
; %bb.9:                                ;   in Loop: Header=BB51_4 Depth=1
	s_delay_alu instid0(VALU_DEP_2)
	v_add_co_u32 v11, vcc_lo, s10, v5
	s_wait_alu 0xfffd
	v_add_co_ci_u32_e64 v12, null, s11, v6, vcc_lo
	global_load_b64 v[13:14], v[11:12], off
.LBB51_10:                              ;   in Loop: Header=BB51_4 Depth=1
	s_or_b32 exec_lo, exec_lo, s5
	v_add_co_u32 v7, vcc_lo, v7, s28
	s_wait_alu 0xfffd
	v_add_co_ci_u32_e64 v8, null, 0, v8, vcc_lo
	s_delay_alu instid0(VALU_DEP_1)
	v_cmp_gt_u64_e64 s5, s[20:21], v[7:8]
	v_lshlrev_b64_e32 v[7:8], 3, v[7:8]
	s_and_saveexec_b32 s6, s5
	s_cbranch_execz .LBB51_12
; %bb.11:                               ;   in Loop: Header=BB51_4 Depth=1
	s_delay_alu instid0(VALU_DEP_1) | instskip(SKIP_1) | instid1(VALU_DEP_2)
	v_add_co_u32 v9, vcc_lo, s10, v7
	s_wait_alu 0xfffd
	v_add_co_ci_u32_e64 v10, null, s11, v8, vcc_lo
	global_load_b64 v[9:10], v[9:10], off
.LBB51_12:                              ;   in Loop: Header=BB51_4 Depth=1
	s_wait_alu 0xfffe
	s_or_b32 exec_lo, exec_lo, s6
	v_cmp_ne_u32_e64 s6, 1, v21
	s_and_b32 vcc_lo, exec_lo, s26
	s_mov_b32 s7, -1
                                        ; implicit-def: $vgpr11_vgpr12
	s_wait_alu 0xfffe
	s_cbranch_vccnz .LBB51_24
; %bb.13:                               ;   in Loop: Header=BB51_4 Depth=1
	s_and_not1_b32 vcc_lo, exec_lo, s7
	s_wait_alu 0xfffe
	s_cbranch_vccz .LBB51_28
.LBB51_14:                              ;   in Loop: Header=BB51_4 Depth=1
	s_and_not1_b32 vcc_lo, exec_lo, s26
	s_mov_b32 s6, -1
                                        ; implicit-def: $vgpr15_vgpr16
	s_wait_alu 0xfffe
	s_cbranch_vccz .LBB51_34
.LBB51_15:                              ;   in Loop: Header=BB51_4 Depth=1
	s_and_not1_b32 vcc_lo, exec_lo, s6
	s_wait_alu 0xfffe
	s_cbranch_vccz .LBB51_38
.LBB51_16:                              ;   in Loop: Header=BB51_4 Depth=1
	s_and_not1_b32 vcc_lo, exec_lo, s26
	s_mov_b32 s6, -1
                                        ; implicit-def: $vgpr17_vgpr18
	s_wait_alu 0xfffe
	s_cbranch_vccz .LBB51_44
.LBB51_17:                              ;   in Loop: Header=BB51_4 Depth=1
	s_and_not1_b32 vcc_lo, exec_lo, s6
	s_wait_alu 0xfffe
	s_cbranch_vccz .LBB51_48
.LBB51_18:                              ;   in Loop: Header=BB51_4 Depth=1
	s_and_not1_b32 vcc_lo, exec_lo, s26
	s_mov_b32 s6, -1
                                        ; implicit-def: $vgpr13_vgpr14
	s_wait_alu 0xfffe
	s_cbranch_vccz .LBB51_54
.LBB51_19:                              ;   in Loop: Header=BB51_4 Depth=1
	s_and_not1_b32 vcc_lo, exec_lo, s6
	s_wait_alu 0xfffe
	s_cbranch_vccz .LBB51_58
.LBB51_20:                              ;   in Loop: Header=BB51_4 Depth=1
	s_and_saveexec_b32 s6, s2
	s_wait_alu 0xfffe
	s_xor_b32 s2, exec_lo, s6
	s_cbranch_execnz .LBB51_64
.LBB51_21:                              ;   in Loop: Header=BB51_4 Depth=1
	s_wait_alu 0xfffe
	s_or_b32 exec_lo, exec_lo, s2
	s_and_saveexec_b32 s2, s3
	s_cbranch_execnz .LBB51_65
.LBB51_22:                              ;   in Loop: Header=BB51_4 Depth=1
	s_wait_alu 0xfffe
	s_or_b32 exec_lo, exec_lo, s2
	s_and_saveexec_b32 s2, s4
	s_cbranch_execnz .LBB51_66
.LBB51_23:                              ;   in Loop: Header=BB51_4 Depth=1
	s_wait_alu 0xfffe
	s_or_b32 exec_lo, exec_lo, s2
	s_and_saveexec_b32 s2, s5
	s_cbranch_execz .LBB51_3
	s_branch .LBB51_67
.LBB51_24:                              ;   in Loop: Header=BB51_4 Depth=1
	v_mov_b32_e32 v11, 1
	v_mov_b32_e32 v12, 0
	s_and_b32 vcc_lo, exec_lo, s6
	s_wait_alu 0xfffe
	s_cbranch_vccnz .LBB51_27
; %bb.25:                               ;   in Loop: Header=BB51_4 Depth=1
	s_wait_loadcnt 0x0
	v_dual_mov_b32 v20, v16 :: v_dual_mov_b32 v19, v15
	s_mov_b64 s[6:7], s[8:9]
.LBB51_26:                              ;   Parent Loop BB51_4 Depth=1
                                        ; =>  This Inner Loop Header: Depth=2
	s_wait_alu 0xfffe
	s_bitcmp1_b32 s6, 0
	s_delay_alu instid0(VALU_DEP_1)
	v_mul_lo_u32 v22, v19, v20
	s_cselect_b32 vcc_lo, -1, 0
	v_cmp_gt_u64_e64 s29, s[6:7], 1
	s_wait_alu 0xfffe
	v_dual_cndmask_b32 v23, 1, v19 :: v_dual_cndmask_b32 v24, 0, v20
	v_mad_co_u64_u32 v[19:20], null, v19, v19, 0
	s_lshr_b64 s[6:7], s[6:7], 1
	v_mul_lo_u32 v25, v23, v12
	v_mul_lo_u32 v24, v24, v11
	v_mad_co_u64_u32 v[11:12], null, v23, v11, 0
	s_and_b32 vcc_lo, exec_lo, s29
	v_add3_u32 v20, v20, v22, v22
	v_add3_u32 v12, v12, v25, v24
	s_wait_alu 0xfffe
	s_cbranch_vccnz .LBB51_26
.LBB51_27:                              ;   in Loop: Header=BB51_4 Depth=1
	s_cbranch_execnz .LBB51_14
.LBB51_28:                              ;   in Loop: Header=BB51_4 Depth=1
	s_mov_b32 s6, 0
	s_mov_b32 s7, 0
	s_mov_b32 s29, exec_lo
	s_wait_loadcnt 0x0
	v_cmpx_lt_i64_e32 0, v[15:16]
	s_wait_alu 0xfffe
	s_xor_b32 s29, exec_lo, s29
	s_cbranch_execnz .LBB51_68
; %bb.29:                               ;   in Loop: Header=BB51_4 Depth=1
	s_wait_alu 0xfffe
	s_and_not1_saveexec_b32 s29, s29
	s_cbranch_execnz .LBB51_69
.LBB51_30:                              ;   in Loop: Header=BB51_4 Depth=1
	s_wait_alu 0xfffe
	s_or_b32 exec_lo, exec_lo, s29
	s_and_saveexec_b32 s29, s7
	s_wait_alu 0xfffe
	s_xor_b32 s7, exec_lo, s29
	s_cbranch_execnz .LBB51_70
.LBB51_31:                              ;   in Loop: Header=BB51_4 Depth=1
	s_wait_alu 0xfffe
	s_or_b32 exec_lo, exec_lo, s7
	s_and_saveexec_b32 s7, s6
.LBB51_32:                              ;   in Loop: Header=BB51_4 Depth=1
	v_dual_mov_b32 v15, s22 :: v_dual_mov_b32 v16, s23
.LBB51_33:                              ;   in Loop: Header=BB51_4 Depth=1
	s_wait_alu 0xfffe
	s_or_b32 exec_lo, exec_lo, s7
	s_delay_alu instid0(VALU_DEP_1)
	v_dual_mov_b32 v11, v15 :: v_dual_mov_b32 v12, v16
	s_and_not1_b32 vcc_lo, exec_lo, s26
	s_mov_b32 s6, -1
                                        ; implicit-def: $vgpr15_vgpr16
	s_wait_alu 0xfffe
	s_cbranch_vccnz .LBB51_15
.LBB51_34:                              ;   in Loop: Header=BB51_4 Depth=1
	s_wait_loadcnt 0x0
	v_mov_b32_e32 v15, 1
	v_mov_b32_e32 v16, 0
	s_and_not1_b32 vcc_lo, exec_lo, s27
	s_wait_alu 0xfffe
	s_cbranch_vccnz .LBB51_37
; %bb.35:                               ;   in Loop: Header=BB51_4 Depth=1
	v_dual_mov_b32 v20, v18 :: v_dual_mov_b32 v19, v17
	s_mov_b64 s[6:7], s[8:9]
.LBB51_36:                              ;   Parent Loop BB51_4 Depth=1
                                        ; =>  This Inner Loop Header: Depth=2
	s_wait_alu 0xfffe
	s_bitcmp1_b32 s6, 0
	s_delay_alu instid0(VALU_DEP_1)
	v_mul_lo_u32 v22, v19, v20
	s_cselect_b32 vcc_lo, -1, 0
	v_cmp_lt_u64_e64 s29, s[6:7], 2
	s_wait_alu 0xfffe
	v_dual_cndmask_b32 v23, 1, v19 :: v_dual_cndmask_b32 v24, 0, v20
	v_mad_co_u64_u32 v[19:20], null, v19, v19, 0
	s_lshr_b64 s[6:7], s[6:7], 1
	v_mul_lo_u32 v25, v23, v16
	v_mul_lo_u32 v24, v24, v15
	v_mad_co_u64_u32 v[15:16], null, v23, v15, 0
	s_and_b32 vcc_lo, exec_lo, s29
	v_add3_u32 v20, v20, v22, v22
	v_add3_u32 v16, v16, v25, v24
	s_wait_alu 0xfffe
	s_cbranch_vccz .LBB51_36
.LBB51_37:                              ;   in Loop: Header=BB51_4 Depth=1
	s_cbranch_execnz .LBB51_16
.LBB51_38:                              ;   in Loop: Header=BB51_4 Depth=1
	s_mov_b32 s6, 0
	s_mov_b32 s7, 0
	s_mov_b32 s29, exec_lo
	s_wait_loadcnt 0x0
	v_cmpx_lt_i64_e32 0, v[17:18]
	s_wait_alu 0xfffe
	s_xor_b32 s29, exec_lo, s29
	s_cbranch_execnz .LBB51_71
; %bb.39:                               ;   in Loop: Header=BB51_4 Depth=1
	s_wait_alu 0xfffe
	s_and_not1_saveexec_b32 s29, s29
	s_cbranch_execnz .LBB51_72
.LBB51_40:                              ;   in Loop: Header=BB51_4 Depth=1
	s_wait_alu 0xfffe
	s_or_b32 exec_lo, exec_lo, s29
	s_and_saveexec_b32 s29, s7
	s_wait_alu 0xfffe
	s_xor_b32 s7, exec_lo, s29
	s_cbranch_execnz .LBB51_73
.LBB51_41:                              ;   in Loop: Header=BB51_4 Depth=1
	s_wait_alu 0xfffe
	s_or_b32 exec_lo, exec_lo, s7
	s_and_saveexec_b32 s7, s6
.LBB51_42:                              ;   in Loop: Header=BB51_4 Depth=1
	v_dual_mov_b32 v17, s22 :: v_dual_mov_b32 v18, s23
.LBB51_43:                              ;   in Loop: Header=BB51_4 Depth=1
	s_wait_alu 0xfffe
	s_or_b32 exec_lo, exec_lo, s7
	s_delay_alu instid0(VALU_DEP_1)
	v_dual_mov_b32 v15, v17 :: v_dual_mov_b32 v16, v18
	s_and_not1_b32 vcc_lo, exec_lo, s26
	s_mov_b32 s6, -1
                                        ; implicit-def: $vgpr17_vgpr18
	s_wait_alu 0xfffe
	s_cbranch_vccnz .LBB51_17
.LBB51_44:                              ;   in Loop: Header=BB51_4 Depth=1
	s_wait_loadcnt 0x0
	v_mov_b32_e32 v17, 1
	v_mov_b32_e32 v18, 0
	s_and_not1_b32 vcc_lo, exec_lo, s27
	s_wait_alu 0xfffe
	s_cbranch_vccnz .LBB51_47
; %bb.45:                               ;   in Loop: Header=BB51_4 Depth=1
	v_dual_mov_b32 v20, v14 :: v_dual_mov_b32 v19, v13
	s_mov_b64 s[6:7], s[8:9]
.LBB51_46:                              ;   Parent Loop BB51_4 Depth=1
                                        ; =>  This Inner Loop Header: Depth=2
	s_wait_alu 0xfffe
	s_bitcmp1_b32 s6, 0
	s_delay_alu instid0(VALU_DEP_1)
	v_mul_lo_u32 v22, v19, v20
	s_cselect_b32 vcc_lo, -1, 0
	v_cmp_lt_u64_e64 s29, s[6:7], 2
	s_wait_alu 0xfffe
	v_dual_cndmask_b32 v23, 1, v19 :: v_dual_cndmask_b32 v24, 0, v20
	v_mad_co_u64_u32 v[19:20], null, v19, v19, 0
	s_lshr_b64 s[6:7], s[6:7], 1
	v_mul_lo_u32 v25, v23, v18
	v_mul_lo_u32 v24, v24, v17
	v_mad_co_u64_u32 v[17:18], null, v23, v17, 0
	s_and_b32 vcc_lo, exec_lo, s29
	v_add3_u32 v20, v20, v22, v22
	v_add3_u32 v18, v18, v25, v24
	s_wait_alu 0xfffe
	s_cbranch_vccz .LBB51_46
.LBB51_47:                              ;   in Loop: Header=BB51_4 Depth=1
	s_cbranch_execnz .LBB51_18
.LBB51_48:                              ;   in Loop: Header=BB51_4 Depth=1
	s_mov_b32 s6, 0
	s_mov_b32 s7, 0
	s_mov_b32 s29, exec_lo
	s_wait_loadcnt 0x0
	v_cmpx_lt_i64_e32 0, v[13:14]
	s_wait_alu 0xfffe
	s_xor_b32 s29, exec_lo, s29
	s_cbranch_execnz .LBB51_74
; %bb.49:                               ;   in Loop: Header=BB51_4 Depth=1
	s_wait_alu 0xfffe
	s_and_not1_saveexec_b32 s29, s29
	s_cbranch_execnz .LBB51_75
.LBB51_50:                              ;   in Loop: Header=BB51_4 Depth=1
	s_wait_alu 0xfffe
	s_or_b32 exec_lo, exec_lo, s29
	s_and_saveexec_b32 s29, s7
	s_wait_alu 0xfffe
	s_xor_b32 s7, exec_lo, s29
	s_cbranch_execnz .LBB51_76
.LBB51_51:                              ;   in Loop: Header=BB51_4 Depth=1
	s_wait_alu 0xfffe
	s_or_b32 exec_lo, exec_lo, s7
	s_and_saveexec_b32 s7, s6
.LBB51_52:                              ;   in Loop: Header=BB51_4 Depth=1
	v_dual_mov_b32 v13, s22 :: v_dual_mov_b32 v14, s23
.LBB51_53:                              ;   in Loop: Header=BB51_4 Depth=1
	s_wait_alu 0xfffe
	s_or_b32 exec_lo, exec_lo, s7
	s_delay_alu instid0(VALU_DEP_1)
	v_dual_mov_b32 v18, v14 :: v_dual_mov_b32 v17, v13
	s_and_not1_b32 vcc_lo, exec_lo, s26
	s_mov_b32 s6, -1
                                        ; implicit-def: $vgpr13_vgpr14
	s_wait_alu 0xfffe
	s_cbranch_vccnz .LBB51_19
.LBB51_54:                              ;   in Loop: Header=BB51_4 Depth=1
	s_wait_loadcnt 0x0
	v_mov_b32_e32 v13, 1
	v_mov_b32_e32 v14, 0
	s_and_not1_b32 vcc_lo, exec_lo, s27
	s_wait_alu 0xfffe
	s_cbranch_vccnz .LBB51_57
; %bb.55:                               ;   in Loop: Header=BB51_4 Depth=1
	v_dual_mov_b32 v20, v10 :: v_dual_mov_b32 v19, v9
	s_mov_b64 s[6:7], s[8:9]
.LBB51_56:                              ;   Parent Loop BB51_4 Depth=1
                                        ; =>  This Inner Loop Header: Depth=2
	s_wait_alu 0xfffe
	s_bitcmp1_b32 s6, 0
	s_delay_alu instid0(VALU_DEP_1)
	v_mul_lo_u32 v22, v19, v20
	s_cselect_b32 vcc_lo, -1, 0
	v_cmp_lt_u64_e64 s29, s[6:7], 2
	s_wait_alu 0xfffe
	v_dual_cndmask_b32 v23, 1, v19 :: v_dual_cndmask_b32 v24, 0, v20
	v_mad_co_u64_u32 v[19:20], null, v19, v19, 0
	s_lshr_b64 s[6:7], s[6:7], 1
	v_mul_lo_u32 v25, v23, v14
	v_mul_lo_u32 v24, v24, v13
	v_mad_co_u64_u32 v[13:14], null, v23, v13, 0
	s_and_b32 vcc_lo, exec_lo, s29
	v_add3_u32 v20, v20, v22, v22
	v_add3_u32 v14, v14, v25, v24
	s_wait_alu 0xfffe
	s_cbranch_vccz .LBB51_56
.LBB51_57:                              ;   in Loop: Header=BB51_4 Depth=1
	s_cbranch_execnz .LBB51_20
.LBB51_58:                              ;   in Loop: Header=BB51_4 Depth=1
	s_mov_b32 s6, 0
	s_mov_b32 s7, 0
	s_mov_b32 s29, exec_lo
	s_wait_loadcnt 0x0
	v_cmpx_lt_i64_e32 0, v[9:10]
	s_wait_alu 0xfffe
	s_xor_b32 s29, exec_lo, s29
	s_cbranch_execnz .LBB51_77
; %bb.59:                               ;   in Loop: Header=BB51_4 Depth=1
	s_wait_alu 0xfffe
	s_and_not1_saveexec_b32 s29, s29
	s_cbranch_execnz .LBB51_78
.LBB51_60:                              ;   in Loop: Header=BB51_4 Depth=1
	s_wait_alu 0xfffe
	s_or_b32 exec_lo, exec_lo, s29
	s_and_saveexec_b32 s29, s7
	s_wait_alu 0xfffe
	s_xor_b32 s7, exec_lo, s29
	s_cbranch_execnz .LBB51_79
.LBB51_61:                              ;   in Loop: Header=BB51_4 Depth=1
	s_wait_alu 0xfffe
	s_or_b32 exec_lo, exec_lo, s7
	s_and_saveexec_b32 s7, s6
.LBB51_62:                              ;   in Loop: Header=BB51_4 Depth=1
	v_dual_mov_b32 v9, s22 :: v_dual_mov_b32 v10, s23
.LBB51_63:                              ;   in Loop: Header=BB51_4 Depth=1
	s_wait_alu 0xfffe
	s_or_b32 exec_lo, exec_lo, s7
	s_delay_alu instid0(VALU_DEP_1)
	v_dual_mov_b32 v14, v10 :: v_dual_mov_b32 v13, v9
	s_and_saveexec_b32 s6, s2
	s_wait_alu 0xfffe
	s_xor_b32 s2, exec_lo, s6
	s_cbranch_execz .LBB51_21
.LBB51_64:                              ;   in Loop: Header=BB51_4 Depth=1
	v_add_co_u32 v1, vcc_lo, s10, v1
	s_wait_alu 0xfffd
	v_add_co_ci_u32_e64 v2, null, s11, v2, vcc_lo
	global_store_b64 v[1:2], v[11:12], off
	s_wait_alu 0xfffe
	s_or_b32 exec_lo, exec_lo, s2
	s_and_saveexec_b32 s2, s3
	s_cbranch_execz .LBB51_22
.LBB51_65:                              ;   in Loop: Header=BB51_4 Depth=1
	v_add_co_u32 v1, vcc_lo, s10, v3
	s_wait_alu 0xfffd
	v_add_co_ci_u32_e64 v2, null, s11, v4, vcc_lo
	s_wait_loadcnt 0x0
	global_store_b64 v[1:2], v[15:16], off
	s_wait_alu 0xfffe
	s_or_b32 exec_lo, exec_lo, s2
	s_and_saveexec_b32 s2, s4
	s_cbranch_execz .LBB51_23
.LBB51_66:                              ;   in Loop: Header=BB51_4 Depth=1
	v_add_co_u32 v1, vcc_lo, s10, v5
	s_wait_alu 0xfffd
	v_add_co_ci_u32_e64 v2, null, s11, v6, vcc_lo
	s_wait_loadcnt 0x0
	global_store_b64 v[1:2], v[17:18], off
	s_wait_alu 0xfffe
	s_or_b32 exec_lo, exec_lo, s2
	s_and_saveexec_b32 s2, s5
	s_cbranch_execz .LBB51_3
.LBB51_67:                              ;   in Loop: Header=BB51_4 Depth=1
	v_add_co_u32 v1, vcc_lo, s10, v7
	s_wait_alu 0xfffd
	v_add_co_ci_u32_e64 v2, null, s11, v8, vcc_lo
	s_wait_loadcnt 0x0
	global_store_b64 v[1:2], v[13:14], off
	s_branch .LBB51_3
.LBB51_68:                              ;   in Loop: Header=BB51_4 Depth=1
	v_cmp_ne_u64_e32 vcc_lo, 1, v[15:16]
	s_and_b32 s7, vcc_lo, exec_lo
	s_wait_alu 0xfffe
	s_and_not1_saveexec_b32 s29, s29
	s_cbranch_execz .LBB51_30
.LBB51_69:                              ;   in Loop: Header=BB51_4 Depth=1
	v_cmp_ne_u64_e32 vcc_lo, -1, v[15:16]
	s_and_not1_b32 s7, s7, exec_lo
	s_mov_b32 s6, exec_lo
	s_and_b32 s30, vcc_lo, exec_lo
	s_wait_alu 0xfffe
	s_or_b32 s7, s7, s30
	s_or_b32 exec_lo, exec_lo, s29
	s_wait_alu 0xfffe
	s_and_saveexec_b32 s29, s7
	s_wait_alu 0xfffe
	s_xor_b32 s7, exec_lo, s29
	s_cbranch_execz .LBB51_31
.LBB51_70:                              ;   in Loop: Header=BB51_4 Depth=1
	v_mov_b32_e32 v15, 0
	v_mov_b32_e32 v16, 0
	s_and_not1_b32 s6, s6, exec_lo
	s_wait_alu 0xfffe
	s_or_b32 exec_lo, exec_lo, s7
	s_and_saveexec_b32 s7, s6
	s_cbranch_execnz .LBB51_32
	s_branch .LBB51_33
.LBB51_71:                              ;   in Loop: Header=BB51_4 Depth=1
	v_cmp_ne_u64_e32 vcc_lo, 1, v[17:18]
	s_and_b32 s7, vcc_lo, exec_lo
	s_wait_alu 0xfffe
	s_and_not1_saveexec_b32 s29, s29
	s_cbranch_execz .LBB51_40
.LBB51_72:                              ;   in Loop: Header=BB51_4 Depth=1
	v_cmp_ne_u64_e32 vcc_lo, -1, v[17:18]
	s_and_not1_b32 s7, s7, exec_lo
	s_mov_b32 s6, exec_lo
	s_and_b32 s30, vcc_lo, exec_lo
	s_wait_alu 0xfffe
	s_or_b32 s7, s7, s30
	s_or_b32 exec_lo, exec_lo, s29
	s_wait_alu 0xfffe
	s_and_saveexec_b32 s29, s7
	s_wait_alu 0xfffe
	s_xor_b32 s7, exec_lo, s29
	s_cbranch_execz .LBB51_41
.LBB51_73:                              ;   in Loop: Header=BB51_4 Depth=1
	v_mov_b32_e32 v17, 0
	v_mov_b32_e32 v18, 0
	s_and_not1_b32 s6, s6, exec_lo
	s_wait_alu 0xfffe
	s_or_b32 exec_lo, exec_lo, s7
	s_and_saveexec_b32 s7, s6
	s_cbranch_execnz .LBB51_42
	s_branch .LBB51_43
.LBB51_74:                              ;   in Loop: Header=BB51_4 Depth=1
	v_cmp_ne_u64_e32 vcc_lo, 1, v[13:14]
	s_and_b32 s7, vcc_lo, exec_lo
	s_wait_alu 0xfffe
	s_and_not1_saveexec_b32 s29, s29
	s_cbranch_execz .LBB51_50
.LBB51_75:                              ;   in Loop: Header=BB51_4 Depth=1
	v_cmp_ne_u64_e32 vcc_lo, -1, v[13:14]
	s_and_not1_b32 s7, s7, exec_lo
	s_mov_b32 s6, exec_lo
	s_and_b32 s30, vcc_lo, exec_lo
	s_wait_alu 0xfffe
	s_or_b32 s7, s7, s30
	s_or_b32 exec_lo, exec_lo, s29
	s_wait_alu 0xfffe
	s_and_saveexec_b32 s29, s7
	s_wait_alu 0xfffe
	s_xor_b32 s7, exec_lo, s29
	s_cbranch_execz .LBB51_51
.LBB51_76:                              ;   in Loop: Header=BB51_4 Depth=1
	v_mov_b32_e32 v13, 0
	v_mov_b32_e32 v14, 0
	s_and_not1_b32 s6, s6, exec_lo
	s_wait_alu 0xfffe
	s_or_b32 exec_lo, exec_lo, s7
	s_and_saveexec_b32 s7, s6
	s_cbranch_execnz .LBB51_52
	s_branch .LBB51_53
.LBB51_77:                              ;   in Loop: Header=BB51_4 Depth=1
	v_cmp_ne_u64_e32 vcc_lo, 1, v[9:10]
	s_and_b32 s7, vcc_lo, exec_lo
	s_wait_alu 0xfffe
	s_and_not1_saveexec_b32 s29, s29
	s_cbranch_execz .LBB51_60
.LBB51_78:                              ;   in Loop: Header=BB51_4 Depth=1
	v_cmp_ne_u64_e32 vcc_lo, -1, v[9:10]
	s_and_not1_b32 s7, s7, exec_lo
	s_mov_b32 s6, exec_lo
	s_and_b32 s30, vcc_lo, exec_lo
	s_wait_alu 0xfffe
	s_or_b32 s7, s7, s30
	s_or_b32 exec_lo, exec_lo, s29
	s_wait_alu 0xfffe
	s_and_saveexec_b32 s29, s7
	s_wait_alu 0xfffe
	s_xor_b32 s7, exec_lo, s29
	s_cbranch_execz .LBB51_61
.LBB51_79:                              ;   in Loop: Header=BB51_4 Depth=1
	v_mov_b32_e32 v9, 0
	v_mov_b32_e32 v10, 0
	s_and_not1_b32 s6, s6, exec_lo
	s_wait_alu 0xfffe
	s_or_b32 exec_lo, exec_lo, s7
	s_and_saveexec_b32 s7, s6
	s_cbranch_execnz .LBB51_62
	s_branch .LBB51_63
.LBB51_80:
	s_cbranch_execz .LBB51_82
	s_branch .LBB51_145
.LBB51_81:
.LBB51_82:
	v_cmp_gt_i64_e64 s2, 0x10000, s[12:13]
	v_dual_mov_b32 v2, 0 :: v_dual_lshlrev_b32 v1, 2, v0
	s_mov_b32 s5, 0
	s_mov_b32 s4, exec_lo
	s_and_b32 s2, s2, exec_lo
	s_cselect_b32 s3, s13, 0
	s_cselect_b32 s2, s12, 0x10000
	s_wait_alu 0xfffe
	v_cmpx_gt_i64_e64 s[2:3], v[1:2]
	s_cbranch_execz .LBB51_145
; %bb.83:
	s_load_b32 s0, s[0:1], 0xd44
	s_cmp_lg_u64 s[8:9], 0
	v_mov_b32_e32 v1, v2
	s_cselect_b32 s12, -1, 0
	s_and_b32 s4, s8, 1
	s_wait_loadcnt 0x0
	s_wait_alu 0xfffe
	v_cndmask_b32_e64 v16, 0, 1, s12
	s_cmp_eq_u64 s[4:5], 0
	v_cmp_gt_i64_e64 s4, s[8:9], -1
	s_cselect_b32 s7, 0, -1
	s_cselect_b32 s6, 1, -1
	s_wait_kmcnt 0x0
	s_and_b32 s13, s0, 0xffff
	s_branch .LBB51_86
.LBB51_84:                              ;   in Loop: Header=BB51_86 Depth=1
	s_wait_alu 0xfffe
	s_or_b32 exec_lo, exec_lo, s1
	s_delay_alu instid0(VALU_DEP_1)
	v_dual_mov_b32 v13, v5 :: v_dual_mov_b32 v12, v4
.LBB51_85:                              ;   in Loop: Header=BB51_86 Depth=1
	v_add_co_u32 v0, vcc_lo, v0, s13
	s_wait_alu 0xfffd
	v_add_co_ci_u32_e64 v1, null, 0, v1, vcc_lo
	s_wait_loadcnt 0x0
	s_clause 0x1
	global_store_b128 v[14:15], v[6:9], off
	global_store_b128 v[14:15], v[10:13], off offset:16
	v_lshlrev_b64_e32 v[2:3], 2, v[0:1]
	s_delay_alu instid0(VALU_DEP_1) | instskip(SKIP_1) | instid1(SALU_CYCLE_1)
	v_cmp_le_i64_e32 vcc_lo, s[2:3], v[2:3]
	s_or_b32 s5, vcc_lo, s5
	s_and_not1_b32 exec_lo, exec_lo, s5
	s_cbranch_execz .LBB51_145
.LBB51_86:                              ; =>This Loop Header: Depth=1
                                        ;     Child Loop BB51_96 Depth 2
                                        ;     Child Loop BB51_106 Depth 2
                                        ;     Child Loop BB51_116 Depth 2
                                        ;     Child Loop BB51_126 Depth 2
	v_lshlrev_b64_e32 v[2:3], 5, v[0:1]
	v_cmp_ne_u32_e64 s0, 1, v16
	s_mov_b32 s1, -1
                                        ; implicit-def: $vgpr6_vgpr7
	v_add_co_u32 v14, vcc_lo, s10, v2
	s_wait_alu 0xfffd
	v_add_co_ci_u32_e64 v15, null, s11, v3, vcc_lo
	s_and_b32 vcc_lo, exec_lo, s4
	s_clause 0x1
	global_load_b128 v[2:5], v[14:15], off offset:16
	global_load_b128 v[8:11], v[14:15], off
	s_wait_alu 0xfffe
	s_cbranch_vccnz .LBB51_94
; %bb.87:                               ;   in Loop: Header=BB51_86 Depth=1
	s_and_not1_b32 vcc_lo, exec_lo, s1
	s_wait_alu 0xfffe
	s_cbranch_vccz .LBB51_98
.LBB51_88:                              ;   in Loop: Header=BB51_86 Depth=1
	s_and_not1_b32 vcc_lo, exec_lo, s4
	s_mov_b32 s0, -1
	s_wait_alu 0xfffe
	s_cbranch_vccz .LBB51_104
.LBB51_89:                              ;   in Loop: Header=BB51_86 Depth=1
	s_and_not1_b32 vcc_lo, exec_lo, s0
	s_wait_alu 0xfffe
	s_cbranch_vccz .LBB51_108
.LBB51_90:                              ;   in Loop: Header=BB51_86 Depth=1
	s_and_not1_b32 vcc_lo, exec_lo, s4
	s_mov_b32 s0, -1
                                        ; implicit-def: $vgpr10_vgpr11
	s_wait_alu 0xfffe
	s_cbranch_vccz .LBB51_114
.LBB51_91:                              ;   in Loop: Header=BB51_86 Depth=1
	s_and_not1_b32 vcc_lo, exec_lo, s0
	s_wait_alu 0xfffe
	s_cbranch_vccz .LBB51_118
.LBB51_92:                              ;   in Loop: Header=BB51_86 Depth=1
	s_and_not1_b32 vcc_lo, exec_lo, s4
	s_mov_b32 s0, -1
	s_wait_alu 0xfffe
	s_cbranch_vccz .LBB51_124
.LBB51_93:                              ;   in Loop: Header=BB51_86 Depth=1
	s_and_not1_b32 vcc_lo, exec_lo, s0
	s_wait_alu 0xfffe
	s_cbranch_vccnz .LBB51_85
	s_branch .LBB51_128
.LBB51_94:                              ;   in Loop: Header=BB51_86 Depth=1
	v_mov_b32_e32 v6, 1
	v_mov_b32_e32 v7, 0
	s_and_b32 vcc_lo, exec_lo, s0
	s_wait_alu 0xfffe
	s_cbranch_vccnz .LBB51_97
; %bb.95:                               ;   in Loop: Header=BB51_86 Depth=1
	s_wait_loadcnt 0x0
	v_dual_mov_b32 v13, v9 :: v_dual_mov_b32 v12, v8
	s_mov_b64 s[0:1], s[8:9]
.LBB51_96:                              ;   Parent Loop BB51_86 Depth=1
                                        ; =>  This Inner Loop Header: Depth=2
	s_wait_alu 0xfffe
	s_bitcmp1_b32 s0, 0
	s_delay_alu instid0(VALU_DEP_1)
	v_mul_lo_u32 v17, v12, v13
	s_cselect_b32 vcc_lo, -1, 0
	v_cmp_gt_u64_e64 s14, s[0:1], 1
	s_wait_alu 0xfffe
	v_dual_cndmask_b32 v18, 1, v12 :: v_dual_cndmask_b32 v19, 0, v13
	v_mad_co_u64_u32 v[12:13], null, v12, v12, 0
	s_lshr_b64 s[0:1], s[0:1], 1
	v_mul_lo_u32 v20, v18, v7
	v_mul_lo_u32 v19, v19, v6
	v_mad_co_u64_u32 v[6:7], null, v18, v6, 0
	s_and_b32 vcc_lo, exec_lo, s14
	v_add3_u32 v13, v13, v17, v17
	v_add3_u32 v7, v7, v20, v19
	s_wait_alu 0xfffe
	s_cbranch_vccnz .LBB51_96
.LBB51_97:                              ;   in Loop: Header=BB51_86 Depth=1
	s_cbranch_execnz .LBB51_88
.LBB51_98:                              ;   in Loop: Header=BB51_86 Depth=1
	s_mov_b32 s0, 0
	s_mov_b32 s1, 0
	s_mov_b32 s14, exec_lo
	s_wait_loadcnt 0x0
	v_cmpx_lt_i64_e32 0, v[8:9]
	s_xor_b32 s14, exec_lo, s14
	s_cbranch_execnz .LBB51_132
; %bb.99:                               ;   in Loop: Header=BB51_86 Depth=1
	s_and_not1_saveexec_b32 s14, s14
	s_cbranch_execnz .LBB51_133
.LBB51_100:                             ;   in Loop: Header=BB51_86 Depth=1
	s_or_b32 exec_lo, exec_lo, s14
	s_wait_alu 0xfffe
	s_and_saveexec_b32 s14, s1
	s_delay_alu instid0(SALU_CYCLE_1)
	s_xor_b32 s1, exec_lo, s14
	s_cbranch_execnz .LBB51_134
.LBB51_101:                             ;   in Loop: Header=BB51_86 Depth=1
	s_wait_alu 0xfffe
	s_or_b32 exec_lo, exec_lo, s1
	s_and_saveexec_b32 s1, s0
.LBB51_102:                             ;   in Loop: Header=BB51_86 Depth=1
	v_dual_mov_b32 v9, s7 :: v_dual_mov_b32 v8, s6
.LBB51_103:                             ;   in Loop: Header=BB51_86 Depth=1
	s_wait_alu 0xfffe
	s_or_b32 exec_lo, exec_lo, s1
	s_delay_alu instid0(VALU_DEP_1)
	v_dual_mov_b32 v6, v8 :: v_dual_mov_b32 v7, v9
	s_and_not1_b32 vcc_lo, exec_lo, s4
	s_mov_b32 s0, -1
	s_wait_alu 0xfffe
	s_cbranch_vccnz .LBB51_89
.LBB51_104:                             ;   in Loop: Header=BB51_86 Depth=1
	s_wait_loadcnt 0x0
	v_mov_b32_e32 v8, 1
	v_mov_b32_e32 v9, 0
	s_and_not1_b32 vcc_lo, exec_lo, s12
	s_wait_alu 0xfffe
	s_cbranch_vccnz .LBB51_107
; %bb.105:                              ;   in Loop: Header=BB51_86 Depth=1
	v_dual_mov_b32 v13, v11 :: v_dual_mov_b32 v12, v10
	s_mov_b64 s[0:1], s[8:9]
.LBB51_106:                             ;   Parent Loop BB51_86 Depth=1
                                        ; =>  This Inner Loop Header: Depth=2
	s_wait_alu 0xfffe
	s_bitcmp1_b32 s0, 0
	s_delay_alu instid0(VALU_DEP_1)
	v_mul_lo_u32 v17, v12, v13
	s_cselect_b32 vcc_lo, -1, 0
	v_cmp_lt_u64_e64 s14, s[0:1], 2
	s_wait_alu 0xfffe
	v_dual_cndmask_b32 v18, 1, v12 :: v_dual_cndmask_b32 v19, 0, v13
	v_mad_co_u64_u32 v[12:13], null, v12, v12, 0
	s_lshr_b64 s[0:1], s[0:1], 1
	v_mul_lo_u32 v20, v18, v9
	v_mul_lo_u32 v19, v19, v8
	v_mad_co_u64_u32 v[8:9], null, v18, v8, 0
	s_and_b32 vcc_lo, exec_lo, s14
	v_add3_u32 v13, v13, v17, v17
	v_add3_u32 v9, v9, v20, v19
	s_wait_alu 0xfffe
	s_cbranch_vccz .LBB51_106
.LBB51_107:                             ;   in Loop: Header=BB51_86 Depth=1
	s_cbranch_execnz .LBB51_90
.LBB51_108:                             ;   in Loop: Header=BB51_86 Depth=1
	s_mov_b32 s0, 0
	s_mov_b32 s1, 0
	s_mov_b32 s14, exec_lo
	s_wait_loadcnt 0x0
	v_cmpx_lt_i64_e32 0, v[10:11]
	s_xor_b32 s14, exec_lo, s14
	s_cbranch_execnz .LBB51_135
; %bb.109:                              ;   in Loop: Header=BB51_86 Depth=1
	s_and_not1_saveexec_b32 s14, s14
	s_cbranch_execnz .LBB51_136
.LBB51_110:                             ;   in Loop: Header=BB51_86 Depth=1
	s_or_b32 exec_lo, exec_lo, s14
	s_wait_alu 0xfffe
	s_and_saveexec_b32 s14, s1
	s_delay_alu instid0(SALU_CYCLE_1)
	s_xor_b32 s1, exec_lo, s14
	s_cbranch_execnz .LBB51_137
.LBB51_111:                             ;   in Loop: Header=BB51_86 Depth=1
	s_wait_alu 0xfffe
	s_or_b32 exec_lo, exec_lo, s1
	s_and_saveexec_b32 s1, s0
.LBB51_112:                             ;   in Loop: Header=BB51_86 Depth=1
	v_dual_mov_b32 v11, s7 :: v_dual_mov_b32 v10, s6
.LBB51_113:                             ;   in Loop: Header=BB51_86 Depth=1
	s_wait_alu 0xfffe
	s_or_b32 exec_lo, exec_lo, s1
	s_delay_alu instid0(VALU_DEP_1)
	v_dual_mov_b32 v8, v10 :: v_dual_mov_b32 v9, v11
	s_and_not1_b32 vcc_lo, exec_lo, s4
	s_mov_b32 s0, -1
                                        ; implicit-def: $vgpr10_vgpr11
	s_wait_alu 0xfffe
	s_cbranch_vccnz .LBB51_91
.LBB51_114:                             ;   in Loop: Header=BB51_86 Depth=1
	s_wait_loadcnt 0x0
	v_mov_b32_e32 v10, 1
	v_mov_b32_e32 v11, 0
	s_and_not1_b32 vcc_lo, exec_lo, s12
	s_wait_alu 0xfffe
	s_cbranch_vccnz .LBB51_117
; %bb.115:                              ;   in Loop: Header=BB51_86 Depth=1
	v_dual_mov_b32 v13, v3 :: v_dual_mov_b32 v12, v2
	s_mov_b64 s[0:1], s[8:9]
.LBB51_116:                             ;   Parent Loop BB51_86 Depth=1
                                        ; =>  This Inner Loop Header: Depth=2
	s_wait_alu 0xfffe
	s_bitcmp1_b32 s0, 0
	s_delay_alu instid0(VALU_DEP_1)
	v_mul_lo_u32 v17, v12, v13
	s_cselect_b32 vcc_lo, -1, 0
	v_cmp_lt_u64_e64 s14, s[0:1], 2
	s_wait_alu 0xfffe
	v_dual_cndmask_b32 v18, 1, v12 :: v_dual_cndmask_b32 v19, 0, v13
	v_mad_co_u64_u32 v[12:13], null, v12, v12, 0
	s_lshr_b64 s[0:1], s[0:1], 1
	v_mul_lo_u32 v20, v18, v11
	v_mul_lo_u32 v19, v19, v10
	v_mad_co_u64_u32 v[10:11], null, v18, v10, 0
	s_and_b32 vcc_lo, exec_lo, s14
	v_add3_u32 v13, v13, v17, v17
	v_add3_u32 v11, v11, v20, v19
	s_wait_alu 0xfffe
	s_cbranch_vccz .LBB51_116
.LBB51_117:                             ;   in Loop: Header=BB51_86 Depth=1
	s_cbranch_execnz .LBB51_92
.LBB51_118:                             ;   in Loop: Header=BB51_86 Depth=1
	s_mov_b32 s0, 0
	s_mov_b32 s1, 0
	s_mov_b32 s14, exec_lo
	s_wait_loadcnt 0x1
	v_cmpx_lt_i64_e32 0, v[2:3]
	s_xor_b32 s14, exec_lo, s14
	s_cbranch_execnz .LBB51_138
; %bb.119:                              ;   in Loop: Header=BB51_86 Depth=1
	s_and_not1_saveexec_b32 s14, s14
	s_cbranch_execnz .LBB51_139
.LBB51_120:                             ;   in Loop: Header=BB51_86 Depth=1
	s_or_b32 exec_lo, exec_lo, s14
	s_wait_alu 0xfffe
	s_and_saveexec_b32 s14, s1
	s_delay_alu instid0(SALU_CYCLE_1)
	s_xor_b32 s1, exec_lo, s14
	s_cbranch_execnz .LBB51_140
.LBB51_121:                             ;   in Loop: Header=BB51_86 Depth=1
	s_wait_alu 0xfffe
	s_or_b32 exec_lo, exec_lo, s1
	s_and_saveexec_b32 s1, s0
.LBB51_122:                             ;   in Loop: Header=BB51_86 Depth=1
	v_dual_mov_b32 v2, s6 :: v_dual_mov_b32 v3, s7
.LBB51_123:                             ;   in Loop: Header=BB51_86 Depth=1
	s_wait_alu 0xfffe
	s_or_b32 exec_lo, exec_lo, s1
	s_wait_loadcnt 0x0
	s_delay_alu instid0(VALU_DEP_1)
	v_dual_mov_b32 v11, v3 :: v_dual_mov_b32 v10, v2
	s_and_not1_b32 vcc_lo, exec_lo, s4
	s_mov_b32 s0, -1
	s_wait_alu 0xfffe
	s_cbranch_vccnz .LBB51_93
.LBB51_124:                             ;   in Loop: Header=BB51_86 Depth=1
	v_mov_b32_e32 v12, 1
	v_mov_b32_e32 v13, 0
	s_and_not1_b32 vcc_lo, exec_lo, s12
	s_wait_alu 0xfffe
	s_cbranch_vccnz .LBB51_127
; %bb.125:                              ;   in Loop: Header=BB51_86 Depth=1
	s_wait_loadcnt 0x1
	v_dual_mov_b32 v2, v4 :: v_dual_mov_b32 v3, v5
	s_mov_b64 s[0:1], s[8:9]
.LBB51_126:                             ;   Parent Loop BB51_86 Depth=1
                                        ; =>  This Inner Loop Header: Depth=2
	s_wait_alu 0xfffe
	s_bitcmp1_b32 s0, 0
	s_delay_alu instid0(VALU_DEP_1)
	v_mul_lo_u32 v17, v2, v3
	s_cselect_b32 vcc_lo, -1, 0
	v_cmp_lt_u64_e64 s14, s[0:1], 2
	s_wait_alu 0xfffe
	v_dual_cndmask_b32 v18, 1, v2 :: v_dual_cndmask_b32 v19, 0, v3
	v_mad_co_u64_u32 v[2:3], null, v2, v2, 0
	s_lshr_b64 s[0:1], s[0:1], 1
	v_mul_lo_u32 v20, v18, v13
	v_mul_lo_u32 v19, v19, v12
	v_mad_co_u64_u32 v[12:13], null, v18, v12, 0
	s_and_b32 vcc_lo, exec_lo, s14
	v_add3_u32 v3, v3, v17, v17
	v_add3_u32 v13, v13, v20, v19
	s_wait_alu 0xfffe
	s_cbranch_vccz .LBB51_126
.LBB51_127:                             ;   in Loop: Header=BB51_86 Depth=1
	s_cbranch_execnz .LBB51_85
.LBB51_128:                             ;   in Loop: Header=BB51_86 Depth=1
	s_mov_b32 s0, 0
	s_mov_b32 s1, 0
	s_mov_b32 s14, exec_lo
	s_wait_loadcnt 0x1
	v_cmpx_lt_i64_e32 0, v[4:5]
	s_xor_b32 s14, exec_lo, s14
	s_cbranch_execnz .LBB51_141
; %bb.129:                              ;   in Loop: Header=BB51_86 Depth=1
	s_and_not1_saveexec_b32 s14, s14
	s_cbranch_execnz .LBB51_142
.LBB51_130:                             ;   in Loop: Header=BB51_86 Depth=1
	s_or_b32 exec_lo, exec_lo, s14
	s_wait_alu 0xfffe
	s_and_saveexec_b32 s14, s1
	s_delay_alu instid0(SALU_CYCLE_1)
	s_xor_b32 s1, exec_lo, s14
	s_cbranch_execnz .LBB51_143
.LBB51_131:                             ;   in Loop: Header=BB51_86 Depth=1
	s_wait_alu 0xfffe
	s_or_b32 exec_lo, exec_lo, s1
	s_and_saveexec_b32 s1, s0
	s_cbranch_execz .LBB51_84
	s_branch .LBB51_144
.LBB51_132:                             ;   in Loop: Header=BB51_86 Depth=1
	v_cmp_ne_u64_e32 vcc_lo, 1, v[8:9]
	s_and_b32 s1, vcc_lo, exec_lo
	s_and_not1_saveexec_b32 s14, s14
	s_cbranch_execz .LBB51_100
.LBB51_133:                             ;   in Loop: Header=BB51_86 Depth=1
	v_cmp_ne_u64_e32 vcc_lo, -1, v[8:9]
	s_wait_alu 0xfffe
	s_and_not1_b32 s1, s1, exec_lo
	s_mov_b32 s0, exec_lo
	s_and_b32 s15, vcc_lo, exec_lo
	s_wait_alu 0xfffe
	s_or_b32 s1, s1, s15
	s_or_b32 exec_lo, exec_lo, s14
	s_wait_alu 0xfffe
	s_and_saveexec_b32 s14, s1
	s_delay_alu instid0(SALU_CYCLE_1)
	s_xor_b32 s1, exec_lo, s14
	s_cbranch_execz .LBB51_101
.LBB51_134:                             ;   in Loop: Header=BB51_86 Depth=1
	v_mov_b32_e32 v8, 0
	v_mov_b32_e32 v9, 0
	s_and_not1_b32 s0, s0, exec_lo
	s_wait_alu 0xfffe
	s_or_b32 exec_lo, exec_lo, s1
	s_and_saveexec_b32 s1, s0
	s_cbranch_execnz .LBB51_102
	s_branch .LBB51_103
.LBB51_135:                             ;   in Loop: Header=BB51_86 Depth=1
	v_cmp_ne_u64_e32 vcc_lo, 1, v[10:11]
	s_and_b32 s1, vcc_lo, exec_lo
	s_and_not1_saveexec_b32 s14, s14
	s_cbranch_execz .LBB51_110
.LBB51_136:                             ;   in Loop: Header=BB51_86 Depth=1
	v_cmp_ne_u64_e32 vcc_lo, -1, v[10:11]
	s_wait_alu 0xfffe
	s_and_not1_b32 s1, s1, exec_lo
	s_mov_b32 s0, exec_lo
	s_and_b32 s15, vcc_lo, exec_lo
	s_wait_alu 0xfffe
	s_or_b32 s1, s1, s15
	s_or_b32 exec_lo, exec_lo, s14
	s_wait_alu 0xfffe
	s_and_saveexec_b32 s14, s1
	s_delay_alu instid0(SALU_CYCLE_1)
	s_xor_b32 s1, exec_lo, s14
	s_cbranch_execz .LBB51_111
.LBB51_137:                             ;   in Loop: Header=BB51_86 Depth=1
	v_mov_b32_e32 v10, 0
	v_mov_b32_e32 v11, 0
	s_and_not1_b32 s0, s0, exec_lo
	s_wait_alu 0xfffe
	s_or_b32 exec_lo, exec_lo, s1
	s_and_saveexec_b32 s1, s0
	s_cbranch_execnz .LBB51_112
	s_branch .LBB51_113
.LBB51_138:                             ;   in Loop: Header=BB51_86 Depth=1
	v_cmp_ne_u64_e32 vcc_lo, 1, v[2:3]
	s_and_b32 s1, vcc_lo, exec_lo
	s_and_not1_saveexec_b32 s14, s14
	s_cbranch_execz .LBB51_120
.LBB51_139:                             ;   in Loop: Header=BB51_86 Depth=1
	v_cmp_ne_u64_e32 vcc_lo, -1, v[2:3]
	s_wait_alu 0xfffe
	s_and_not1_b32 s1, s1, exec_lo
	s_mov_b32 s0, exec_lo
	s_and_b32 s15, vcc_lo, exec_lo
	s_wait_alu 0xfffe
	s_or_b32 s1, s1, s15
	s_or_b32 exec_lo, exec_lo, s14
	s_wait_alu 0xfffe
	s_and_saveexec_b32 s14, s1
	s_delay_alu instid0(SALU_CYCLE_1)
	s_xor_b32 s1, exec_lo, s14
	s_cbranch_execz .LBB51_121
.LBB51_140:                             ;   in Loop: Header=BB51_86 Depth=1
	v_mov_b32_e32 v2, 0
	v_mov_b32_e32 v3, 0
	s_and_not1_b32 s0, s0, exec_lo
	s_wait_alu 0xfffe
	s_or_b32 exec_lo, exec_lo, s1
	s_and_saveexec_b32 s1, s0
	s_cbranch_execnz .LBB51_122
	s_branch .LBB51_123
.LBB51_141:                             ;   in Loop: Header=BB51_86 Depth=1
	v_cmp_ne_u64_e32 vcc_lo, 1, v[4:5]
	s_and_b32 s1, vcc_lo, exec_lo
	s_and_not1_saveexec_b32 s14, s14
	s_cbranch_execz .LBB51_130
.LBB51_142:                             ;   in Loop: Header=BB51_86 Depth=1
	v_cmp_ne_u64_e32 vcc_lo, -1, v[4:5]
	s_wait_alu 0xfffe
	s_and_not1_b32 s1, s1, exec_lo
	s_mov_b32 s0, exec_lo
	s_and_b32 s15, vcc_lo, exec_lo
	s_wait_alu 0xfffe
	s_or_b32 s1, s1, s15
	s_or_b32 exec_lo, exec_lo, s14
	s_wait_alu 0xfffe
	s_and_saveexec_b32 s14, s1
	s_delay_alu instid0(SALU_CYCLE_1)
	s_xor_b32 s1, exec_lo, s14
	s_cbranch_execz .LBB51_131
.LBB51_143:                             ;   in Loop: Header=BB51_86 Depth=1
	v_mov_b32_e32 v4, 0
	v_mov_b32_e32 v5, 0
	s_and_not1_b32 s0, s0, exec_lo
	s_wait_alu 0xfffe
	s_or_b32 exec_lo, exec_lo, s1
	s_and_saveexec_b32 s1, s0
	s_cbranch_execz .LBB51_84
.LBB51_144:                             ;   in Loop: Header=BB51_86 Depth=1
	v_dual_mov_b32 v4, s6 :: v_dual_mov_b32 v5, s7
	s_branch .LBB51_84
.LBB51_145:
	s_endpgm
	.section	.rodata,"a",@progbits
	.p2align	6, 0x0
	.amdhsa_kernel _ZN2at6native12_GLOBAL__N_125multi_tensor_apply_kernelINS1_18TensorListMetadataILi1EEENS1_21BinaryOpScalarFunctorIlLi1ELi1ELi0EEEJNS1_13power_functorIlEElEEEvT_T0_DpT1_
		.amdhsa_group_segment_fixed_size 0
		.amdhsa_private_segment_fixed_size 0
		.amdhsa_kernarg_size 3640
		.amdhsa_user_sgpr_count 2
		.amdhsa_user_sgpr_dispatch_ptr 0
		.amdhsa_user_sgpr_queue_ptr 0
		.amdhsa_user_sgpr_kernarg_segment_ptr 1
		.amdhsa_user_sgpr_dispatch_id 0
		.amdhsa_user_sgpr_private_segment_size 0
		.amdhsa_wavefront_size32 1
		.amdhsa_uses_dynamic_stack 0
		.amdhsa_enable_private_segment 0
		.amdhsa_system_sgpr_workgroup_id_x 1
		.amdhsa_system_sgpr_workgroup_id_y 0
		.amdhsa_system_sgpr_workgroup_id_z 0
		.amdhsa_system_sgpr_workgroup_info 0
		.amdhsa_system_vgpr_workitem_id 0
		.amdhsa_next_free_vgpr 26
		.amdhsa_next_free_sgpr 31
		.amdhsa_reserve_vcc 1
		.amdhsa_float_round_mode_32 0
		.amdhsa_float_round_mode_16_64 0
		.amdhsa_float_denorm_mode_32 3
		.amdhsa_float_denorm_mode_16_64 3
		.amdhsa_fp16_overflow 0
		.amdhsa_workgroup_processor_mode 1
		.amdhsa_memory_ordered 1
		.amdhsa_forward_progress 1
		.amdhsa_inst_pref_size 35
		.amdhsa_round_robin_scheduling 0
		.amdhsa_exception_fp_ieee_invalid_op 0
		.amdhsa_exception_fp_denorm_src 0
		.amdhsa_exception_fp_ieee_div_zero 0
		.amdhsa_exception_fp_ieee_overflow 0
		.amdhsa_exception_fp_ieee_underflow 0
		.amdhsa_exception_fp_ieee_inexact 0
		.amdhsa_exception_int_div_zero 0
	.end_amdhsa_kernel
	.section	.text._ZN2at6native12_GLOBAL__N_125multi_tensor_apply_kernelINS1_18TensorListMetadataILi1EEENS1_21BinaryOpScalarFunctorIlLi1ELi1ELi0EEEJNS1_13power_functorIlEElEEEvT_T0_DpT1_,"axG",@progbits,_ZN2at6native12_GLOBAL__N_125multi_tensor_apply_kernelINS1_18TensorListMetadataILi1EEENS1_21BinaryOpScalarFunctorIlLi1ELi1ELi0EEEJNS1_13power_functorIlEElEEEvT_T0_DpT1_,comdat
.Lfunc_end51:
	.size	_ZN2at6native12_GLOBAL__N_125multi_tensor_apply_kernelINS1_18TensorListMetadataILi1EEENS1_21BinaryOpScalarFunctorIlLi1ELi1ELi0EEEJNS1_13power_functorIlEElEEEvT_T0_DpT1_, .Lfunc_end51-_ZN2at6native12_GLOBAL__N_125multi_tensor_apply_kernelINS1_18TensorListMetadataILi1EEENS1_21BinaryOpScalarFunctorIlLi1ELi1ELi0EEEJNS1_13power_functorIlEElEEEvT_T0_DpT1_
                                        ; -- End function
	.set _ZN2at6native12_GLOBAL__N_125multi_tensor_apply_kernelINS1_18TensorListMetadataILi1EEENS1_21BinaryOpScalarFunctorIlLi1ELi1ELi0EEEJNS1_13power_functorIlEElEEEvT_T0_DpT1_.num_vgpr, 26
	.set _ZN2at6native12_GLOBAL__N_125multi_tensor_apply_kernelINS1_18TensorListMetadataILi1EEENS1_21BinaryOpScalarFunctorIlLi1ELi1ELi0EEEJNS1_13power_functorIlEElEEEvT_T0_DpT1_.num_agpr, 0
	.set _ZN2at6native12_GLOBAL__N_125multi_tensor_apply_kernelINS1_18TensorListMetadataILi1EEENS1_21BinaryOpScalarFunctorIlLi1ELi1ELi0EEEJNS1_13power_functorIlEElEEEvT_T0_DpT1_.numbered_sgpr, 31
	.set _ZN2at6native12_GLOBAL__N_125multi_tensor_apply_kernelINS1_18TensorListMetadataILi1EEENS1_21BinaryOpScalarFunctorIlLi1ELi1ELi0EEEJNS1_13power_functorIlEElEEEvT_T0_DpT1_.num_named_barrier, 0
	.set _ZN2at6native12_GLOBAL__N_125multi_tensor_apply_kernelINS1_18TensorListMetadataILi1EEENS1_21BinaryOpScalarFunctorIlLi1ELi1ELi0EEEJNS1_13power_functorIlEElEEEvT_T0_DpT1_.private_seg_size, 0
	.set _ZN2at6native12_GLOBAL__N_125multi_tensor_apply_kernelINS1_18TensorListMetadataILi1EEENS1_21BinaryOpScalarFunctorIlLi1ELi1ELi0EEEJNS1_13power_functorIlEElEEEvT_T0_DpT1_.uses_vcc, 1
	.set _ZN2at6native12_GLOBAL__N_125multi_tensor_apply_kernelINS1_18TensorListMetadataILi1EEENS1_21BinaryOpScalarFunctorIlLi1ELi1ELi0EEEJNS1_13power_functorIlEElEEEvT_T0_DpT1_.uses_flat_scratch, 0
	.set _ZN2at6native12_GLOBAL__N_125multi_tensor_apply_kernelINS1_18TensorListMetadataILi1EEENS1_21BinaryOpScalarFunctorIlLi1ELi1ELi0EEEJNS1_13power_functorIlEElEEEvT_T0_DpT1_.has_dyn_sized_stack, 0
	.set _ZN2at6native12_GLOBAL__N_125multi_tensor_apply_kernelINS1_18TensorListMetadataILi1EEENS1_21BinaryOpScalarFunctorIlLi1ELi1ELi0EEEJNS1_13power_functorIlEElEEEvT_T0_DpT1_.has_recursion, 0
	.set _ZN2at6native12_GLOBAL__N_125multi_tensor_apply_kernelINS1_18TensorListMetadataILi1EEENS1_21BinaryOpScalarFunctorIlLi1ELi1ELi0EEEJNS1_13power_functorIlEElEEEvT_T0_DpT1_.has_indirect_call, 0
	.section	.AMDGPU.csdata,"",@progbits
; Kernel info:
; codeLenInByte = 4424
; TotalNumSgprs: 33
; NumVgprs: 26
; ScratchSize: 0
; MemoryBound: 1
; FloatMode: 240
; IeeeMode: 1
; LDSByteSize: 0 bytes/workgroup (compile time only)
; SGPRBlocks: 0
; VGPRBlocks: 3
; NumSGPRsForWavesPerEU: 33
; NumVGPRsForWavesPerEU: 26
; Occupancy: 16
; WaveLimiterHint : 0
; COMPUTE_PGM_RSRC2:SCRATCH_EN: 0
; COMPUTE_PGM_RSRC2:USER_SGPR: 2
; COMPUTE_PGM_RSRC2:TRAP_HANDLER: 0
; COMPUTE_PGM_RSRC2:TGID_X_EN: 1
; COMPUTE_PGM_RSRC2:TGID_Y_EN: 0
; COMPUTE_PGM_RSRC2:TGID_Z_EN: 0
; COMPUTE_PGM_RSRC2:TIDIG_COMP_CNT: 0
	.section	.text._ZN2at6native12_GLOBAL__N_125multi_tensor_apply_kernelINS1_18TensorListMetadataILi1EEENS1_21BinaryOpScalarFunctorIsLi1ELi1ELi0EEEJNS1_13power_functorIsEEsEEEvT_T0_DpT1_,"axG",@progbits,_ZN2at6native12_GLOBAL__N_125multi_tensor_apply_kernelINS1_18TensorListMetadataILi1EEENS1_21BinaryOpScalarFunctorIsLi1ELi1ELi0EEEJNS1_13power_functorIsEEsEEEvT_T0_DpT1_,comdat
	.globl	_ZN2at6native12_GLOBAL__N_125multi_tensor_apply_kernelINS1_18TensorListMetadataILi1EEENS1_21BinaryOpScalarFunctorIsLi1ELi1ELi0EEEJNS1_13power_functorIsEEsEEEvT_T0_DpT1_ ; -- Begin function _ZN2at6native12_GLOBAL__N_125multi_tensor_apply_kernelINS1_18TensorListMetadataILi1EEENS1_21BinaryOpScalarFunctorIsLi1ELi1ELi0EEEJNS1_13power_functorIsEEsEEEvT_T0_DpT1_
	.p2align	8
	.type	_ZN2at6native12_GLOBAL__N_125multi_tensor_apply_kernelINS1_18TensorListMetadataILi1EEENS1_21BinaryOpScalarFunctorIsLi1ELi1ELi0EEEJNS1_13power_functorIsEEsEEEvT_T0_DpT1_,@function
_ZN2at6native12_GLOBAL__N_125multi_tensor_apply_kernelINS1_18TensorListMetadataILi1EEENS1_21BinaryOpScalarFunctorIsLi1ELi1ELi0EEEJNS1_13power_functorIsEEsEEEvT_T0_DpT1_: ; @_ZN2at6native12_GLOBAL__N_125multi_tensor_apply_kernelINS1_18TensorListMetadataILi1EEENS1_21BinaryOpScalarFunctorIsLi1ELi1ELi0EEEJNS1_13power_functorIsEEsEEEvT_T0_DpT1_
; %bb.0:
	s_load_u8 s8, s[0:1], ttmp9 offset:0x6e0
	s_mov_b32 s2, ttmp9
	s_mov_b32 s3, 0
	s_delay_alu instid0(SALU_CYCLE_1)
	s_mul_u64 s[4:5], s[2:3], 3
	s_add_nc_u64 s[6:7], s[0:1], s[2:3]
	s_mov_b32 s13, s3
	s_add_nc_u64 s[4:5], s[6:7], s[4:5]
	s_load_b32 s4, s[4:5], 0x820
	s_wait_kmcnt 0x0
	s_lshl_b32 s2, s8, 3
	s_clause 0x2
	s_load_b64 s[6:7], s[0:1], s2 offset:0x0
	s_load_b64 s[10:11], s[0:1], s2 offset:0x370
	s_load_b32 s14, s[0:1], 0xd28
	s_ashr_i32 s5, s4, 31
	s_delay_alu instid0(SALU_CYCLE_1)
	s_lshl_b64 s[8:9], s[4:5], 17
	s_lshl_b64 s[4:5], s[4:5], 16
	s_wait_kmcnt 0x0
	s_add_nc_u64 s[8:9], s[6:7], s[8:9]
	s_and_b32 s12, s10, 3
	s_and_b32 s2, s8, 7
	s_lshr_b32 s7, s14, 16
	s_or_b64 s[2:3], s[2:3], s[12:13]
	s_sub_nc_u64 s[10:11], s[10:11], s[4:5]
	s_cmp_eq_u64 s[2:3], 0
	s_cbranch_scc1 .LBB52_81
; %bb.1:
	v_cmp_lt_i64_e64 s2, s[10:11], 1
	s_and_b32 vcc_lo, exec_lo, s2
	s_cbranch_vccnz .LBB52_80
; %bb.2:
	s_load_b32 s2, s[0:1], 0xd3c
	v_cmp_gt_i64_e64 s3, 0x10000, s[10:11]
	v_cmp_gt_u64_e64 s4, 0x10000, s[10:11]
	s_sext_i32_i16 s5, s7
	s_mov_b32 s17, 0
	s_mov_b64 s[18:19], 0
	s_and_b32 s3, s3, exec_lo
	s_cselect_b32 s13, s11, 0
	s_cselect_b32 s12, s10, 0x10000
	s_wait_kmcnt 0x0
	s_and_b32 s20, s2, 0xffff
	s_and_b32 s2, s4, exec_lo
	s_cselect_b32 s15, s11, 0
	s_cselect_b32 s14, s10, 0x10000
	s_lshl_b32 s21, s20, 1
	s_cmp_gt_i32 s5, -1
	s_mul_i32 s23, s20, 3
	s_cselect_b32 s22, -1, 0
	s_and_b32 s2, 0xffff, s7
	s_delay_alu instid0(SALU_CYCLE_1)
	s_cmp_lg_u32 s2, 0
	s_cselect_b32 s24, -1, 0
	s_bitcmp0_b32 s7, 0
	v_cndmask_b32_e64 v9, 0, 1, s24
	s_cselect_b32 s25, 1, 0xffff
	s_lshl_b32 s16, s20, 2
	s_branch .LBB52_4
.LBB52_3:                               ;   in Loop: Header=BB52_4 Depth=1
	s_wait_alu 0xfffe
	s_or_b32 exec_lo, exec_lo, s2
	s_add_nc_u64 s[18:19], s[18:19], s[16:17]
	s_wait_alu 0xfffe
	v_cmp_ge_i64_e64 s2, s[18:19], s[12:13]
	s_and_b32 vcc_lo, exec_lo, s2
	s_wait_alu 0xfffe
	s_cbranch_vccnz .LBB52_80
.LBB52_4:                               ; =>This Loop Header: Depth=1
                                        ;     Child Loop BB52_15 Depth 2
                                        ;     Child Loop BB52_20 Depth 2
	;; [unrolled: 1-line block ×4, first 2 shown]
	v_add_co_u32 v7, s2, s18, v0
	s_wait_alu 0xf1ff
	v_add_co_ci_u32_e64 v8, null, s19, 0, s2
	s_wait_loadcnt 0x0
	v_mov_b32_e32 v13, 0
	s_delay_alu instid0(VALU_DEP_2)
	v_cmp_gt_u64_e64 s2, s[14:15], v[7:8]
	v_lshlrev_b64_e32 v[1:2], 1, v[7:8]
	s_and_saveexec_b32 s3, s2
	s_cbranch_execz .LBB52_6
; %bb.5:                                ;   in Loop: Header=BB52_4 Depth=1
	s_delay_alu instid0(VALU_DEP_1) | instskip(SKIP_1) | instid1(VALU_DEP_2)
	v_add_co_u32 v3, vcc_lo, s8, v1
	s_wait_alu 0xfffd
	v_add_co_ci_u32_e64 v4, null, s9, v2, vcc_lo
	global_load_u16 v13, v[3:4], off
.LBB52_6:                               ;   in Loop: Header=BB52_4 Depth=1
	s_wait_alu 0xfffe
	s_or_b32 exec_lo, exec_lo, s3
	v_add_co_u32 v3, vcc_lo, v7, s20
	s_wait_alu 0xfffd
	v_add_co_ci_u32_e64 v4, null, 0, v8, vcc_lo
	v_mov_b32_e32 v12, 0
	v_mov_b32_e32 v14, 0
	s_delay_alu instid0(VALU_DEP_3)
	v_cmp_gt_u64_e64 s3, s[14:15], v[3:4]
	v_lshlrev_b64_e32 v[3:4], 1, v[3:4]
	s_and_saveexec_b32 s4, s3
	s_cbranch_execz .LBB52_8
; %bb.7:                                ;   in Loop: Header=BB52_4 Depth=1
	s_delay_alu instid0(VALU_DEP_1) | instskip(SKIP_1) | instid1(VALU_DEP_2)
	v_add_co_u32 v5, vcc_lo, s8, v3
	s_wait_alu 0xfffd
	v_add_co_ci_u32_e64 v6, null, s9, v4, vcc_lo
	global_load_u16 v14, v[5:6], off
.LBB52_8:                               ;   in Loop: Header=BB52_4 Depth=1
	s_or_b32 exec_lo, exec_lo, s4
	v_add_co_u32 v5, vcc_lo, v7, s21
	s_wait_alu 0xfffd
	v_add_co_ci_u32_e64 v6, null, 0, v8, vcc_lo
	s_delay_alu instid0(VALU_DEP_1)
	v_cmp_gt_u64_e64 s4, s[14:15], v[5:6]
	v_lshlrev_b64_e32 v[5:6], 1, v[5:6]
	s_and_saveexec_b32 s5, s4
	s_cbranch_execz .LBB52_10
; %bb.9:                                ;   in Loop: Header=BB52_4 Depth=1
	s_delay_alu instid0(VALU_DEP_1) | instskip(SKIP_1) | instid1(VALU_DEP_2)
	v_add_co_u32 v10, vcc_lo, s8, v5
	s_wait_alu 0xfffd
	v_add_co_ci_u32_e64 v11, null, s9, v6, vcc_lo
	global_load_u16 v12, v[10:11], off
.LBB52_10:                              ;   in Loop: Header=BB52_4 Depth=1
	s_or_b32 exec_lo, exec_lo, s5
	v_add_co_u32 v7, vcc_lo, v7, s23
	s_wait_alu 0xfffd
	v_add_co_ci_u32_e64 v8, null, 0, v8, vcc_lo
	v_mov_b32_e32 v10, 0
	s_delay_alu instid0(VALU_DEP_2)
	v_cmp_gt_u64_e64 s5, s[14:15], v[7:8]
	v_lshlrev_b64_e32 v[7:8], 1, v[7:8]
	s_and_saveexec_b32 s6, s5
	s_cbranch_execz .LBB52_12
; %bb.11:                               ;   in Loop: Header=BB52_4 Depth=1
	s_delay_alu instid0(VALU_DEP_1) | instskip(SKIP_1) | instid1(VALU_DEP_2)
	v_add_co_u32 v10, vcc_lo, s8, v7
	s_wait_alu 0xfffd
	v_add_co_ci_u32_e64 v11, null, s9, v8, vcc_lo
	global_load_u16 v10, v[10:11], off
.LBB52_12:                              ;   in Loop: Header=BB52_4 Depth=1
	s_or_b32 exec_lo, exec_lo, s6
	v_cmp_ne_u32_e64 s6, 1, v9
	s_and_b32 vcc_lo, exec_lo, s22
	s_mov_b32 s26, -1
                                        ; implicit-def: $vgpr11
	s_wait_alu 0xfffe
	s_cbranch_vccz .LBB52_36
; %bb.13:                               ;   in Loop: Header=BB52_4 Depth=1
	v_mov_b32_e32 v11, 1
	s_and_b32 vcc_lo, exec_lo, s6
	s_wait_alu 0xfffe
	s_cbranch_vccnz .LBB52_16
; %bb.14:                               ;   in Loop: Header=BB52_4 Depth=1
	s_wait_loadcnt 0x0
	v_mov_b32_e32 v15, v13
	s_mov_b32 s6, s7
.LBB52_15:                              ;   Parent Loop BB52_4 Depth=1
                                        ; =>  This Inner Loop Header: Depth=2
	s_delay_alu instid0(SALU_CYCLE_1)
	s_bitcmp1_b32 s6, 0
	s_sext_i32_i16 s26, s6
	s_cselect_b32 vcc_lo, -1, 0
	s_and_b32 s6, 0xffff, s6
	s_wait_alu 0xfffe
	v_cndmask_b32_e32 v16, 1, v15, vcc_lo
	v_mul_lo_u16 v15, v15, v15
	s_lshr_b32 s6, s6, 1
	s_cmp_gt_i32 s26, 1
	s_delay_alu instid0(VALU_DEP_2)
	v_mul_lo_u16 v11, v16, v11
	s_cbranch_scc1 .LBB52_15
.LBB52_16:                              ;   in Loop: Header=BB52_4 Depth=1
	s_cbranch_execz .LBB52_37
.LBB52_17:                              ;   in Loop: Header=BB52_4 Depth=1
	s_and_not1_b32 vcc_lo, exec_lo, s22
	s_mov_b32 s6, -1
                                        ; implicit-def: $vgpr13
	s_wait_alu 0xfffe
	s_cbranch_vccnz .LBB52_46
.LBB52_18:                              ;   in Loop: Header=BB52_4 Depth=1
	s_wait_loadcnt 0x0
	v_mov_b32_e32 v13, 1
	s_and_not1_b32 vcc_lo, exec_lo, s24
	s_wait_alu 0xfffe
	s_cbranch_vccnz .LBB52_21
; %bb.19:                               ;   in Loop: Header=BB52_4 Depth=1
	v_mov_b32_e32 v15, v14
	s_mov_b32 s6, s7
.LBB52_20:                              ;   Parent Loop BB52_4 Depth=1
                                        ; =>  This Inner Loop Header: Depth=2
	s_delay_alu instid0(SALU_CYCLE_1)
	s_bitcmp1_b32 s6, 0
	s_sext_i32_i16 s26, s6
	s_cselect_b32 vcc_lo, -1, 0
	s_and_b32 s6, 0xffff, s6
	s_wait_alu 0xfffe
	v_cndmask_b32_e32 v16, 1, v15, vcc_lo
	v_mul_lo_u16 v15, v15, v15
	s_lshr_b32 s6, s6, 1
	s_cmp_lt_i32 s26, 2
	s_delay_alu instid0(VALU_DEP_2)
	v_mul_lo_u16 v13, v16, v13
	s_cbranch_scc0 .LBB52_20
.LBB52_21:                              ;   in Loop: Header=BB52_4 Depth=1
	s_cbranch_execz .LBB52_47
.LBB52_22:                              ;   in Loop: Header=BB52_4 Depth=1
	s_and_not1_b32 vcc_lo, exec_lo, s22
	s_mov_b32 s6, -1
                                        ; implicit-def: $vgpr14
	s_wait_alu 0xfffe
	s_cbranch_vccnz .LBB52_56
.LBB52_23:                              ;   in Loop: Header=BB52_4 Depth=1
	s_wait_loadcnt 0x0
	v_mov_b32_e32 v14, 1
	s_and_not1_b32 vcc_lo, exec_lo, s24
	s_wait_alu 0xfffe
	s_cbranch_vccnz .LBB52_26
; %bb.24:                               ;   in Loop: Header=BB52_4 Depth=1
	v_mov_b32_e32 v15, v12
	s_mov_b32 s6, s7
.LBB52_25:                              ;   Parent Loop BB52_4 Depth=1
                                        ; =>  This Inner Loop Header: Depth=2
	s_delay_alu instid0(SALU_CYCLE_1)
	s_bitcmp1_b32 s6, 0
	s_sext_i32_i16 s26, s6
	s_cselect_b32 vcc_lo, -1, 0
	s_and_b32 s6, 0xffff, s6
	s_wait_alu 0xfffe
	v_cndmask_b32_e32 v16, 1, v15, vcc_lo
	v_mul_lo_u16 v15, v15, v15
	s_lshr_b32 s6, s6, 1
	s_cmp_lt_i32 s26, 2
	s_delay_alu instid0(VALU_DEP_2)
	v_mul_lo_u16 v14, v16, v14
	s_cbranch_scc0 .LBB52_25
.LBB52_26:                              ;   in Loop: Header=BB52_4 Depth=1
	s_cbranch_execz .LBB52_57
.LBB52_27:                              ;   in Loop: Header=BB52_4 Depth=1
	s_and_not1_b32 vcc_lo, exec_lo, s22
	s_mov_b32 s6, -1
                                        ; implicit-def: $vgpr12
	s_wait_alu 0xfffe
	s_cbranch_vccnz .LBB52_66
.LBB52_28:                              ;   in Loop: Header=BB52_4 Depth=1
	s_wait_loadcnt 0x0
	v_mov_b32_e32 v12, 1
	s_and_not1_b32 vcc_lo, exec_lo, s24
	s_wait_alu 0xfffe
	s_cbranch_vccnz .LBB52_31
; %bb.29:                               ;   in Loop: Header=BB52_4 Depth=1
	v_mov_b32_e32 v15, v10
	s_mov_b32 s6, s7
.LBB52_30:                              ;   Parent Loop BB52_4 Depth=1
                                        ; =>  This Inner Loop Header: Depth=2
	s_delay_alu instid0(SALU_CYCLE_1)
	s_bitcmp1_b32 s6, 0
	s_sext_i32_i16 s26, s6
	s_cselect_b32 vcc_lo, -1, 0
	s_and_b32 s6, 0xffff, s6
	s_wait_alu 0xfffe
	v_cndmask_b32_e32 v16, 1, v15, vcc_lo
	v_mul_lo_u16 v15, v15, v15
	s_lshr_b32 s6, s6, 1
	s_cmp_lt_i32 s26, 2
	s_delay_alu instid0(VALU_DEP_2)
	v_mul_lo_u16 v12, v16, v12
	s_cbranch_scc0 .LBB52_30
.LBB52_31:                              ;   in Loop: Header=BB52_4 Depth=1
	s_cbranch_execz .LBB52_67
.LBB52_32:                              ;   in Loop: Header=BB52_4 Depth=1
	s_and_saveexec_b32 s6, s2
	s_delay_alu instid0(SALU_CYCLE_1)
	s_xor_b32 s2, exec_lo, s6
	s_cbranch_execz .LBB52_76
.LBB52_33:                              ;   in Loop: Header=BB52_4 Depth=1
	v_add_co_u32 v1, vcc_lo, s8, v1
	s_wait_alu 0xfffd
	v_add_co_ci_u32_e64 v2, null, s9, v2, vcc_lo
	global_store_b16 v[1:2], v11, off
	s_wait_alu 0xfffe
	s_or_b32 exec_lo, exec_lo, s2
	s_and_saveexec_b32 s2, s3
	s_cbranch_execnz .LBB52_77
.LBB52_34:                              ;   in Loop: Header=BB52_4 Depth=1
	s_wait_alu 0xfffe
	s_or_b32 exec_lo, exec_lo, s2
	s_and_saveexec_b32 s2, s4
	s_cbranch_execz .LBB52_78
.LBB52_35:                              ;   in Loop: Header=BB52_4 Depth=1
	v_add_co_u32 v1, vcc_lo, s8, v5
	s_wait_alu 0xfffd
	v_add_co_ci_u32_e64 v2, null, s9, v6, vcc_lo
	s_wait_loadcnt 0x0
	global_store_b16 v[1:2], v14, off
	s_wait_alu 0xfffe
	s_or_b32 exec_lo, exec_lo, s2
	s_and_saveexec_b32 s2, s5
	s_cbranch_execz .LBB52_3
	s_branch .LBB52_79
.LBB52_36:                              ;   in Loop: Header=BB52_4 Depth=1
	s_and_not1_b32 vcc_lo, exec_lo, s26
	s_wait_alu 0xfffe
	s_cbranch_vccnz .LBB52_17
.LBB52_37:                              ;   in Loop: Header=BB52_4 Depth=1
	s_mov_b32 s6, 0
	s_mov_b32 s26, 0
	s_mov_b32 s27, exec_lo
	s_wait_loadcnt 0x0
	v_cmpx_lt_i16_e32 0, v13
	s_xor_b32 s27, exec_lo, s27
	s_cbranch_execz .LBB52_41
; %bb.38:                               ;   in Loop: Header=BB52_4 Depth=1
	v_cmp_ne_u16_e32 vcc_lo, 1, v13
	s_and_b32 s26, vcc_lo, exec_lo
	s_and_not1_saveexec_b32 s27, s27
	s_cbranch_execnz .LBB52_42
.LBB52_39:                              ;   in Loop: Header=BB52_4 Depth=1
	s_or_b32 exec_lo, exec_lo, s27
	s_and_saveexec_b32 s27, s26
	s_delay_alu instid0(SALU_CYCLE_1)
	s_xor_b32 s26, exec_lo, s27
	s_cbranch_execz .LBB52_43
.LBB52_40:                              ;   in Loop: Header=BB52_4 Depth=1
	v_mov_b32_e32 v13, 0
	s_and_not1_b32 s6, s6, exec_lo
	s_or_b32 exec_lo, exec_lo, s26
	s_and_saveexec_b32 s26, s6
	s_cbranch_execnz .LBB52_44
	s_branch .LBB52_45
.LBB52_41:                              ;   in Loop: Header=BB52_4 Depth=1
	s_and_not1_saveexec_b32 s27, s27
	s_cbranch_execz .LBB52_39
.LBB52_42:                              ;   in Loop: Header=BB52_4 Depth=1
	v_cmp_ne_u16_e32 vcc_lo, -1, v13
	s_and_not1_b32 s26, s26, exec_lo
	s_mov_b32 s6, exec_lo
	s_and_b32 s28, vcc_lo, exec_lo
	s_delay_alu instid0(SALU_CYCLE_1) | instskip(SKIP_2) | instid1(SALU_CYCLE_1)
	s_or_b32 s26, s26, s28
	s_or_b32 exec_lo, exec_lo, s27
	s_and_saveexec_b32 s27, s26
	s_xor_b32 s26, exec_lo, s27
	s_cbranch_execnz .LBB52_40
.LBB52_43:                              ;   in Loop: Header=BB52_4 Depth=1
	s_or_b32 exec_lo, exec_lo, s26
	s_and_saveexec_b32 s26, s6
.LBB52_44:                              ;   in Loop: Header=BB52_4 Depth=1
	v_mov_b32_e32 v13, s25
.LBB52_45:                              ;   in Loop: Header=BB52_4 Depth=1
	s_or_b32 exec_lo, exec_lo, s26
	s_delay_alu instid0(VALU_DEP_1)
	v_mov_b32_e32 v11, v13
	s_and_not1_b32 vcc_lo, exec_lo, s22
	s_mov_b32 s6, -1
                                        ; implicit-def: $vgpr13
	s_wait_alu 0xfffe
	s_cbranch_vccz .LBB52_18
.LBB52_46:                              ;   in Loop: Header=BB52_4 Depth=1
	s_and_not1_b32 vcc_lo, exec_lo, s6
	s_wait_alu 0xfffe
	s_cbranch_vccnz .LBB52_22
.LBB52_47:                              ;   in Loop: Header=BB52_4 Depth=1
	s_mov_b32 s6, 0
	s_mov_b32 s26, 0
	s_mov_b32 s27, exec_lo
	s_wait_loadcnt 0x0
	v_cmpx_lt_i16_e32 0, v14
	s_xor_b32 s27, exec_lo, s27
	s_cbranch_execz .LBB52_51
; %bb.48:                               ;   in Loop: Header=BB52_4 Depth=1
	v_cmp_ne_u16_e32 vcc_lo, 1, v14
	s_and_b32 s26, vcc_lo, exec_lo
	s_and_not1_saveexec_b32 s27, s27
	s_cbranch_execnz .LBB52_52
.LBB52_49:                              ;   in Loop: Header=BB52_4 Depth=1
	s_or_b32 exec_lo, exec_lo, s27
	s_and_saveexec_b32 s27, s26
	s_delay_alu instid0(SALU_CYCLE_1)
	s_xor_b32 s26, exec_lo, s27
	s_cbranch_execz .LBB52_53
.LBB52_50:                              ;   in Loop: Header=BB52_4 Depth=1
	v_mov_b32_e32 v14, 0
	s_and_not1_b32 s6, s6, exec_lo
	s_or_b32 exec_lo, exec_lo, s26
	s_and_saveexec_b32 s26, s6
	s_cbranch_execnz .LBB52_54
	s_branch .LBB52_55
.LBB52_51:                              ;   in Loop: Header=BB52_4 Depth=1
	s_and_not1_saveexec_b32 s27, s27
	s_cbranch_execz .LBB52_49
.LBB52_52:                              ;   in Loop: Header=BB52_4 Depth=1
	v_cmp_ne_u16_e32 vcc_lo, -1, v14
	s_and_not1_b32 s26, s26, exec_lo
	s_mov_b32 s6, exec_lo
	s_and_b32 s28, vcc_lo, exec_lo
	s_delay_alu instid0(SALU_CYCLE_1) | instskip(SKIP_2) | instid1(SALU_CYCLE_1)
	s_or_b32 s26, s26, s28
	s_or_b32 exec_lo, exec_lo, s27
	s_and_saveexec_b32 s27, s26
	s_xor_b32 s26, exec_lo, s27
	s_cbranch_execnz .LBB52_50
.LBB52_53:                              ;   in Loop: Header=BB52_4 Depth=1
	s_or_b32 exec_lo, exec_lo, s26
	s_and_saveexec_b32 s26, s6
.LBB52_54:                              ;   in Loop: Header=BB52_4 Depth=1
	v_mov_b32_e32 v14, s25
.LBB52_55:                              ;   in Loop: Header=BB52_4 Depth=1
	s_or_b32 exec_lo, exec_lo, s26
	s_delay_alu instid0(VALU_DEP_1)
	v_mov_b32_e32 v13, v14
	s_and_not1_b32 vcc_lo, exec_lo, s22
	s_mov_b32 s6, -1
                                        ; implicit-def: $vgpr14
	s_wait_alu 0xfffe
	s_cbranch_vccz .LBB52_23
.LBB52_56:                              ;   in Loop: Header=BB52_4 Depth=1
	s_and_not1_b32 vcc_lo, exec_lo, s6
	s_wait_alu 0xfffe
	s_cbranch_vccnz .LBB52_27
.LBB52_57:                              ;   in Loop: Header=BB52_4 Depth=1
	s_mov_b32 s6, 0
	s_mov_b32 s26, 0
	s_mov_b32 s27, exec_lo
	s_wait_loadcnt 0x0
	v_cmpx_lt_i16_e32 0, v12
	s_xor_b32 s27, exec_lo, s27
	s_cbranch_execz .LBB52_61
; %bb.58:                               ;   in Loop: Header=BB52_4 Depth=1
	v_cmp_ne_u16_e32 vcc_lo, 1, v12
	s_and_b32 s26, vcc_lo, exec_lo
	s_and_not1_saveexec_b32 s27, s27
	s_cbranch_execnz .LBB52_62
.LBB52_59:                              ;   in Loop: Header=BB52_4 Depth=1
	s_or_b32 exec_lo, exec_lo, s27
	s_and_saveexec_b32 s27, s26
	s_delay_alu instid0(SALU_CYCLE_1)
	s_xor_b32 s26, exec_lo, s27
	s_cbranch_execz .LBB52_63
.LBB52_60:                              ;   in Loop: Header=BB52_4 Depth=1
	v_mov_b32_e32 v12, 0
	s_and_not1_b32 s6, s6, exec_lo
	s_or_b32 exec_lo, exec_lo, s26
	s_and_saveexec_b32 s26, s6
	s_cbranch_execnz .LBB52_64
	s_branch .LBB52_65
.LBB52_61:                              ;   in Loop: Header=BB52_4 Depth=1
	s_and_not1_saveexec_b32 s27, s27
	s_cbranch_execz .LBB52_59
.LBB52_62:                              ;   in Loop: Header=BB52_4 Depth=1
	v_cmp_ne_u16_e32 vcc_lo, -1, v12
	s_and_not1_b32 s26, s26, exec_lo
	s_mov_b32 s6, exec_lo
	s_and_b32 s28, vcc_lo, exec_lo
	s_delay_alu instid0(SALU_CYCLE_1) | instskip(SKIP_2) | instid1(SALU_CYCLE_1)
	s_or_b32 s26, s26, s28
	s_or_b32 exec_lo, exec_lo, s27
	s_and_saveexec_b32 s27, s26
	s_xor_b32 s26, exec_lo, s27
	s_cbranch_execnz .LBB52_60
.LBB52_63:                              ;   in Loop: Header=BB52_4 Depth=1
	s_or_b32 exec_lo, exec_lo, s26
	s_and_saveexec_b32 s26, s6
.LBB52_64:                              ;   in Loop: Header=BB52_4 Depth=1
	v_mov_b32_e32 v12, s25
.LBB52_65:                              ;   in Loop: Header=BB52_4 Depth=1
	s_or_b32 exec_lo, exec_lo, s26
	s_delay_alu instid0(VALU_DEP_1)
	v_mov_b32_e32 v14, v12
	s_and_not1_b32 vcc_lo, exec_lo, s22
	s_mov_b32 s6, -1
                                        ; implicit-def: $vgpr12
	s_wait_alu 0xfffe
	s_cbranch_vccz .LBB52_28
.LBB52_66:                              ;   in Loop: Header=BB52_4 Depth=1
	s_and_not1_b32 vcc_lo, exec_lo, s6
	s_wait_alu 0xfffe
	s_cbranch_vccnz .LBB52_32
.LBB52_67:                              ;   in Loop: Header=BB52_4 Depth=1
	s_mov_b32 s6, 0
	s_mov_b32 s26, 0
	s_mov_b32 s27, exec_lo
	s_wait_loadcnt 0x0
	v_cmpx_lt_i16_e32 0, v10
	s_xor_b32 s27, exec_lo, s27
	s_cbranch_execz .LBB52_71
; %bb.68:                               ;   in Loop: Header=BB52_4 Depth=1
	v_cmp_ne_u16_e32 vcc_lo, 1, v10
	s_and_b32 s26, vcc_lo, exec_lo
	s_and_not1_saveexec_b32 s27, s27
	s_cbranch_execnz .LBB52_72
.LBB52_69:                              ;   in Loop: Header=BB52_4 Depth=1
	s_or_b32 exec_lo, exec_lo, s27
	s_and_saveexec_b32 s27, s26
	s_delay_alu instid0(SALU_CYCLE_1)
	s_xor_b32 s26, exec_lo, s27
	s_cbranch_execz .LBB52_73
.LBB52_70:                              ;   in Loop: Header=BB52_4 Depth=1
	v_mov_b32_e32 v10, 0
	s_and_not1_b32 s6, s6, exec_lo
	s_or_b32 exec_lo, exec_lo, s26
	s_and_saveexec_b32 s26, s6
	s_cbranch_execnz .LBB52_74
	s_branch .LBB52_75
.LBB52_71:                              ;   in Loop: Header=BB52_4 Depth=1
	s_and_not1_saveexec_b32 s27, s27
	s_cbranch_execz .LBB52_69
.LBB52_72:                              ;   in Loop: Header=BB52_4 Depth=1
	v_cmp_ne_u16_e32 vcc_lo, -1, v10
	s_and_not1_b32 s26, s26, exec_lo
	s_mov_b32 s6, exec_lo
	s_and_b32 s28, vcc_lo, exec_lo
	s_delay_alu instid0(SALU_CYCLE_1) | instskip(SKIP_2) | instid1(SALU_CYCLE_1)
	s_or_b32 s26, s26, s28
	s_or_b32 exec_lo, exec_lo, s27
	s_and_saveexec_b32 s27, s26
	s_xor_b32 s26, exec_lo, s27
	s_cbranch_execnz .LBB52_70
.LBB52_73:                              ;   in Loop: Header=BB52_4 Depth=1
	s_or_b32 exec_lo, exec_lo, s26
	s_and_saveexec_b32 s26, s6
.LBB52_74:                              ;   in Loop: Header=BB52_4 Depth=1
	v_mov_b32_e32 v10, s25
.LBB52_75:                              ;   in Loop: Header=BB52_4 Depth=1
	s_or_b32 exec_lo, exec_lo, s26
	s_delay_alu instid0(VALU_DEP_1) | instskip(SKIP_1) | instid1(SALU_CYCLE_1)
	v_mov_b32_e32 v12, v10
	s_and_saveexec_b32 s6, s2
	s_xor_b32 s2, exec_lo, s6
	s_cbranch_execnz .LBB52_33
.LBB52_76:                              ;   in Loop: Header=BB52_4 Depth=1
	s_wait_alu 0xfffe
	s_or_b32 exec_lo, exec_lo, s2
	s_and_saveexec_b32 s2, s3
	s_cbranch_execz .LBB52_34
.LBB52_77:                              ;   in Loop: Header=BB52_4 Depth=1
	v_add_co_u32 v1, vcc_lo, s8, v3
	s_wait_alu 0xfffd
	v_add_co_ci_u32_e64 v2, null, s9, v4, vcc_lo
	s_wait_loadcnt 0x0
	global_store_b16 v[1:2], v13, off
	s_wait_alu 0xfffe
	s_or_b32 exec_lo, exec_lo, s2
	s_and_saveexec_b32 s2, s4
	s_cbranch_execnz .LBB52_35
.LBB52_78:                              ;   in Loop: Header=BB52_4 Depth=1
	s_wait_alu 0xfffe
	s_or_b32 exec_lo, exec_lo, s2
	s_and_saveexec_b32 s2, s5
	s_cbranch_execz .LBB52_3
.LBB52_79:                              ;   in Loop: Header=BB52_4 Depth=1
	v_add_co_u32 v1, vcc_lo, s8, v7
	s_wait_alu 0xfffd
	v_add_co_ci_u32_e64 v2, null, s9, v8, vcc_lo
	s_wait_loadcnt 0x0
	global_store_b16 v[1:2], v12, off
	s_branch .LBB52_3
.LBB52_80:
	s_cbranch_execz .LBB52_82
	s_branch .LBB52_145
.LBB52_81:
.LBB52_82:
	v_cmp_gt_i64_e64 s2, 0x10000, s[10:11]
	v_dual_mov_b32 v2, 0 :: v_dual_lshlrev_b32 v1, 2, v0
	s_mov_b32 s4, 0
	s_mov_b32 s5, exec_lo
	s_and_b32 s2, s2, exec_lo
	s_cselect_b32 s3, s11, 0
	s_cselect_b32 s2, s10, 0x10000
	s_wait_alu 0xfffe
	v_cmpx_gt_i64_e64 s[2:3], v[1:2]
	s_cbranch_execz .LBB52_145
; %bb.83:
	s_load_b32 s0, s[0:1], 0xd3c
	s_sext_i32_i16 s1, s7
	v_mov_b32_e32 v1, v2
	s_cmp_gt_i32 s1, -1
	s_cselect_b32 s1, -1, 0
	s_and_b32 s5, 0xffff, s7
	s_delay_alu instid0(SALU_CYCLE_1)
	s_cmp_lg_u32 s5, 0
	s_cselect_b32 s5, -1, 0
	s_bitcmp0_b32 s7, 0
	v_cndmask_b32_e64 v6, 0, 1, s5
	s_cselect_b32 s6, 1, 0xffff
	s_wait_kmcnt 0x0
	s_and_b32 s10, s0, 0xffff
	s_branch .LBB52_86
.LBB52_84:                              ;   in Loop: Header=BB52_86 Depth=1
	s_wait_alu 0xfffe
	s_or_b32 exec_lo, exec_lo, s11
	s_delay_alu instid0(VALU_DEP_1)
	v_mov_b32_e32 v9, v5
.LBB52_85:                              ;   in Loop: Header=BB52_86 Depth=1
	v_add_co_u32 v0, vcc_lo, v0, s10
	s_wait_alu 0xfffd
	v_add_co_ci_u32_e64 v1, null, 0, v1, vcc_lo
	s_delay_alu instid0(VALU_DEP_3) | instskip(SKIP_1) | instid1(VALU_DEP_3)
	v_perm_b32 v5, v9, v8, 0x5040100
	v_perm_b32 v4, v4, v7, 0x5040100
	v_lshlrev_b64_e32 v[10:11], 2, v[0:1]
	global_store_b64 v[2:3], v[4:5], off
	v_cmp_le_i64_e32 vcc_lo, s[2:3], v[10:11]
	s_or_b32 s4, vcc_lo, s4
	s_wait_alu 0xfffe
	s_and_not1_b32 exec_lo, exec_lo, s4
	s_cbranch_execz .LBB52_145
.LBB52_86:                              ; =>This Loop Header: Depth=1
                                        ;     Child Loop BB52_89 Depth 2
                                        ;     Child Loop BB52_94 Depth 2
	;; [unrolled: 1-line block ×4, first 2 shown]
	v_lshlrev_b64_e32 v[2:3], 3, v[0:1]
	v_cmp_ne_u32_e64 s0, 1, v6
	s_mov_b32 s11, -1
                                        ; implicit-def: $vgpr7
	v_add_co_u32 v2, vcc_lo, s8, v2
	s_wait_alu 0xfffd
	v_add_co_ci_u32_e64 v3, null, s9, v3, vcc_lo
	s_and_b32 vcc_lo, exec_lo, s1
	global_load_b64 v[4:5], v[2:3], off
	s_wait_alu 0xfffe
	s_cbranch_vccz .LBB52_106
; %bb.87:                               ;   in Loop: Header=BB52_86 Depth=1
	v_mov_b32_e32 v7, 1
	s_and_b32 vcc_lo, exec_lo, s0
	s_wait_alu 0xfffe
	s_cbranch_vccnz .LBB52_90
; %bb.88:                               ;   in Loop: Header=BB52_86 Depth=1
	s_wait_loadcnt 0x0
	v_mov_b32_e32 v8, v4
	s_mov_b32 s0, s7
.LBB52_89:                              ;   Parent Loop BB52_86 Depth=1
                                        ; =>  This Inner Loop Header: Depth=2
	s_delay_alu instid0(SALU_CYCLE_1)
	s_bitcmp1_b32 s0, 0
	s_sext_i32_i16 s11, s0
	s_cselect_b32 vcc_lo, -1, 0
	s_and_b32 s0, 0xffff, s0
	s_wait_alu 0xfffe
	v_cndmask_b32_e32 v9, 1, v8, vcc_lo
	v_mul_lo_u16 v8, v8, v8
	s_lshr_b32 s0, s0, 1
	s_cmp_gt_i32 s11, 1
	s_delay_alu instid0(VALU_DEP_2)
	v_mul_lo_u16 v7, v9, v7
	s_cbranch_scc1 .LBB52_89
.LBB52_90:                              ;   in Loop: Header=BB52_86 Depth=1
	s_cbranch_execz .LBB52_107
.LBB52_91:                              ;   in Loop: Header=BB52_86 Depth=1
	s_wait_loadcnt 0x0
	v_lshrrev_b32_e32 v8, 16, v4
	s_and_not1_b32 vcc_lo, exec_lo, s1
	s_mov_b32 s0, -1
                                        ; implicit-def: $vgpr4
	s_wait_alu 0xfffe
	s_cbranch_vccnz .LBB52_116
.LBB52_92:                              ;   in Loop: Header=BB52_86 Depth=1
	v_mov_b32_e32 v4, 1
	s_and_not1_b32 vcc_lo, exec_lo, s5
	s_wait_alu 0xfffe
	s_cbranch_vccnz .LBB52_95
; %bb.93:                               ;   in Loop: Header=BB52_86 Depth=1
	v_mov_b32_e32 v9, v8
	s_mov_b32 s0, s7
.LBB52_94:                              ;   Parent Loop BB52_86 Depth=1
                                        ; =>  This Inner Loop Header: Depth=2
	s_delay_alu instid0(SALU_CYCLE_1)
	s_bitcmp1_b32 s0, 0
	s_sext_i32_i16 s11, s0
	s_cselect_b32 vcc_lo, -1, 0
	s_and_b32 s0, 0xffff, s0
	s_wait_alu 0xfffe
	v_cndmask_b32_e32 v10, 1, v9, vcc_lo
	v_mul_lo_u16 v9, v9, v9
	s_lshr_b32 s0, s0, 1
	s_cmp_lt_i32 s11, 2
	s_delay_alu instid0(VALU_DEP_2)
	v_mul_lo_u16 v4, v10, v4
	s_cbranch_scc0 .LBB52_94
.LBB52_95:                              ;   in Loop: Header=BB52_86 Depth=1
	s_cbranch_execz .LBB52_117
.LBB52_96:                              ;   in Loop: Header=BB52_86 Depth=1
	v_mov_b32_e32 v9, v5
	s_and_not1_b32 vcc_lo, exec_lo, s1
	s_mov_b32 s0, -1
                                        ; implicit-def: $vgpr8
	s_wait_alu 0xfffe
	s_cbranch_vccnz .LBB52_126
.LBB52_97:                              ;   in Loop: Header=BB52_86 Depth=1
	v_mov_b32_e32 v8, 1
	s_and_not1_b32 vcc_lo, exec_lo, s5
	s_wait_alu 0xfffe
	s_cbranch_vccnz .LBB52_100
; %bb.98:                               ;   in Loop: Header=BB52_86 Depth=1
	v_mov_b32_e32 v10, v9
	s_mov_b32 s0, s7
.LBB52_99:                              ;   Parent Loop BB52_86 Depth=1
                                        ; =>  This Inner Loop Header: Depth=2
	s_delay_alu instid0(SALU_CYCLE_1)
	s_bitcmp1_b32 s0, 0
	s_sext_i32_i16 s11, s0
	s_cselect_b32 vcc_lo, -1, 0
	s_and_b32 s0, 0xffff, s0
	s_wait_alu 0xfffe
	v_cndmask_b32_e32 v11, 1, v10, vcc_lo
	v_mul_lo_u16 v10, v10, v10
	s_lshr_b32 s0, s0, 1
	s_cmp_lt_i32 s11, 2
	s_delay_alu instid0(VALU_DEP_2)
	v_mul_lo_u16 v8, v11, v8
	s_cbranch_scc0 .LBB52_99
.LBB52_100:                             ;   in Loop: Header=BB52_86 Depth=1
	s_cbranch_execz .LBB52_127
.LBB52_101:                             ;   in Loop: Header=BB52_86 Depth=1
	v_lshrrev_b32_e32 v5, 16, v5
	s_and_not1_b32 vcc_lo, exec_lo, s1
	s_mov_b32 s0, -1
                                        ; implicit-def: $vgpr9
	s_wait_alu 0xfffe
	s_cbranch_vccnz .LBB52_136
.LBB52_102:                             ;   in Loop: Header=BB52_86 Depth=1
	v_mov_b32_e32 v9, 1
	s_and_not1_b32 vcc_lo, exec_lo, s5
	s_wait_alu 0xfffe
	s_cbranch_vccnz .LBB52_105
; %bb.103:                              ;   in Loop: Header=BB52_86 Depth=1
	v_mov_b32_e32 v10, v5
	s_mov_b32 s0, s7
.LBB52_104:                             ;   Parent Loop BB52_86 Depth=1
                                        ; =>  This Inner Loop Header: Depth=2
	s_delay_alu instid0(SALU_CYCLE_1)
	s_bitcmp1_b32 s0, 0
	s_sext_i32_i16 s11, s0
	s_cselect_b32 vcc_lo, -1, 0
	s_and_b32 s0, 0xffff, s0
	s_wait_alu 0xfffe
	v_cndmask_b32_e32 v11, 1, v10, vcc_lo
	v_mul_lo_u16 v10, v10, v10
	s_lshr_b32 s0, s0, 1
	s_cmp_lt_i32 s11, 2
	s_delay_alu instid0(VALU_DEP_2)
	v_mul_lo_u16 v9, v11, v9
	s_cbranch_scc0 .LBB52_104
.LBB52_105:                             ;   in Loop: Header=BB52_86 Depth=1
	s_cbranch_execnz .LBB52_85
	s_branch .LBB52_137
.LBB52_106:                             ;   in Loop: Header=BB52_86 Depth=1
	s_and_not1_b32 vcc_lo, exec_lo, s11
	s_wait_alu 0xfffe
	s_cbranch_vccnz .LBB52_91
.LBB52_107:                             ;   in Loop: Header=BB52_86 Depth=1
	s_mov_b32 s0, 0
	s_mov_b32 s11, 0
	s_mov_b32 s12, exec_lo
	s_wait_loadcnt 0x0
	v_cmpx_lt_i16_e32 0, v4
	s_wait_alu 0xfffe
	s_xor_b32 s12, exec_lo, s12
; %bb.108:                              ;   in Loop: Header=BB52_86 Depth=1
	v_cmp_ne_u16_e32 vcc_lo, 1, v4
	s_and_b32 s11, vcc_lo, exec_lo
; %bb.109:                              ;   in Loop: Header=BB52_86 Depth=1
	s_wait_alu 0xfffe
	s_and_not1_saveexec_b32 s12, s12
; %bb.110:                              ;   in Loop: Header=BB52_86 Depth=1
	v_cmp_ne_u16_e32 vcc_lo, -1, v4
	s_and_not1_b32 s11, s11, exec_lo
	s_mov_b32 s0, exec_lo
	s_and_b32 s13, vcc_lo, exec_lo
	s_wait_alu 0xfffe
	s_or_b32 s11, s11, s13
; %bb.111:                              ;   in Loop: Header=BB52_86 Depth=1
	s_or_b32 exec_lo, exec_lo, s12
	v_mov_b32_e32 v7, v4
	s_wait_alu 0xfffe
	s_and_saveexec_b32 s12, s11
	s_wait_alu 0xfffe
	s_xor_b32 s11, exec_lo, s12
; %bb.112:                              ;   in Loop: Header=BB52_86 Depth=1
	v_mov_b32_e32 v7, 0
	s_and_not1_b32 s0, s0, exec_lo
; %bb.113:                              ;   in Loop: Header=BB52_86 Depth=1
	s_wait_alu 0xfffe
	s_or_b32 exec_lo, exec_lo, s11
	s_and_saveexec_b32 s11, s0
; %bb.114:                              ;   in Loop: Header=BB52_86 Depth=1
	v_mov_b32_e32 v7, s6
; %bb.115:                              ;   in Loop: Header=BB52_86 Depth=1
	s_wait_alu 0xfffe
	s_or_b32 exec_lo, exec_lo, s11
	v_lshrrev_b32_e32 v8, 16, v4
	s_and_not1_b32 vcc_lo, exec_lo, s1
	s_mov_b32 s0, -1
                                        ; implicit-def: $vgpr4
	s_wait_alu 0xfffe
	s_cbranch_vccz .LBB52_92
.LBB52_116:                             ;   in Loop: Header=BB52_86 Depth=1
	s_and_not1_b32 vcc_lo, exec_lo, s0
	s_wait_alu 0xfffe
	s_cbranch_vccnz .LBB52_96
.LBB52_117:                             ;   in Loop: Header=BB52_86 Depth=1
	s_mov_b32 s0, 0
	s_mov_b32 s11, 0
	s_mov_b32 s12, exec_lo
	v_cmpx_lt_i16_e32 0, v8
	s_wait_alu 0xfffe
	s_xor_b32 s12, exec_lo, s12
	s_cbranch_execz .LBB52_121
; %bb.118:                              ;   in Loop: Header=BB52_86 Depth=1
	v_cmp_ne_u16_e32 vcc_lo, 1, v8
	s_and_b32 s11, vcc_lo, exec_lo
	s_wait_alu 0xfffe
	s_and_not1_saveexec_b32 s12, s12
	s_cbranch_execnz .LBB52_122
.LBB52_119:                             ;   in Loop: Header=BB52_86 Depth=1
	s_wait_alu 0xfffe
	s_or_b32 exec_lo, exec_lo, s12
	s_and_saveexec_b32 s12, s11
	s_wait_alu 0xfffe
	s_xor_b32 s11, exec_lo, s12
	s_cbranch_execz .LBB52_123
.LBB52_120:                             ;   in Loop: Header=BB52_86 Depth=1
	v_mov_b32_e32 v8, 0
	s_and_not1_b32 s0, s0, exec_lo
	s_wait_alu 0xfffe
	s_or_b32 exec_lo, exec_lo, s11
	s_and_saveexec_b32 s11, s0
	s_cbranch_execnz .LBB52_124
	s_branch .LBB52_125
.LBB52_121:                             ;   in Loop: Header=BB52_86 Depth=1
	s_wait_alu 0xfffe
	s_and_not1_saveexec_b32 s12, s12
	s_cbranch_execz .LBB52_119
.LBB52_122:                             ;   in Loop: Header=BB52_86 Depth=1
	v_cmp_ne_u16_e32 vcc_lo, -1, v8
	s_and_not1_b32 s11, s11, exec_lo
	s_mov_b32 s0, exec_lo
	s_and_b32 s13, vcc_lo, exec_lo
	s_wait_alu 0xfffe
	s_or_b32 s11, s11, s13
	s_or_b32 exec_lo, exec_lo, s12
	s_wait_alu 0xfffe
	s_and_saveexec_b32 s12, s11
	s_wait_alu 0xfffe
	s_xor_b32 s11, exec_lo, s12
	s_cbranch_execnz .LBB52_120
.LBB52_123:                             ;   in Loop: Header=BB52_86 Depth=1
	s_wait_alu 0xfffe
	s_or_b32 exec_lo, exec_lo, s11
	s_and_saveexec_b32 s11, s0
.LBB52_124:                             ;   in Loop: Header=BB52_86 Depth=1
	v_mov_b32_e32 v8, s6
.LBB52_125:                             ;   in Loop: Header=BB52_86 Depth=1
	s_wait_alu 0xfffe
	s_or_b32 exec_lo, exec_lo, s11
	s_delay_alu instid0(VALU_DEP_1)
	v_dual_mov_b32 v4, v8 :: v_dual_mov_b32 v9, v5
	s_and_not1_b32 vcc_lo, exec_lo, s1
	s_mov_b32 s0, -1
                                        ; implicit-def: $vgpr8
	s_wait_alu 0xfffe
	s_cbranch_vccz .LBB52_97
.LBB52_126:                             ;   in Loop: Header=BB52_86 Depth=1
	s_and_not1_b32 vcc_lo, exec_lo, s0
	s_wait_alu 0xfffe
	s_cbranch_vccnz .LBB52_101
.LBB52_127:                             ;   in Loop: Header=BB52_86 Depth=1
	s_mov_b32 s0, 0
	s_mov_b32 s11, 0
	s_mov_b32 s12, exec_lo
	v_cmpx_lt_i16_e32 0, v5
	s_wait_alu 0xfffe
	s_xor_b32 s12, exec_lo, s12
	s_cbranch_execz .LBB52_131
; %bb.128:                              ;   in Loop: Header=BB52_86 Depth=1
	v_cmp_ne_u16_e32 vcc_lo, 1, v5
	s_and_b32 s11, vcc_lo, exec_lo
	s_wait_alu 0xfffe
	s_and_not1_saveexec_b32 s12, s12
	s_cbranch_execnz .LBB52_132
.LBB52_129:                             ;   in Loop: Header=BB52_86 Depth=1
	s_wait_alu 0xfffe
	s_or_b32 exec_lo, exec_lo, s12
	s_and_saveexec_b32 s12, s11
	s_wait_alu 0xfffe
	s_xor_b32 s11, exec_lo, s12
	s_cbranch_execz .LBB52_133
.LBB52_130:                             ;   in Loop: Header=BB52_86 Depth=1
	v_mov_b32_e32 v9, 0
	s_and_not1_b32 s0, s0, exec_lo
	s_wait_alu 0xfffe
	s_or_b32 exec_lo, exec_lo, s11
	s_and_saveexec_b32 s11, s0
	s_cbranch_execnz .LBB52_134
	s_branch .LBB52_135
.LBB52_131:                             ;   in Loop: Header=BB52_86 Depth=1
	s_wait_alu 0xfffe
	s_and_not1_saveexec_b32 s12, s12
	s_cbranch_execz .LBB52_129
.LBB52_132:                             ;   in Loop: Header=BB52_86 Depth=1
	v_cmp_ne_u16_e32 vcc_lo, -1, v5
	s_and_not1_b32 s11, s11, exec_lo
	s_mov_b32 s0, exec_lo
	s_and_b32 s13, vcc_lo, exec_lo
	s_wait_alu 0xfffe
	s_or_b32 s11, s11, s13
	s_or_b32 exec_lo, exec_lo, s12
	s_wait_alu 0xfffe
	s_and_saveexec_b32 s12, s11
	s_wait_alu 0xfffe
	s_xor_b32 s11, exec_lo, s12
	s_cbranch_execnz .LBB52_130
.LBB52_133:                             ;   in Loop: Header=BB52_86 Depth=1
	s_wait_alu 0xfffe
	s_or_b32 exec_lo, exec_lo, s11
	s_and_saveexec_b32 s11, s0
.LBB52_134:                             ;   in Loop: Header=BB52_86 Depth=1
	v_mov_b32_e32 v9, s6
.LBB52_135:                             ;   in Loop: Header=BB52_86 Depth=1
	s_wait_alu 0xfffe
	s_or_b32 exec_lo, exec_lo, s11
	s_delay_alu instid0(VALU_DEP_1)
	v_mov_b32_e32 v8, v9
	v_lshrrev_b32_e32 v5, 16, v5
	s_and_not1_b32 vcc_lo, exec_lo, s1
	s_mov_b32 s0, -1
                                        ; implicit-def: $vgpr9
	s_wait_alu 0xfffe
	s_cbranch_vccz .LBB52_102
.LBB52_136:                             ;   in Loop: Header=BB52_86 Depth=1
	s_and_not1_b32 vcc_lo, exec_lo, s0
	s_wait_alu 0xfffe
	s_cbranch_vccnz .LBB52_85
.LBB52_137:                             ;   in Loop: Header=BB52_86 Depth=1
	s_mov_b32 s0, 0
	s_mov_b32 s11, 0
	s_mov_b32 s12, exec_lo
	v_cmpx_lt_i16_e32 0, v5
	s_wait_alu 0xfffe
	s_xor_b32 s12, exec_lo, s12
	s_cbranch_execz .LBB52_141
; %bb.138:                              ;   in Loop: Header=BB52_86 Depth=1
	v_cmp_ne_u16_e32 vcc_lo, 1, v5
	s_and_b32 s11, vcc_lo, exec_lo
	s_wait_alu 0xfffe
	s_and_not1_saveexec_b32 s12, s12
	s_cbranch_execnz .LBB52_142
.LBB52_139:                             ;   in Loop: Header=BB52_86 Depth=1
	s_wait_alu 0xfffe
	s_or_b32 exec_lo, exec_lo, s12
	s_and_saveexec_b32 s12, s11
	s_wait_alu 0xfffe
	s_xor_b32 s11, exec_lo, s12
	s_cbranch_execz .LBB52_143
.LBB52_140:                             ;   in Loop: Header=BB52_86 Depth=1
	v_mov_b32_e32 v5, 0
	s_and_not1_b32 s0, s0, exec_lo
	s_wait_alu 0xfffe
	s_or_b32 exec_lo, exec_lo, s11
	s_and_saveexec_b32 s11, s0
	s_cbranch_execz .LBB52_84
	s_branch .LBB52_144
.LBB52_141:                             ;   in Loop: Header=BB52_86 Depth=1
	s_wait_alu 0xfffe
	s_and_not1_saveexec_b32 s12, s12
	s_cbranch_execz .LBB52_139
.LBB52_142:                             ;   in Loop: Header=BB52_86 Depth=1
	v_cmp_ne_u16_e32 vcc_lo, -1, v5
	s_and_not1_b32 s11, s11, exec_lo
	s_mov_b32 s0, exec_lo
	s_and_b32 s13, vcc_lo, exec_lo
	s_wait_alu 0xfffe
	s_or_b32 s11, s11, s13
	s_or_b32 exec_lo, exec_lo, s12
	s_wait_alu 0xfffe
	s_and_saveexec_b32 s12, s11
	s_wait_alu 0xfffe
	s_xor_b32 s11, exec_lo, s12
	s_cbranch_execnz .LBB52_140
.LBB52_143:                             ;   in Loop: Header=BB52_86 Depth=1
	s_wait_alu 0xfffe
	s_or_b32 exec_lo, exec_lo, s11
	s_and_saveexec_b32 s11, s0
	s_cbranch_execz .LBB52_84
.LBB52_144:                             ;   in Loop: Header=BB52_86 Depth=1
	v_mov_b32_e32 v5, s6
	s_branch .LBB52_84
.LBB52_145:
	s_endpgm
	.section	.rodata,"a",@progbits
	.p2align	6, 0x0
	.amdhsa_kernel _ZN2at6native12_GLOBAL__N_125multi_tensor_apply_kernelINS1_18TensorListMetadataILi1EEENS1_21BinaryOpScalarFunctorIsLi1ELi1ELi0EEEJNS1_13power_functorIsEEsEEEvT_T0_DpT1_
		.amdhsa_group_segment_fixed_size 0
		.amdhsa_private_segment_fixed_size 0
		.amdhsa_kernarg_size 3632
		.amdhsa_user_sgpr_count 2
		.amdhsa_user_sgpr_dispatch_ptr 0
		.amdhsa_user_sgpr_queue_ptr 0
		.amdhsa_user_sgpr_kernarg_segment_ptr 1
		.amdhsa_user_sgpr_dispatch_id 0
		.amdhsa_user_sgpr_private_segment_size 0
		.amdhsa_wavefront_size32 1
		.amdhsa_uses_dynamic_stack 0
		.amdhsa_enable_private_segment 0
		.amdhsa_system_sgpr_workgroup_id_x 1
		.amdhsa_system_sgpr_workgroup_id_y 0
		.amdhsa_system_sgpr_workgroup_id_z 0
		.amdhsa_system_sgpr_workgroup_info 0
		.amdhsa_system_vgpr_workitem_id 0
		.amdhsa_next_free_vgpr 17
		.amdhsa_next_free_sgpr 29
		.amdhsa_reserve_vcc 1
		.amdhsa_float_round_mode_32 0
		.amdhsa_float_round_mode_16_64 0
		.amdhsa_float_denorm_mode_32 3
		.amdhsa_float_denorm_mode_16_64 3
		.amdhsa_fp16_overflow 0
		.amdhsa_workgroup_processor_mode 1
		.amdhsa_memory_ordered 1
		.amdhsa_forward_progress 1
		.amdhsa_inst_pref_size 29
		.amdhsa_round_robin_scheduling 0
		.amdhsa_exception_fp_ieee_invalid_op 0
		.amdhsa_exception_fp_denorm_src 0
		.amdhsa_exception_fp_ieee_div_zero 0
		.amdhsa_exception_fp_ieee_overflow 0
		.amdhsa_exception_fp_ieee_underflow 0
		.amdhsa_exception_fp_ieee_inexact 0
		.amdhsa_exception_int_div_zero 0
	.end_amdhsa_kernel
	.section	.text._ZN2at6native12_GLOBAL__N_125multi_tensor_apply_kernelINS1_18TensorListMetadataILi1EEENS1_21BinaryOpScalarFunctorIsLi1ELi1ELi0EEEJNS1_13power_functorIsEEsEEEvT_T0_DpT1_,"axG",@progbits,_ZN2at6native12_GLOBAL__N_125multi_tensor_apply_kernelINS1_18TensorListMetadataILi1EEENS1_21BinaryOpScalarFunctorIsLi1ELi1ELi0EEEJNS1_13power_functorIsEEsEEEvT_T0_DpT1_,comdat
.Lfunc_end52:
	.size	_ZN2at6native12_GLOBAL__N_125multi_tensor_apply_kernelINS1_18TensorListMetadataILi1EEENS1_21BinaryOpScalarFunctorIsLi1ELi1ELi0EEEJNS1_13power_functorIsEEsEEEvT_T0_DpT1_, .Lfunc_end52-_ZN2at6native12_GLOBAL__N_125multi_tensor_apply_kernelINS1_18TensorListMetadataILi1EEENS1_21BinaryOpScalarFunctorIsLi1ELi1ELi0EEEJNS1_13power_functorIsEEsEEEvT_T0_DpT1_
                                        ; -- End function
	.set _ZN2at6native12_GLOBAL__N_125multi_tensor_apply_kernelINS1_18TensorListMetadataILi1EEENS1_21BinaryOpScalarFunctorIsLi1ELi1ELi0EEEJNS1_13power_functorIsEEsEEEvT_T0_DpT1_.num_vgpr, 17
	.set _ZN2at6native12_GLOBAL__N_125multi_tensor_apply_kernelINS1_18TensorListMetadataILi1EEENS1_21BinaryOpScalarFunctorIsLi1ELi1ELi0EEEJNS1_13power_functorIsEEsEEEvT_T0_DpT1_.num_agpr, 0
	.set _ZN2at6native12_GLOBAL__N_125multi_tensor_apply_kernelINS1_18TensorListMetadataILi1EEENS1_21BinaryOpScalarFunctorIsLi1ELi1ELi0EEEJNS1_13power_functorIsEEsEEEvT_T0_DpT1_.numbered_sgpr, 29
	.set _ZN2at6native12_GLOBAL__N_125multi_tensor_apply_kernelINS1_18TensorListMetadataILi1EEENS1_21BinaryOpScalarFunctorIsLi1ELi1ELi0EEEJNS1_13power_functorIsEEsEEEvT_T0_DpT1_.num_named_barrier, 0
	.set _ZN2at6native12_GLOBAL__N_125multi_tensor_apply_kernelINS1_18TensorListMetadataILi1EEENS1_21BinaryOpScalarFunctorIsLi1ELi1ELi0EEEJNS1_13power_functorIsEEsEEEvT_T0_DpT1_.private_seg_size, 0
	.set _ZN2at6native12_GLOBAL__N_125multi_tensor_apply_kernelINS1_18TensorListMetadataILi1EEENS1_21BinaryOpScalarFunctorIsLi1ELi1ELi0EEEJNS1_13power_functorIsEEsEEEvT_T0_DpT1_.uses_vcc, 1
	.set _ZN2at6native12_GLOBAL__N_125multi_tensor_apply_kernelINS1_18TensorListMetadataILi1EEENS1_21BinaryOpScalarFunctorIsLi1ELi1ELi0EEEJNS1_13power_functorIsEEsEEEvT_T0_DpT1_.uses_flat_scratch, 0
	.set _ZN2at6native12_GLOBAL__N_125multi_tensor_apply_kernelINS1_18TensorListMetadataILi1EEENS1_21BinaryOpScalarFunctorIsLi1ELi1ELi0EEEJNS1_13power_functorIsEEsEEEvT_T0_DpT1_.has_dyn_sized_stack, 0
	.set _ZN2at6native12_GLOBAL__N_125multi_tensor_apply_kernelINS1_18TensorListMetadataILi1EEENS1_21BinaryOpScalarFunctorIsLi1ELi1ELi0EEEJNS1_13power_functorIsEEsEEEvT_T0_DpT1_.has_recursion, 0
	.set _ZN2at6native12_GLOBAL__N_125multi_tensor_apply_kernelINS1_18TensorListMetadataILi1EEENS1_21BinaryOpScalarFunctorIsLi1ELi1ELi0EEEJNS1_13power_functorIsEEsEEEvT_T0_DpT1_.has_indirect_call, 0
	.section	.AMDGPU.csdata,"",@progbits
; Kernel info:
; codeLenInByte = 3712
; TotalNumSgprs: 31
; NumVgprs: 17
; ScratchSize: 0
; MemoryBound: 0
; FloatMode: 240
; IeeeMode: 1
; LDSByteSize: 0 bytes/workgroup (compile time only)
; SGPRBlocks: 0
; VGPRBlocks: 2
; NumSGPRsForWavesPerEU: 31
; NumVGPRsForWavesPerEU: 17
; Occupancy: 16
; WaveLimiterHint : 0
; COMPUTE_PGM_RSRC2:SCRATCH_EN: 0
; COMPUTE_PGM_RSRC2:USER_SGPR: 2
; COMPUTE_PGM_RSRC2:TRAP_HANDLER: 0
; COMPUTE_PGM_RSRC2:TGID_X_EN: 1
; COMPUTE_PGM_RSRC2:TGID_Y_EN: 0
; COMPUTE_PGM_RSRC2:TGID_Z_EN: 0
; COMPUTE_PGM_RSRC2:TIDIG_COMP_CNT: 0
	.section	.text._ZN2at6native12_GLOBAL__N_125multi_tensor_apply_kernelINS1_18TensorListMetadataILi1EEENS1_21BinaryOpScalarFunctorIdLi1ELi1ELi0EEEJNS1_13power_functorIdEEdEEEvT_T0_DpT1_,"axG",@progbits,_ZN2at6native12_GLOBAL__N_125multi_tensor_apply_kernelINS1_18TensorListMetadataILi1EEENS1_21BinaryOpScalarFunctorIdLi1ELi1ELi0EEEJNS1_13power_functorIdEEdEEEvT_T0_DpT1_,comdat
	.globl	_ZN2at6native12_GLOBAL__N_125multi_tensor_apply_kernelINS1_18TensorListMetadataILi1EEENS1_21BinaryOpScalarFunctorIdLi1ELi1ELi0EEEJNS1_13power_functorIdEEdEEEvT_T0_DpT1_ ; -- Begin function _ZN2at6native12_GLOBAL__N_125multi_tensor_apply_kernelINS1_18TensorListMetadataILi1EEENS1_21BinaryOpScalarFunctorIdLi1ELi1ELi0EEEJNS1_13power_functorIdEEdEEEvT_T0_DpT1_
	.p2align	8
	.type	_ZN2at6native12_GLOBAL__N_125multi_tensor_apply_kernelINS1_18TensorListMetadataILi1EEENS1_21BinaryOpScalarFunctorIdLi1ELi1ELi0EEEJNS1_13power_functorIdEEdEEEvT_T0_DpT1_,@function
_ZN2at6native12_GLOBAL__N_125multi_tensor_apply_kernelINS1_18TensorListMetadataILi1EEENS1_21BinaryOpScalarFunctorIdLi1ELi1ELi0EEEJNS1_13power_functorIdEEdEEEvT_T0_DpT1_: ; @_ZN2at6native12_GLOBAL__N_125multi_tensor_apply_kernelINS1_18TensorListMetadataILi1EEENS1_21BinaryOpScalarFunctorIdLi1ELi1ELi0EEEJNS1_13power_functorIdEEdEEEvT_T0_DpT1_
; %bb.0:
	s_load_u8 s8, s[0:1], ttmp9 offset:0x6e0
	s_mov_b32 s2, ttmp9
	s_mov_b32 s3, 0
	s_delay_alu instid0(SALU_CYCLE_1)
	s_mul_u64 s[4:5], s[2:3], 3
	s_add_nc_u64 s[6:7], s[0:1], s[2:3]
	s_mov_b32 s13, s3
	s_add_nc_u64 s[4:5], s[6:7], s[4:5]
	s_load_b32 s4, s[4:5], 0x820
	s_wait_kmcnt 0x0
	s_lshl_b32 s2, s8, 3
	s_clause 0x2
	s_load_b64 s[8:9], s[0:1], s2 offset:0x0
	s_load_b64 s[6:7], s[0:1], s2 offset:0x370
	s_load_b64 s[20:21], s[0:1], 0xd30
	s_ashr_i32 s5, s4, 31
	s_delay_alu instid0(SALU_CYCLE_1) | instskip(SKIP_4) | instid1(SALU_CYCLE_1)
	s_lshl_b64 s[10:11], s[4:5], 19
	s_lshl_b64 s[4:5], s[4:5], 16
	s_wait_kmcnt 0x0
	s_and_b32 s2, s8, 31
	s_and_b32 s12, s6, 3
	s_or_b64 s[2:3], s[2:3], s[12:13]
	s_sub_nc_u64 s[12:13], s[6:7], s[4:5]
	s_cmp_eq_u64 s[2:3], 0
	s_cbranch_scc1 .LBB53_21
; %bb.1:
	v_cmp_lt_i64_e64 s2, s[12:13], 1
	s_and_b32 vcc_lo, exec_lo, s2
	s_cbranch_vccnz .LBB53_20
; %bb.2:
	s_load_b32 s2, s[0:1], 0xd44
	v_cmp_gt_i64_e64 s6, 0x10000, s[12:13]
	s_mov_b32 s3, 0
	v_cmp_gt_u64_e64 s7, 0x10000, s[12:13]
	s_mov_b32 s15, s3
	v_lshlrev_b32_e32 v1, 3, v0
	s_add_nc_u64 s[4:5], s[8:9], s[10:11]
	s_and_b32 s6, s6, exec_lo
	s_cselect_b32 s17, s13, 0
	s_cselect_b32 s16, s12, 0x10000
	v_add_co_u32 v1, s14, s4, v1
	s_delay_alu instid0(VALU_DEP_1)
	v_add_co_ci_u32_e64 v2, null, s5, 0, s14
	s_mov_b32 s26, 0x55555555
	s_mov_b32 s28, 0xfefa39ef
	;; [unrolled: 1-line block ×6, first 2 shown]
	s_wait_kmcnt 0x0
	s_and_b32 s2, s2, 0xffff
	s_and_b32 s6, s7, exec_lo
	s_mul_u64 s[22:23], s[2:3], 24
	v_add_co_u32 v13, s3, v0, s2
	s_cselect_b32 s19, s13, 0
	s_cselect_b32 s18, s12, 0x10000
	s_lshl_b32 s6, s2, 1
	v_lshlrev_b32_e32 v3, 3, v13
	s_mul_i32 s7, s2, 3
	s_lshl_b32 s14, s2, 2
	s_lshl_b32 s33, s2, 5
	s_lshl_b32 s82, s2, 4
	v_add_co_u32 v17, s2, s6, v0
	v_add_co_u32 v14, s7, s7, v0
	s_wait_alu 0xf1ff
	v_add_co_ci_u32_e64 v18, null, 0, 0, s2
	v_add_co_u32 v3, s2, s4, v3
	v_add_co_ci_u32_e64 v15, null, 0, 0, s7
	v_add_co_ci_u32_e64 v16, null, 0, 0, s3
	s_wait_alu 0xf1ff
	v_add_co_ci_u32_e64 v4, null, s5, 0, s2
	s_mov_b32 s40, 0x47e6c9c2
	s_mov_b32 s42, 0xcfa74449
	;; [unrolled: 1-line block ×18, first 2 shown]
	s_mov_b64 s[24:25], 0
	s_mov_b32 s27, 0x3fe55555
	s_mov_b32 s29, 0x3fe62e42
	;; [unrolled: 1-line block ×27, first 2 shown]
	s_branch .LBB53_4
.LBB53_3:                               ;   in Loop: Header=BB53_4 Depth=1
	s_wait_alu 0xfffe
	s_or_b32 exec_lo, exec_lo, s6
	s_add_nc_u64 s[24:25], s[24:25], s[14:15]
	v_add_co_u32 v1, vcc_lo, v1, s33
	s_wait_alu 0xfffe
	v_cmp_lt_i64_e64 s2, s[24:25], s[16:17]
	s_wait_alu 0xfffd
	v_add_co_ci_u32_e64 v2, null, 0, v2, vcc_lo
	v_add_co_u32 v3, vcc_lo, v3, s33
	s_wait_alu 0xfffd
	v_add_co_ci_u32_e64 v4, null, 0, v4, vcc_lo
	s_and_b32 vcc_lo, exec_lo, s2
	s_wait_alu 0xfffe
	s_cbranch_vccz .LBB53_20
.LBB53_4:                               ; =>This Inner Loop Header: Depth=1
	s_wait_loadcnt 0x0
	v_add_co_u32 v5, s2, v0, s24
	s_wait_alu 0xf1ff
	v_add_co_ci_u32_e64 v6, null, 0, s25, s2
	v_mov_b32_e32 v9, 0
	v_dual_mov_b32 v10, 0 :: v_dual_mov_b32 v11, 0
	s_delay_alu instid0(VALU_DEP_3)
	v_cmp_gt_u64_e64 s4, s[18:19], v[5:6]
	v_mov_b32_e32 v12, 0
	s_and_saveexec_b32 s2, s4
	s_cbranch_execz .LBB53_6
; %bb.5:                                ;   in Loop: Header=BB53_4 Depth=1
	global_load_b64 v[11:12], v[1:2], off
.LBB53_6:                               ;   in Loop: Header=BB53_4 Depth=1
	s_wait_alu 0xfffe
	s_or_b32 exec_lo, exec_lo, s2
	v_add_co_u32 v5, vcc_lo, v13, s24
	s_wait_alu 0xfffd
	v_add_co_ci_u32_e64 v6, null, s25, v16, vcc_lo
	s_delay_alu instid0(VALU_DEP_1)
	v_cmp_gt_u64_e64 s3, s[18:19], v[5:6]
	s_and_saveexec_b32 s2, s3
	s_cbranch_execz .LBB53_8
; %bb.7:                                ;   in Loop: Header=BB53_4 Depth=1
	global_load_b64 v[9:10], v[3:4], off
.LBB53_8:                               ;   in Loop: Header=BB53_4 Depth=1
	s_wait_alu 0xfffe
	s_or_b32 exec_lo, exec_lo, s2
	v_add_co_u32 v7, vcc_lo, v17, s24
	s_wait_alu 0xfffd
	v_add_co_ci_u32_e64 v8, null, s25, v18, vcc_lo
	v_mov_b32_e32 v5, 0
	v_mov_b32_e32 v6, 0
	s_delay_alu instid0(VALU_DEP_3)
	v_cmp_gt_u64_e64 s2, s[18:19], v[7:8]
	v_mov_b32_e32 v7, 0
	v_mov_b32_e32 v8, 0
	s_and_saveexec_b32 s5, s2
	s_cbranch_execz .LBB53_10
; %bb.9:                                ;   in Loop: Header=BB53_4 Depth=1
	v_add_co_u32 v7, vcc_lo, v1, s82
	s_wait_alu 0xfffd
	v_add_co_ci_u32_e64 v8, null, 0, v2, vcc_lo
	global_load_b64 v[7:8], v[7:8], off
.LBB53_10:                              ;   in Loop: Header=BB53_4 Depth=1
	s_wait_alu 0xfffe
	s_or_b32 exec_lo, exec_lo, s5
	v_add_co_u32 v19, vcc_lo, v14, s24
	s_wait_alu 0xfffd
	v_add_co_ci_u32_e64 v20, null, s25, v15, vcc_lo
	s_delay_alu instid0(VALU_DEP_1)
	v_cmp_gt_u64_e32 vcc_lo, s[18:19], v[19:20]
	s_and_saveexec_b32 s6, vcc_lo
	s_cbranch_execnz .LBB53_15
; %bb.11:                               ;   in Loop: Header=BB53_4 Depth=1
	s_wait_alu 0xfffe
	s_or_b32 exec_lo, exec_lo, s6
	s_and_saveexec_b32 s83, s4
	s_cbranch_execnz .LBB53_16
.LBB53_12:                              ;   in Loop: Header=BB53_4 Depth=1
	s_wait_alu 0xfffe
	s_or_b32 exec_lo, exec_lo, s83
	s_and_saveexec_b32 s83, s3
	s_cbranch_execnz .LBB53_17
.LBB53_13:                              ;   in Loop: Header=BB53_4 Depth=1
	s_wait_alu 0xfffe
	s_or_b32 exec_lo, exec_lo, s83
	s_and_saveexec_b32 s7, s2
	s_cbranch_execnz .LBB53_18
.LBB53_14:                              ;   in Loop: Header=BB53_4 Depth=1
	s_wait_alu 0xfffe
	s_or_b32 exec_lo, exec_lo, s7
	s_and_saveexec_b32 s6, vcc_lo
	s_cbranch_execz .LBB53_3
	s_branch .LBB53_19
.LBB53_15:                              ;   in Loop: Header=BB53_4 Depth=1
	v_add_co_u32 v5, s5, v1, s22
	s_wait_alu 0xf1ff
	v_add_co_ci_u32_e64 v6, null, s23, v2, s5
	global_load_b64 v[5:6], v[5:6], off
	s_wait_alu 0xfffe
	s_or_b32 exec_lo, exec_lo, s6
	s_and_saveexec_b32 s83, s4
	s_cbranch_execz .LBB53_12
.LBB53_16:                              ;   in Loop: Header=BB53_4 Depth=1
	s_wait_loadcnt 0x0
	v_cmp_neq_f64_e64 s4, 1.0, v[11:12]
	v_mov_b32_e32 v19, s21
	s_mov_b32 s54, s26
	s_mov_b32 s58, s28
	;; [unrolled: 1-line block ×3, first 2 shown]
	s_delay_alu instid0(VALU_DEP_1) | instskip(SKIP_1) | instid1(VALU_DEP_1)
	v_cndmask_b32_e64 v20, 0x3ff00000, v19, s4
	v_cndmask_b32_e64 v19, 0, s20, s4
	v_cmp_neq_f64_e64 s4, 0, v[19:20]
	v_cmp_neq_f64_e64 s7, v[19:20], |v[19:20]|
	s_wait_alu 0xf1ff
	s_delay_alu instid0(VALU_DEP_2) | instskip(SKIP_1) | instid1(VALU_DEP_1)
	v_cndmask_b32_e64 v12, 0x3ff00000, v12, s4
	v_cndmask_b32_e64 v11, 0, v11, s4
	v_frexp_mant_f64_e64 v[21:22], |v[11:12]|
	v_frexp_exp_i32_f64_e32 v23, v[11:12]
	s_delay_alu instid0(VALU_DEP_2) | instskip(SKIP_1) | instid1(VALU_DEP_1)
	v_cmp_gt_f64_e64 s4, s[26:27], v[21:22]
	s_wait_alu 0xf1ff
	v_subrev_co_ci_u32_e64 v41, null, 0, v23, s4
	v_cndmask_b32_e64 v23, 0, 1, s4
	s_delay_alu instid0(VALU_DEP_1) | instskip(NEXT) | instid1(VALU_DEP_1)
	v_ldexp_f64 v[21:22], v[21:22], v23
	v_add_f64_e32 v[23:24], 1.0, v[21:22]
	v_add_f64_e32 v[29:30], -1.0, v[21:22]
	s_delay_alu instid0(VALU_DEP_2) | instskip(SKIP_1) | instid1(VALU_DEP_1)
	v_rcp_f64_e32 v[25:26], v[23:24]
	v_add_f64_e32 v[31:32], -1.0, v[23:24]
	v_add_f64_e64 v[21:22], v[21:22], -v[31:32]
	s_delay_alu instid0(TRANS32_DEP_1) | instskip(NEXT) | instid1(VALU_DEP_1)
	v_fma_f64 v[27:28], -v[23:24], v[25:26], 1.0
	v_fma_f64 v[25:26], v[27:28], v[25:26], v[25:26]
	s_delay_alu instid0(VALU_DEP_1) | instskip(NEXT) | instid1(VALU_DEP_1)
	v_fma_f64 v[27:28], -v[23:24], v[25:26], 1.0
	v_fma_f64 v[25:26], v[27:28], v[25:26], v[25:26]
	s_delay_alu instid0(VALU_DEP_1) | instskip(NEXT) | instid1(VALU_DEP_1)
	v_mul_f64_e32 v[27:28], v[29:30], v[25:26]
	v_mul_f64_e32 v[33:34], v[23:24], v[27:28]
	s_delay_alu instid0(VALU_DEP_1) | instskip(NEXT) | instid1(VALU_DEP_1)
	v_fma_f64 v[23:24], v[27:28], v[23:24], -v[33:34]
	v_fma_f64 v[21:22], v[27:28], v[21:22], v[23:24]
	s_delay_alu instid0(VALU_DEP_1) | instskip(NEXT) | instid1(VALU_DEP_1)
	v_add_f64_e32 v[23:24], v[33:34], v[21:22]
	v_add_f64_e64 v[31:32], v[29:30], -v[23:24]
	v_add_f64_e64 v[33:34], v[23:24], -v[33:34]
	s_delay_alu instid0(VALU_DEP_2) | instskip(NEXT) | instid1(VALU_DEP_2)
	v_add_f64_e64 v[29:30], v[29:30], -v[31:32]
	v_add_f64_e64 v[21:22], v[33:34], -v[21:22]
	s_delay_alu instid0(VALU_DEP_2) | instskip(NEXT) | instid1(VALU_DEP_1)
	v_add_f64_e64 v[23:24], v[29:30], -v[23:24]
	v_add_f64_e32 v[21:22], v[21:22], v[23:24]
	s_delay_alu instid0(VALU_DEP_1) | instskip(NEXT) | instid1(VALU_DEP_1)
	v_add_f64_e32 v[21:22], v[31:32], v[21:22]
	v_mul_f64_e32 v[21:22], v[25:26], v[21:22]
	s_delay_alu instid0(VALU_DEP_1) | instskip(NEXT) | instid1(VALU_DEP_1)
	v_add_f64_e32 v[23:24], v[27:28], v[21:22]
	v_add_f64_e64 v[25:26], v[23:24], -v[27:28]
	v_mul_f64_e32 v[27:28], v[23:24], v[23:24]
	s_delay_alu instid0(VALU_DEP_2) | instskip(NEXT) | instid1(VALU_DEP_2)
	v_add_f64_e64 v[21:22], v[21:22], -v[25:26]
	v_fma_f64 v[25:26], v[23:24], v[23:24], -v[27:28]
	s_delay_alu instid0(VALU_DEP_2) | instskip(NEXT) | instid1(VALU_DEP_1)
	v_add_f64_e32 v[29:30], v[21:22], v[21:22]
	v_fma_f64 v[25:26], v[23:24], v[29:30], v[25:26]
	s_delay_alu instid0(VALU_DEP_1) | instskip(NEXT) | instid1(VALU_DEP_1)
	v_add_f64_e32 v[29:30], v[27:28], v[25:26]
	v_fma_f64 v[31:32], v[29:30], s[36:37], s[34:35]
	v_add_f64_e64 v[27:28], v[29:30], -v[27:28]
	v_mul_f64_e32 v[37:38], v[23:24], v[29:30]
	s_delay_alu instid0(VALU_DEP_3) | instskip(NEXT) | instid1(VALU_DEP_3)
	v_fma_f64 v[31:32], v[29:30], v[31:32], s[38:39]
	v_add_f64_e64 v[25:26], v[25:26], -v[27:28]
	s_delay_alu instid0(VALU_DEP_3) | instskip(NEXT) | instid1(VALU_DEP_3)
	v_fma_f64 v[39:40], v[29:30], v[23:24], -v[37:38]
	v_fma_f64 v[31:32], v[29:30], v[31:32], s[40:41]
	s_delay_alu instid0(VALU_DEP_1) | instskip(NEXT) | instid1(VALU_DEP_1)
	v_fma_f64 v[31:32], v[29:30], v[31:32], s[42:43]
	v_fma_f64 v[31:32], v[29:30], v[31:32], s[44:45]
	s_delay_alu instid0(VALU_DEP_1) | instskip(NEXT) | instid1(VALU_DEP_1)
	v_fma_f64 v[31:32], v[29:30], v[31:32], s[46:47]
	;; [unrolled: 3-line block ×3, first 2 shown]
	v_mul_f64_e32 v[33:34], v[29:30], v[31:32]
	s_delay_alu instid0(VALU_DEP_1) | instskip(SKIP_2) | instid1(VALU_DEP_3)
	v_fma_f64 v[27:28], v[29:30], v[31:32], -v[33:34]
	v_fma_f64 v[29:30], v[29:30], v[21:22], v[39:40]
	v_ldexp_f64 v[21:22], v[21:22], 1
	v_fma_f64 v[27:28], v[25:26], v[31:32], v[27:28]
	s_delay_alu instid0(VALU_DEP_3) | instskip(SKIP_1) | instid1(VALU_DEP_3)
	v_fma_f64 v[25:26], v[25:26], v[23:24], v[29:30]
	v_ldexp_f64 v[23:24], v[23:24], 1
	v_add_f64_e32 v[31:32], v[33:34], v[27:28]
	s_delay_alu instid0(VALU_DEP_1) | instskip(SKIP_1) | instid1(VALU_DEP_2)
	v_add_f64_e64 v[33:34], v[31:32], -v[33:34]
	v_add_f64_e32 v[35:36], s[26:27], v[31:32]
	v_add_f64_e64 v[27:28], v[27:28], -v[33:34]
	s_wait_alu 0xfffe
	s_delay_alu instid0(VALU_DEP_2) | instskip(SKIP_1) | instid1(VALU_DEP_3)
	v_add_f64_e32 v[33:34], s[54:55], v[35:36]
	v_cmp_lt_f64_e64 s54, |v[11:12]|, 1.0
	v_add_f64_e32 v[27:28], s[52:53], v[27:28]
	s_delay_alu instid0(VALU_DEP_3) | instskip(SKIP_2) | instid1(VALU_DEP_2)
	v_add_f64_e64 v[31:32], v[31:32], -v[33:34]
	s_xor_b32 s7, s7, s54
	v_cmp_class_f64_e64 s54, v[11:12], 0x204
	v_add_f64_e32 v[27:28], v[27:28], v[31:32]
	v_add_f64_e32 v[31:32], v[37:38], v[25:26]
	s_delay_alu instid0(VALU_DEP_2) | instskip(NEXT) | instid1(VALU_DEP_2)
	v_add_f64_e32 v[29:30], v[35:36], v[27:28]
	v_add_f64_e64 v[37:38], v[31:32], -v[37:38]
	s_delay_alu instid0(VALU_DEP_2) | instskip(SKIP_1) | instid1(VALU_DEP_3)
	v_add_f64_e64 v[33:34], v[35:36], -v[29:30]
	v_mul_f64_e32 v[35:36], v[31:32], v[29:30]
	v_add_f64_e64 v[25:26], v[25:26], -v[37:38]
	s_delay_alu instid0(VALU_DEP_3) | instskip(NEXT) | instid1(VALU_DEP_3)
	v_add_f64_e32 v[27:28], v[27:28], v[33:34]
	v_fma_f64 v[33:34], v[31:32], v[29:30], -v[35:36]
	s_delay_alu instid0(VALU_DEP_1) | instskip(NEXT) | instid1(VALU_DEP_1)
	v_fma_f64 v[27:28], v[31:32], v[27:28], v[33:34]
	v_fma_f64 v[25:26], v[25:26], v[29:30], v[27:28]
	v_cvt_f64_i32_e32 v[29:30], v41
	s_delay_alu instid0(VALU_DEP_2) | instskip(NEXT) | instid1(VALU_DEP_1)
	v_add_f64_e32 v[27:28], v[35:36], v[25:26]
	v_add_f64_e64 v[31:32], v[27:28], -v[35:36]
	v_add_f64_e32 v[33:34], v[23:24], v[27:28]
	s_delay_alu instid0(VALU_DEP_4) | instskip(NEXT) | instid1(VALU_DEP_3)
	v_mul_f64_e32 v[35:36], s[28:29], v[29:30]
	v_add_f64_e64 v[25:26], v[25:26], -v[31:32]
	s_delay_alu instid0(VALU_DEP_3) | instskip(NEXT) | instid1(VALU_DEP_3)
	v_add_f64_e64 v[23:24], v[33:34], -v[23:24]
	v_fma_f64 v[31:32], v[29:30], s[28:29], -v[35:36]
	s_delay_alu instid0(VALU_DEP_3) | instskip(NEXT) | instid1(VALU_DEP_3)
	v_add_f64_e32 v[21:22], v[21:22], v[25:26]
	v_add_f64_e64 v[23:24], v[27:28], -v[23:24]
	s_delay_alu instid0(VALU_DEP_3) | instskip(NEXT) | instid1(VALU_DEP_2)
	v_fma_f64 v[25:26], v[29:30], s[30:31], v[31:32]
	v_add_f64_e32 v[21:22], v[21:22], v[23:24]
	s_delay_alu instid0(VALU_DEP_2) | instskip(NEXT) | instid1(VALU_DEP_2)
	v_add_f64_e32 v[23:24], v[35:36], v[25:26]
	v_add_f64_e32 v[27:28], v[33:34], v[21:22]
	s_delay_alu instid0(VALU_DEP_2) | instskip(NEXT) | instid1(VALU_DEP_2)
	v_add_f64_e64 v[35:36], v[23:24], -v[35:36]
	v_add_f64_e32 v[29:30], v[23:24], v[27:28]
	v_add_f64_e64 v[33:34], v[27:28], -v[33:34]
	s_delay_alu instid0(VALU_DEP_3) | instskip(NEXT) | instid1(VALU_DEP_3)
	v_add_f64_e64 v[25:26], v[25:26], -v[35:36]
	v_add_f64_e64 v[31:32], v[29:30], -v[23:24]
	s_delay_alu instid0(VALU_DEP_3) | instskip(NEXT) | instid1(VALU_DEP_2)
	v_add_f64_e64 v[21:22], v[21:22], -v[33:34]
	v_add_f64_e64 v[37:38], v[29:30], -v[31:32]
	;; [unrolled: 1-line block ×3, first 2 shown]
	s_delay_alu instid0(VALU_DEP_3) | instskip(NEXT) | instid1(VALU_DEP_3)
	v_add_f64_e32 v[31:32], v[25:26], v[21:22]
	v_add_f64_e64 v[23:24], v[23:24], -v[37:38]
	s_delay_alu instid0(VALU_DEP_1) | instskip(NEXT) | instid1(VALU_DEP_3)
	v_add_f64_e32 v[23:24], v[27:28], v[23:24]
	v_add_f64_e64 v[27:28], v[31:32], -v[25:26]
	s_delay_alu instid0(VALU_DEP_2) | instskip(NEXT) | instid1(VALU_DEP_2)
	v_add_f64_e32 v[23:24], v[31:32], v[23:24]
	v_add_f64_e64 v[31:32], v[31:32], -v[27:28]
	v_add_f64_e64 v[21:22], v[21:22], -v[27:28]
	s_delay_alu instid0(VALU_DEP_3) | instskip(NEXT) | instid1(VALU_DEP_3)
	v_add_f64_e32 v[33:34], v[29:30], v[23:24]
	v_add_f64_e64 v[25:26], v[25:26], -v[31:32]
	s_delay_alu instid0(VALU_DEP_2) | instskip(NEXT) | instid1(VALU_DEP_2)
	v_add_f64_e64 v[27:28], v[33:34], -v[29:30]
	v_add_f64_e32 v[21:22], v[21:22], v[25:26]
	s_delay_alu instid0(VALU_DEP_2) | instskip(NEXT) | instid1(VALU_DEP_1)
	v_add_f64_e64 v[23:24], v[23:24], -v[27:28]
	v_add_f64_e32 v[21:22], v[21:22], v[23:24]
	s_delay_alu instid0(VALU_DEP_1) | instskip(NEXT) | instid1(VALU_DEP_1)
	v_add_f64_e32 v[23:24], v[33:34], v[21:22]
	v_add_f64_e64 v[25:26], v[23:24], -v[33:34]
	v_mul_f64_e32 v[27:28], v[19:20], v[23:24]
	s_delay_alu instid0(VALU_DEP_2) | instskip(NEXT) | instid1(VALU_DEP_2)
	v_add_f64_e64 v[21:22], v[21:22], -v[25:26]
	v_fma_f64 v[23:24], v[19:20], v[23:24], -v[27:28]
	v_cmp_class_f64_e64 s4, v[27:28], 0x204
	s_delay_alu instid0(VALU_DEP_2) | instskip(NEXT) | instid1(VALU_DEP_1)
	v_fma_f64 v[21:22], v[19:20], v[21:22], v[23:24]
	v_add_f64_e32 v[23:24], v[27:28], v[21:22]
	s_wait_alu 0xf1ff
	s_delay_alu instid0(VALU_DEP_1) | instskip(NEXT) | instid1(VALU_DEP_2)
	v_cndmask_b32_e64 v26, v24, v28, s4
	v_cndmask_b32_e64 v25, v23, v27, s4
	v_add_f64_e64 v[23:24], v[23:24], -v[27:28]
	s_delay_alu instid0(VALU_DEP_2)
	v_mul_f64_e32 v[29:30], s[56:57], v[25:26]
	v_cmp_nlt_f64_e64 s5, 0x40900000, v[25:26]
	v_cmp_neq_f64_e64 s4, 0x7ff00000, |v[25:26]|
	v_cmp_ngt_f64_e64 s6, 0xc090cc00, v[25:26]
	v_add_f64_e64 v[21:22], v[21:22], -v[23:24]
	v_trunc_f64_e32 v[23:24], v[19:20]
	v_rndne_f64_e32 v[29:30], v[29:30]
	s_wait_alu 0xf1ff
	s_delay_alu instid0(VALU_DEP_3) | instskip(NEXT) | instid1(VALU_DEP_4)
	v_cndmask_b32_e64 v22, 0, v22, s4
	v_cndmask_b32_e64 v21, 0, v21, s4
	s_and_b32 s4, s6, s5
	s_delay_alu instid0(VALU_DEP_3) | instskip(SKIP_1) | instid1(VALU_DEP_2)
	v_fma_f64 v[31:32], v[29:30], s[58:59], v[25:26]
	v_cvt_i32_f64_e32 v35, v[29:30]
	v_fma_f64 v[31:32], v[29:30], s[60:61], v[31:32]
	s_delay_alu instid0(VALU_DEP_1) | instskip(NEXT) | instid1(VALU_DEP_1)
	v_fma_f64 v[33:34], v[31:32], s[64:65], s[62:63]
	v_fma_f64 v[33:34], v[31:32], v[33:34], s[66:67]
	s_delay_alu instid0(VALU_DEP_1) | instskip(NEXT) | instid1(VALU_DEP_1)
	v_fma_f64 v[33:34], v[31:32], v[33:34], s[68:69]
	;; [unrolled: 3-line block ×5, first 2 shown]
	v_fma_f64 v[33:34], v[31:32], v[33:34], 1.0
	s_delay_alu instid0(VALU_DEP_1) | instskip(NEXT) | instid1(VALU_DEP_1)
	v_fma_f64 v[29:30], v[31:32], v[33:34], 1.0
	v_ldexp_f64 v[27:28], v[29:30], v35
	v_mul_f64_e32 v[29:30], 0.5, v[19:20]
	s_delay_alu instid0(VALU_DEP_2) | instskip(NEXT) | instid1(VALU_DEP_2)
	v_cndmask_b32_e64 v28, 0x7ff00000, v28, s5
	v_trunc_f64_e32 v[25:26], v[29:30]
	s_wait_alu 0xfffe
	s_delay_alu instid0(VALU_DEP_4) | instskip(SKIP_2) | instid1(VALU_DEP_1)
	v_cndmask_b32_e64 v27, 0, v27, s4
	v_cmp_eq_f64_e64 s4, v[23:24], v[19:20]
	v_cndmask_b32_e64 v28, 0, v28, s6
	v_fma_f64 v[21:22], v[27:28], v[21:22], v[27:28]
	v_cmp_class_f64_e64 s6, v[27:28], 0x204
	v_cmp_neq_f64_e64 s5, v[25:26], v[29:30]
	v_cndmask_b32_e64 v26, 0x7ff00000, 0, s7
	v_cmp_neq_f64_e64 s7, |v[11:12]|, 1.0
	s_wait_alu 0xf1ff
	s_delay_alu instid0(VALU_DEP_4) | instskip(SKIP_2) | instid1(VALU_DEP_2)
	v_cndmask_b32_e64 v22, v22, v28, s6
	v_cndmask_b32_e64 v21, v21, v27, s6
	v_cmp_eq_f64_e64 s6, 0, v[11:12]
	v_cndmask_b32_e64 v25, 0, v21, s4
	s_and_b32 s5, s4, s5
	s_wait_alu 0xfffe
	v_cndmask_b32_e64 v24, 0x3ff00000, v12, s5
	v_cndmask_b32_e64 v23, 0, v12, s5
	v_cmp_gt_f64_e64 s5, 0, v[19:20]
	v_cndmask_b32_e64 v26, 0x3ff00000, v26, s7
	s_delay_alu instid0(VALU_DEP_4) | instskip(NEXT) | instid1(VALU_DEP_1)
	v_bfi_b32 v22, 0x7fffffff, v22, v24
	v_cndmask_b32_e64 v24, 0x7ff80000, v22, s4
	v_cmp_gt_f64_e64 s4, 0, v[11:12]
	s_xor_b32 s5, s5, s6
	v_cndmask_b32_e64 v21, v21, v25, s4
	v_cndmask_b32_e64 v22, v22, v24, s4
	v_cmp_class_f64_e64 s4, v[19:20], 0x204
	s_wait_alu 0xfffe
	v_cndmask_b32_e64 v24, 0x7ff00000, 0, s5
	s_or_b32 s5, s6, s54
	s_delay_alu instid0(VALU_DEP_1)
	v_bfi_b32 v23, 0x7fffffff, v24, v23
	v_cndmask_b32_e64 v22, v22, v26, s4
	s_wait_alu 0xfffe
	s_or_b32 s4, s5, s4
	s_wait_alu 0xfffe
	v_cndmask_b32_e64 v21, v21, 0, s4
	v_cmp_o_f64_e64 s4, v[11:12], v[19:20]
	v_cndmask_b32_e64 v22, v22, v23, s5
	s_wait_alu 0xf1ff
	s_delay_alu instid0(VALU_DEP_2) | instskip(NEXT) | instid1(VALU_DEP_2)
	v_cndmask_b32_e64 v11, 0, v21, s4
	v_cndmask_b32_e64 v12, 0x7ff80000, v22, s4
	global_store_b64 v[1:2], v[11:12], off
	s_or_b32 exec_lo, exec_lo, s83
	s_and_saveexec_b32 s83, s3
	s_cbranch_execz .LBB53_13
.LBB53_17:                              ;   in Loop: Header=BB53_4 Depth=1
	s_wait_loadcnt 0x0
	v_cmp_neq_f64_e64 s3, 1.0, v[9:10]
	v_mov_b32_e32 v11, s21
	s_mov_b32 s54, s26
	s_mov_b32 s58, s28
	s_mov_b32 s60, s30
	s_delay_alu instid0(VALU_DEP_1) | instskip(SKIP_1) | instid1(VALU_DEP_1)
	v_cndmask_b32_e64 v12, 0x3ff00000, v11, s3
	v_cndmask_b32_e64 v11, 0, s20, s3
	v_cmp_neq_f64_e64 s3, 0, v[11:12]
	v_cmp_neq_f64_e64 s7, v[11:12], |v[11:12]|
	s_wait_alu 0xf1ff
	s_delay_alu instid0(VALU_DEP_2) | instskip(SKIP_1) | instid1(VALU_DEP_1)
	v_cndmask_b32_e64 v10, 0x3ff00000, v10, s3
	v_cndmask_b32_e64 v9, 0, v9, s3
	v_frexp_mant_f64_e64 v[19:20], |v[9:10]|
	v_cmp_eq_f64_e64 s6, 0, v[9:10]
	s_delay_alu instid0(VALU_DEP_2) | instskip(SKIP_1) | instid1(VALU_DEP_1)
	v_cmp_gt_f64_e64 s3, s[26:27], v[19:20]
	s_wait_alu 0xf1ff
	v_cndmask_b32_e64 v21, 0, 1, s3
	s_delay_alu instid0(VALU_DEP_1) | instskip(NEXT) | instid1(VALU_DEP_1)
	v_ldexp_f64 v[19:20], v[19:20], v21
	v_add_f64_e32 v[21:22], 1.0, v[19:20]
	v_add_f64_e32 v[27:28], -1.0, v[19:20]
	s_delay_alu instid0(VALU_DEP_2) | instskip(SKIP_1) | instid1(VALU_DEP_1)
	v_rcp_f64_e32 v[23:24], v[21:22]
	v_add_f64_e32 v[29:30], -1.0, v[21:22]
	v_add_f64_e64 v[19:20], v[19:20], -v[29:30]
	s_delay_alu instid0(TRANS32_DEP_1) | instskip(NEXT) | instid1(VALU_DEP_1)
	v_fma_f64 v[25:26], -v[21:22], v[23:24], 1.0
	v_fma_f64 v[23:24], v[25:26], v[23:24], v[23:24]
	s_delay_alu instid0(VALU_DEP_1) | instskip(NEXT) | instid1(VALU_DEP_1)
	v_fma_f64 v[25:26], -v[21:22], v[23:24], 1.0
	v_fma_f64 v[23:24], v[25:26], v[23:24], v[23:24]
	s_delay_alu instid0(VALU_DEP_1) | instskip(NEXT) | instid1(VALU_DEP_1)
	v_mul_f64_e32 v[25:26], v[27:28], v[23:24]
	v_mul_f64_e32 v[31:32], v[21:22], v[25:26]
	s_delay_alu instid0(VALU_DEP_1) | instskip(NEXT) | instid1(VALU_DEP_1)
	v_fma_f64 v[21:22], v[25:26], v[21:22], -v[31:32]
	v_fma_f64 v[19:20], v[25:26], v[19:20], v[21:22]
	s_delay_alu instid0(VALU_DEP_1) | instskip(NEXT) | instid1(VALU_DEP_1)
	v_add_f64_e32 v[21:22], v[31:32], v[19:20]
	v_add_f64_e64 v[29:30], v[27:28], -v[21:22]
	v_add_f64_e64 v[31:32], v[21:22], -v[31:32]
	s_delay_alu instid0(VALU_DEP_2) | instskip(NEXT) | instid1(VALU_DEP_2)
	v_add_f64_e64 v[27:28], v[27:28], -v[29:30]
	v_add_f64_e64 v[19:20], v[31:32], -v[19:20]
	s_delay_alu instid0(VALU_DEP_2) | instskip(NEXT) | instid1(VALU_DEP_1)
	v_add_f64_e64 v[21:22], v[27:28], -v[21:22]
	v_add_f64_e32 v[19:20], v[19:20], v[21:22]
	s_delay_alu instid0(VALU_DEP_1) | instskip(NEXT) | instid1(VALU_DEP_1)
	v_add_f64_e32 v[19:20], v[29:30], v[19:20]
	v_mul_f64_e32 v[19:20], v[23:24], v[19:20]
	s_delay_alu instid0(VALU_DEP_1) | instskip(NEXT) | instid1(VALU_DEP_1)
	v_add_f64_e32 v[21:22], v[25:26], v[19:20]
	v_add_f64_e64 v[23:24], v[21:22], -v[25:26]
	v_mul_f64_e32 v[25:26], v[21:22], v[21:22]
	s_delay_alu instid0(VALU_DEP_2) | instskip(NEXT) | instid1(VALU_DEP_2)
	v_add_f64_e64 v[19:20], v[19:20], -v[23:24]
	v_fma_f64 v[23:24], v[21:22], v[21:22], -v[25:26]
	s_delay_alu instid0(VALU_DEP_2) | instskip(NEXT) | instid1(VALU_DEP_1)
	v_add_f64_e32 v[27:28], v[19:20], v[19:20]
	v_fma_f64 v[23:24], v[21:22], v[27:28], v[23:24]
	s_delay_alu instid0(VALU_DEP_1) | instskip(NEXT) | instid1(VALU_DEP_1)
	v_add_f64_e32 v[27:28], v[25:26], v[23:24]
	v_fma_f64 v[29:30], v[27:28], s[36:37], s[34:35]
	v_add_f64_e64 v[25:26], v[27:28], -v[25:26]
	v_mul_f64_e32 v[35:36], v[21:22], v[27:28]
	s_delay_alu instid0(VALU_DEP_3) | instskip(NEXT) | instid1(VALU_DEP_3)
	v_fma_f64 v[29:30], v[27:28], v[29:30], s[38:39]
	v_add_f64_e64 v[23:24], v[23:24], -v[25:26]
	s_delay_alu instid0(VALU_DEP_2) | instskip(NEXT) | instid1(VALU_DEP_1)
	v_fma_f64 v[29:30], v[27:28], v[29:30], s[40:41]
	v_fma_f64 v[29:30], v[27:28], v[29:30], s[42:43]
	s_delay_alu instid0(VALU_DEP_1) | instskip(NEXT) | instid1(VALU_DEP_1)
	v_fma_f64 v[29:30], v[27:28], v[29:30], s[44:45]
	v_fma_f64 v[29:30], v[27:28], v[29:30], s[46:47]
	s_delay_alu instid0(VALU_DEP_1) | instskip(NEXT) | instid1(VALU_DEP_1)
	;; [unrolled: 3-line block ×3, first 2 shown]
	v_mul_f64_e32 v[31:32], v[27:28], v[29:30]
	v_fma_f64 v[25:26], v[27:28], v[29:30], -v[31:32]
	s_delay_alu instid0(VALU_DEP_1) | instskip(NEXT) | instid1(VALU_DEP_1)
	v_fma_f64 v[25:26], v[23:24], v[29:30], v[25:26]
	v_add_f64_e32 v[29:30], v[31:32], v[25:26]
	s_delay_alu instid0(VALU_DEP_1) | instskip(SKIP_2) | instid1(VALU_DEP_2)
	v_add_f64_e32 v[33:34], s[26:27], v[29:30]
	v_add_f64_e64 v[31:32], v[29:30], -v[31:32]
	s_wait_alu 0xfffe
	v_add_f64_e32 v[37:38], s[54:55], v[33:34]
	s_delay_alu instid0(VALU_DEP_2) | instskip(SKIP_2) | instid1(VALU_DEP_4)
	v_add_f64_e64 v[25:26], v[25:26], -v[31:32]
	v_fma_f64 v[31:32], v[27:28], v[21:22], -v[35:36]
	v_cmp_lt_f64_e64 s54, |v[9:10]|, 1.0
	v_add_f64_e64 v[29:30], v[29:30], -v[37:38]
	s_delay_alu instid0(VALU_DEP_4) | instskip(NEXT) | instid1(VALU_DEP_4)
	v_add_f64_e32 v[25:26], s[52:53], v[25:26]
	v_fma_f64 v[27:28], v[27:28], v[19:20], v[31:32]
	v_ldexp_f64 v[19:20], v[19:20], 1
	s_xor_b32 s7, s7, s54
	v_cmp_class_f64_e64 s54, v[9:10], 0x204
	s_delay_alu instid0(VALU_DEP_4) | instskip(NEXT) | instid1(VALU_DEP_4)
	v_add_f64_e32 v[25:26], v[25:26], v[29:30]
	v_fma_f64 v[23:24], v[23:24], v[21:22], v[27:28]
	v_ldexp_f64 v[21:22], v[21:22], 1
	s_delay_alu instid0(VALU_DEP_3) | instskip(NEXT) | instid1(VALU_DEP_3)
	v_add_f64_e32 v[27:28], v[33:34], v[25:26]
	v_add_f64_e32 v[29:30], v[35:36], v[23:24]
	s_delay_alu instid0(VALU_DEP_2) | instskip(NEXT) | instid1(VALU_DEP_2)
	v_add_f64_e64 v[31:32], v[33:34], -v[27:28]
	v_mul_f64_e32 v[33:34], v[29:30], v[27:28]
	v_add_f64_e64 v[35:36], v[29:30], -v[35:36]
	s_delay_alu instid0(VALU_DEP_3) | instskip(NEXT) | instid1(VALU_DEP_3)
	v_add_f64_e32 v[25:26], v[25:26], v[31:32]
	v_fma_f64 v[31:32], v[29:30], v[27:28], -v[33:34]
	s_delay_alu instid0(VALU_DEP_3) | instskip(NEXT) | instid1(VALU_DEP_2)
	v_add_f64_e64 v[23:24], v[23:24], -v[35:36]
	v_fma_f64 v[25:26], v[29:30], v[25:26], v[31:32]
	s_delay_alu instid0(VALU_DEP_1) | instskip(SKIP_1) | instid1(VALU_DEP_2)
	v_fma_f64 v[23:24], v[23:24], v[27:28], v[25:26]
	v_frexp_exp_i32_f64_e32 v27, v[9:10]
	v_add_f64_e32 v[25:26], v[33:34], v[23:24]
	s_delay_alu instid0(VALU_DEP_2) | instskip(NEXT) | instid1(VALU_DEP_1)
	v_subrev_co_ci_u32_e64 v27, null, 0, v27, s3
	v_cvt_f64_i32_e32 v[27:28], v27
	s_delay_alu instid0(VALU_DEP_3) | instskip(SKIP_1) | instid1(VALU_DEP_3)
	v_add_f64_e32 v[29:30], v[21:22], v[25:26]
	v_add_f64_e64 v[31:32], v[25:26], -v[33:34]
	v_mul_f64_e32 v[33:34], s[28:29], v[27:28]
	s_delay_alu instid0(VALU_DEP_3) | instskip(NEXT) | instid1(VALU_DEP_3)
	v_add_f64_e64 v[21:22], v[29:30], -v[21:22]
	v_add_f64_e64 v[23:24], v[23:24], -v[31:32]
	s_delay_alu instid0(VALU_DEP_3) | instskip(NEXT) | instid1(VALU_DEP_3)
	v_fma_f64 v[31:32], v[27:28], s[28:29], -v[33:34]
	v_add_f64_e64 v[21:22], v[25:26], -v[21:22]
	s_delay_alu instid0(VALU_DEP_3) | instskip(NEXT) | instid1(VALU_DEP_3)
	v_add_f64_e32 v[19:20], v[19:20], v[23:24]
	v_fma_f64 v[23:24], v[27:28], s[30:31], v[31:32]
	s_delay_alu instid0(VALU_DEP_2) | instskip(NEXT) | instid1(VALU_DEP_2)
	v_add_f64_e32 v[19:20], v[19:20], v[21:22]
	v_add_f64_e32 v[21:22], v[33:34], v[23:24]
	s_delay_alu instid0(VALU_DEP_2) | instskip(NEXT) | instid1(VALU_DEP_2)
	v_add_f64_e32 v[25:26], v[29:30], v[19:20]
	v_add_f64_e64 v[33:34], v[21:22], -v[33:34]
	s_delay_alu instid0(VALU_DEP_2) | instskip(SKIP_1) | instid1(VALU_DEP_3)
	v_add_f64_e32 v[27:28], v[21:22], v[25:26]
	v_add_f64_e64 v[29:30], v[25:26], -v[29:30]
	v_add_f64_e64 v[23:24], v[23:24], -v[33:34]
	s_delay_alu instid0(VALU_DEP_3) | instskip(NEXT) | instid1(VALU_DEP_3)
	v_add_f64_e64 v[31:32], v[27:28], -v[21:22]
	v_add_f64_e64 v[19:20], v[19:20], -v[29:30]
	s_delay_alu instid0(VALU_DEP_2) | instskip(SKIP_1) | instid1(VALU_DEP_3)
	v_add_f64_e64 v[35:36], v[27:28], -v[31:32]
	v_add_f64_e64 v[25:26], v[25:26], -v[31:32]
	v_add_f64_e32 v[29:30], v[23:24], v[19:20]
	s_delay_alu instid0(VALU_DEP_3) | instskip(NEXT) | instid1(VALU_DEP_1)
	v_add_f64_e64 v[21:22], v[21:22], -v[35:36]
	v_add_f64_e32 v[21:22], v[25:26], v[21:22]
	s_delay_alu instid0(VALU_DEP_3) | instskip(NEXT) | instid1(VALU_DEP_2)
	v_add_f64_e64 v[25:26], v[29:30], -v[23:24]
	v_add_f64_e32 v[21:22], v[29:30], v[21:22]
	s_delay_alu instid0(VALU_DEP_2) | instskip(SKIP_1) | instid1(VALU_DEP_3)
	v_add_f64_e64 v[29:30], v[29:30], -v[25:26]
	v_add_f64_e64 v[19:20], v[19:20], -v[25:26]
	v_add_f64_e32 v[31:32], v[27:28], v[21:22]
	s_delay_alu instid0(VALU_DEP_3) | instskip(NEXT) | instid1(VALU_DEP_2)
	v_add_f64_e64 v[23:24], v[23:24], -v[29:30]
	v_add_f64_e64 v[25:26], v[31:32], -v[27:28]
	s_delay_alu instid0(VALU_DEP_2) | instskip(NEXT) | instid1(VALU_DEP_2)
	v_add_f64_e32 v[19:20], v[19:20], v[23:24]
	v_add_f64_e64 v[21:22], v[21:22], -v[25:26]
	s_delay_alu instid0(VALU_DEP_1) | instskip(NEXT) | instid1(VALU_DEP_1)
	v_add_f64_e32 v[19:20], v[19:20], v[21:22]
	v_add_f64_e32 v[21:22], v[31:32], v[19:20]
	s_delay_alu instid0(VALU_DEP_1) | instskip(SKIP_1) | instid1(VALU_DEP_2)
	v_add_f64_e64 v[23:24], v[21:22], -v[31:32]
	v_mul_f64_e32 v[25:26], v[11:12], v[21:22]
	v_add_f64_e64 v[19:20], v[19:20], -v[23:24]
	s_delay_alu instid0(VALU_DEP_2) | instskip(SKIP_1) | instid1(VALU_DEP_2)
	v_fma_f64 v[21:22], v[11:12], v[21:22], -v[25:26]
	v_cmp_class_f64_e64 s3, v[25:26], 0x204
	v_fma_f64 v[19:20], v[11:12], v[19:20], v[21:22]
	s_delay_alu instid0(VALU_DEP_1) | instskip(SKIP_1) | instid1(VALU_DEP_1)
	v_add_f64_e32 v[21:22], v[25:26], v[19:20]
	s_wait_alu 0xf1ff
	v_cndmask_b32_e64 v24, v22, v26, s3
	s_delay_alu instid0(VALU_DEP_2) | instskip(SKIP_1) | instid1(VALU_DEP_2)
	v_cndmask_b32_e64 v23, v21, v25, s3
	v_add_f64_e64 v[21:22], v[21:22], -v[25:26]
	v_mul_f64_e32 v[27:28], s[56:57], v[23:24]
	v_cmp_nlt_f64_e64 s4, 0x40900000, v[23:24]
	v_cmp_neq_f64_e64 s3, 0x7ff00000, |v[23:24]|
	v_cmp_ngt_f64_e64 s5, 0xc090cc00, v[23:24]
	v_add_f64_e64 v[19:20], v[19:20], -v[21:22]
	v_trunc_f64_e32 v[21:22], v[11:12]
	v_rndne_f64_e32 v[27:28], v[27:28]
	s_wait_alu 0xf1ff
	s_delay_alu instid0(VALU_DEP_3) | instskip(NEXT) | instid1(VALU_DEP_4)
	v_cndmask_b32_e64 v20, 0, v20, s3
	v_cndmask_b32_e64 v19, 0, v19, s3
	s_and_b32 s3, s5, s4
	s_delay_alu instid0(VALU_DEP_3) | instskip(SKIP_1) | instid1(VALU_DEP_2)
	v_fma_f64 v[29:30], v[27:28], s[58:59], v[23:24]
	v_cvt_i32_f64_e32 v33, v[27:28]
	v_fma_f64 v[29:30], v[27:28], s[60:61], v[29:30]
	s_delay_alu instid0(VALU_DEP_1) | instskip(NEXT) | instid1(VALU_DEP_1)
	v_fma_f64 v[31:32], v[29:30], s[64:65], s[62:63]
	v_fma_f64 v[31:32], v[29:30], v[31:32], s[66:67]
	s_delay_alu instid0(VALU_DEP_1) | instskip(NEXT) | instid1(VALU_DEP_1)
	v_fma_f64 v[31:32], v[29:30], v[31:32], s[68:69]
	;; [unrolled: 3-line block ×5, first 2 shown]
	v_fma_f64 v[31:32], v[29:30], v[31:32], 1.0
	s_delay_alu instid0(VALU_DEP_1) | instskip(NEXT) | instid1(VALU_DEP_1)
	v_fma_f64 v[27:28], v[29:30], v[31:32], 1.0
	v_ldexp_f64 v[25:26], v[27:28], v33
	v_mul_f64_e32 v[27:28], 0.5, v[11:12]
	s_delay_alu instid0(VALU_DEP_2) | instskip(NEXT) | instid1(VALU_DEP_2)
	v_cndmask_b32_e64 v26, 0x7ff00000, v26, s4
	v_trunc_f64_e32 v[23:24], v[27:28]
	s_wait_alu 0xfffe
	s_delay_alu instid0(VALU_DEP_4) | instskip(SKIP_2) | instid1(VALU_DEP_1)
	v_cndmask_b32_e64 v25, 0, v25, s3
	v_cmp_eq_f64_e64 s3, v[21:22], v[11:12]
	v_cndmask_b32_e64 v26, 0, v26, s5
	v_fma_f64 v[19:20], v[25:26], v[19:20], v[25:26]
	v_cmp_class_f64_e64 s5, v[25:26], 0x204
	v_cmp_neq_f64_e64 s4, v[23:24], v[27:28]
	v_cndmask_b32_e64 v23, 0x7ff00000, 0, s7
	v_cmp_neq_f64_e64 s7, |v[9:10]|, 1.0
	s_wait_alu 0xf1ff
	s_delay_alu instid0(VALU_DEP_4) | instskip(SKIP_2) | instid1(VALU_DEP_2)
	v_cndmask_b32_e64 v20, v20, v26, s5
	v_cndmask_b32_e64 v19, v19, v25, s5
	v_cmp_gt_f64_e64 s5, 0, v[11:12]
	v_cndmask_b32_e64 v22, 0, v19, s3
	s_and_b32 s4, s3, s4
	s_wait_alu 0xfffe
	v_cndmask_b32_e64 v21, 0x3ff00000, v10, s4
	v_cndmask_b32_e64 v23, 0x3ff00000, v23, s7
	s_delay_alu instid0(VALU_DEP_2) | instskip(NEXT) | instid1(VALU_DEP_1)
	v_bfi_b32 v20, 0x7fffffff, v20, v21
	v_cndmask_b32_e64 v21, 0x7ff80000, v20, s3
	v_cmp_gt_f64_e64 s3, 0, v[9:10]
	s_xor_b32 s5, s5, s6
	v_cndmask_b32_e64 v19, v19, v22, s3
	v_cndmask_b32_e64 v20, v20, v21, s3
	v_cmp_class_f64_e64 s3, v[11:12], 0x204
	v_cndmask_b32_e64 v22, 0, v10, s4
	s_or_b32 s4, s6, s54
	s_wait_alu 0xfffe
	v_cndmask_b32_e64 v21, 0x7ff00000, 0, s5
	s_delay_alu instid0(VALU_DEP_1)
	v_bfi_b32 v21, 0x7fffffff, v21, v22
	v_cndmask_b32_e64 v20, v20, v23, s3
	s_or_b32 s3, s4, s3
	s_wait_alu 0xfffe
	v_cndmask_b32_e64 v19, v19, 0, s3
	v_cmp_o_f64_e64 s3, v[9:10], v[11:12]
	v_cndmask_b32_e64 v20, v20, v21, s4
	s_wait_alu 0xf1ff
	s_delay_alu instid0(VALU_DEP_2) | instskip(NEXT) | instid1(VALU_DEP_2)
	v_cndmask_b32_e64 v9, 0, v19, s3
	v_cndmask_b32_e64 v10, 0x7ff80000, v20, s3
	global_store_b64 v[3:4], v[9:10], off
	s_or_b32 exec_lo, exec_lo, s83
	s_and_saveexec_b32 s7, s2
	s_cbranch_execz .LBB53_14
.LBB53_18:                              ;   in Loop: Header=BB53_4 Depth=1
	s_wait_loadcnt 0x0
	v_cmp_neq_f64_e64 s2, 1.0, v[7:8]
	v_mov_b32_e32 v9, s21
	s_mov_b32 s54, s26
	s_mov_b32 s58, s28
	s_mov_b32 s60, s30
	s_delay_alu instid0(VALU_DEP_1) | instskip(SKIP_1) | instid1(VALU_DEP_1)
	v_cndmask_b32_e64 v10, 0x3ff00000, v9, s2
	v_cndmask_b32_e64 v9, 0, s20, s2
	v_cmp_neq_f64_e64 s2, 0, v[9:10]
	v_cmp_neq_f64_e64 s6, v[9:10], |v[9:10]|
	s_wait_alu 0xf1ff
	s_delay_alu instid0(VALU_DEP_2) | instskip(SKIP_1) | instid1(VALU_DEP_1)
	v_cndmask_b32_e64 v8, 0x3ff00000, v8, s2
	v_cndmask_b32_e64 v7, 0, v7, s2
	v_frexp_mant_f64_e64 v[11:12], |v[7:8]|
	v_cmp_eq_f64_e64 s5, 0, v[7:8]
	s_delay_alu instid0(VALU_DEP_2) | instskip(SKIP_1) | instid1(VALU_DEP_1)
	v_cmp_gt_f64_e64 s2, s[26:27], v[11:12]
	s_wait_alu 0xf1ff
	v_cndmask_b32_e64 v19, 0, 1, s2
	s_delay_alu instid0(VALU_DEP_1) | instskip(NEXT) | instid1(VALU_DEP_1)
	v_ldexp_f64 v[11:12], v[11:12], v19
	v_add_f64_e32 v[19:20], 1.0, v[11:12]
	v_add_f64_e32 v[25:26], -1.0, v[11:12]
	s_delay_alu instid0(VALU_DEP_2) | instskip(SKIP_1) | instid1(VALU_DEP_1)
	v_rcp_f64_e32 v[21:22], v[19:20]
	v_add_f64_e32 v[27:28], -1.0, v[19:20]
	v_add_f64_e64 v[11:12], v[11:12], -v[27:28]
	s_delay_alu instid0(TRANS32_DEP_1) | instskip(NEXT) | instid1(VALU_DEP_1)
	v_fma_f64 v[23:24], -v[19:20], v[21:22], 1.0
	v_fma_f64 v[21:22], v[23:24], v[21:22], v[21:22]
	s_delay_alu instid0(VALU_DEP_1) | instskip(NEXT) | instid1(VALU_DEP_1)
	v_fma_f64 v[23:24], -v[19:20], v[21:22], 1.0
	v_fma_f64 v[21:22], v[23:24], v[21:22], v[21:22]
	s_delay_alu instid0(VALU_DEP_1) | instskip(NEXT) | instid1(VALU_DEP_1)
	v_mul_f64_e32 v[23:24], v[25:26], v[21:22]
	v_mul_f64_e32 v[29:30], v[19:20], v[23:24]
	s_delay_alu instid0(VALU_DEP_1) | instskip(NEXT) | instid1(VALU_DEP_1)
	v_fma_f64 v[19:20], v[23:24], v[19:20], -v[29:30]
	v_fma_f64 v[11:12], v[23:24], v[11:12], v[19:20]
	s_delay_alu instid0(VALU_DEP_1) | instskip(NEXT) | instid1(VALU_DEP_1)
	v_add_f64_e32 v[19:20], v[29:30], v[11:12]
	v_add_f64_e64 v[27:28], v[25:26], -v[19:20]
	v_add_f64_e64 v[29:30], v[19:20], -v[29:30]
	s_delay_alu instid0(VALU_DEP_2) | instskip(NEXT) | instid1(VALU_DEP_2)
	v_add_f64_e64 v[25:26], v[25:26], -v[27:28]
	v_add_f64_e64 v[11:12], v[29:30], -v[11:12]
	s_delay_alu instid0(VALU_DEP_2) | instskip(NEXT) | instid1(VALU_DEP_1)
	v_add_f64_e64 v[19:20], v[25:26], -v[19:20]
	v_add_f64_e32 v[11:12], v[11:12], v[19:20]
	s_delay_alu instid0(VALU_DEP_1) | instskip(NEXT) | instid1(VALU_DEP_1)
	v_add_f64_e32 v[11:12], v[27:28], v[11:12]
	v_mul_f64_e32 v[11:12], v[21:22], v[11:12]
	s_delay_alu instid0(VALU_DEP_1) | instskip(NEXT) | instid1(VALU_DEP_1)
	v_add_f64_e32 v[19:20], v[23:24], v[11:12]
	v_add_f64_e64 v[21:22], v[19:20], -v[23:24]
	v_mul_f64_e32 v[23:24], v[19:20], v[19:20]
	s_delay_alu instid0(VALU_DEP_2) | instskip(NEXT) | instid1(VALU_DEP_2)
	v_add_f64_e64 v[11:12], v[11:12], -v[21:22]
	v_fma_f64 v[21:22], v[19:20], v[19:20], -v[23:24]
	s_delay_alu instid0(VALU_DEP_2) | instskip(NEXT) | instid1(VALU_DEP_1)
	v_add_f64_e32 v[25:26], v[11:12], v[11:12]
	v_fma_f64 v[21:22], v[19:20], v[25:26], v[21:22]
	s_delay_alu instid0(VALU_DEP_1) | instskip(NEXT) | instid1(VALU_DEP_1)
	v_add_f64_e32 v[25:26], v[23:24], v[21:22]
	v_fma_f64 v[27:28], v[25:26], s[36:37], s[34:35]
	v_add_f64_e64 v[23:24], v[25:26], -v[23:24]
	v_mul_f64_e32 v[33:34], v[19:20], v[25:26]
	s_delay_alu instid0(VALU_DEP_3) | instskip(NEXT) | instid1(VALU_DEP_3)
	v_fma_f64 v[27:28], v[25:26], v[27:28], s[38:39]
	v_add_f64_e64 v[21:22], v[21:22], -v[23:24]
	s_delay_alu instid0(VALU_DEP_2) | instskip(NEXT) | instid1(VALU_DEP_1)
	v_fma_f64 v[27:28], v[25:26], v[27:28], s[40:41]
	v_fma_f64 v[27:28], v[25:26], v[27:28], s[42:43]
	s_delay_alu instid0(VALU_DEP_1) | instskip(NEXT) | instid1(VALU_DEP_1)
	v_fma_f64 v[27:28], v[25:26], v[27:28], s[44:45]
	v_fma_f64 v[27:28], v[25:26], v[27:28], s[46:47]
	s_delay_alu instid0(VALU_DEP_1) | instskip(NEXT) | instid1(VALU_DEP_1)
	;; [unrolled: 3-line block ×3, first 2 shown]
	v_mul_f64_e32 v[29:30], v[25:26], v[27:28]
	v_fma_f64 v[23:24], v[25:26], v[27:28], -v[29:30]
	s_delay_alu instid0(VALU_DEP_1) | instskip(NEXT) | instid1(VALU_DEP_1)
	v_fma_f64 v[23:24], v[21:22], v[27:28], v[23:24]
	v_add_f64_e32 v[27:28], v[29:30], v[23:24]
	s_delay_alu instid0(VALU_DEP_1) | instskip(SKIP_2) | instid1(VALU_DEP_2)
	v_add_f64_e32 v[31:32], s[26:27], v[27:28]
	v_add_f64_e64 v[29:30], v[27:28], -v[29:30]
	s_wait_alu 0xfffe
	v_add_f64_e32 v[35:36], s[54:55], v[31:32]
	s_delay_alu instid0(VALU_DEP_2) | instskip(SKIP_2) | instid1(VALU_DEP_4)
	v_add_f64_e64 v[23:24], v[23:24], -v[29:30]
	v_fma_f64 v[29:30], v[25:26], v[19:20], -v[33:34]
	v_cmp_lt_f64_e64 s54, |v[7:8]|, 1.0
	v_add_f64_e64 v[27:28], v[27:28], -v[35:36]
	s_delay_alu instid0(VALU_DEP_4) | instskip(NEXT) | instid1(VALU_DEP_4)
	v_add_f64_e32 v[23:24], s[52:53], v[23:24]
	v_fma_f64 v[25:26], v[25:26], v[11:12], v[29:30]
	v_ldexp_f64 v[11:12], v[11:12], 1
	s_xor_b32 s6, s6, s54
	v_cmp_class_f64_e64 s54, v[7:8], 0x204
	s_delay_alu instid0(VALU_DEP_4) | instskip(NEXT) | instid1(VALU_DEP_4)
	v_add_f64_e32 v[23:24], v[23:24], v[27:28]
	v_fma_f64 v[21:22], v[21:22], v[19:20], v[25:26]
	v_ldexp_f64 v[19:20], v[19:20], 1
	s_delay_alu instid0(VALU_DEP_3) | instskip(NEXT) | instid1(VALU_DEP_3)
	v_add_f64_e32 v[25:26], v[31:32], v[23:24]
	v_add_f64_e32 v[27:28], v[33:34], v[21:22]
	s_delay_alu instid0(VALU_DEP_2) | instskip(NEXT) | instid1(VALU_DEP_2)
	v_add_f64_e64 v[29:30], v[31:32], -v[25:26]
	v_mul_f64_e32 v[31:32], v[27:28], v[25:26]
	v_add_f64_e64 v[33:34], v[27:28], -v[33:34]
	s_delay_alu instid0(VALU_DEP_3) | instskip(NEXT) | instid1(VALU_DEP_3)
	v_add_f64_e32 v[23:24], v[23:24], v[29:30]
	v_fma_f64 v[29:30], v[27:28], v[25:26], -v[31:32]
	s_delay_alu instid0(VALU_DEP_3) | instskip(NEXT) | instid1(VALU_DEP_2)
	v_add_f64_e64 v[21:22], v[21:22], -v[33:34]
	v_fma_f64 v[23:24], v[27:28], v[23:24], v[29:30]
	s_delay_alu instid0(VALU_DEP_1) | instskip(SKIP_1) | instid1(VALU_DEP_2)
	v_fma_f64 v[21:22], v[21:22], v[25:26], v[23:24]
	v_frexp_exp_i32_f64_e32 v25, v[7:8]
	v_add_f64_e32 v[23:24], v[31:32], v[21:22]
	s_delay_alu instid0(VALU_DEP_2) | instskip(NEXT) | instid1(VALU_DEP_1)
	v_subrev_co_ci_u32_e64 v25, null, 0, v25, s2
	v_cvt_f64_i32_e32 v[25:26], v25
	s_delay_alu instid0(VALU_DEP_3) | instskip(SKIP_1) | instid1(VALU_DEP_3)
	v_add_f64_e32 v[27:28], v[19:20], v[23:24]
	v_add_f64_e64 v[29:30], v[23:24], -v[31:32]
	v_mul_f64_e32 v[31:32], s[28:29], v[25:26]
	s_delay_alu instid0(VALU_DEP_3) | instskip(NEXT) | instid1(VALU_DEP_3)
	v_add_f64_e64 v[19:20], v[27:28], -v[19:20]
	v_add_f64_e64 v[21:22], v[21:22], -v[29:30]
	s_delay_alu instid0(VALU_DEP_3) | instskip(NEXT) | instid1(VALU_DEP_3)
	v_fma_f64 v[29:30], v[25:26], s[28:29], -v[31:32]
	v_add_f64_e64 v[19:20], v[23:24], -v[19:20]
	s_delay_alu instid0(VALU_DEP_3) | instskip(NEXT) | instid1(VALU_DEP_3)
	v_add_f64_e32 v[11:12], v[11:12], v[21:22]
	v_fma_f64 v[21:22], v[25:26], s[30:31], v[29:30]
	s_delay_alu instid0(VALU_DEP_2) | instskip(NEXT) | instid1(VALU_DEP_2)
	v_add_f64_e32 v[11:12], v[11:12], v[19:20]
	v_add_f64_e32 v[19:20], v[31:32], v[21:22]
	s_delay_alu instid0(VALU_DEP_2) | instskip(NEXT) | instid1(VALU_DEP_2)
	v_add_f64_e32 v[23:24], v[27:28], v[11:12]
	v_add_f64_e64 v[31:32], v[19:20], -v[31:32]
	s_delay_alu instid0(VALU_DEP_2) | instskip(SKIP_1) | instid1(VALU_DEP_3)
	v_add_f64_e32 v[25:26], v[19:20], v[23:24]
	v_add_f64_e64 v[27:28], v[23:24], -v[27:28]
	v_add_f64_e64 v[21:22], v[21:22], -v[31:32]
	s_delay_alu instid0(VALU_DEP_3) | instskip(NEXT) | instid1(VALU_DEP_3)
	v_add_f64_e64 v[29:30], v[25:26], -v[19:20]
	v_add_f64_e64 v[11:12], v[11:12], -v[27:28]
	s_delay_alu instid0(VALU_DEP_2) | instskip(SKIP_1) | instid1(VALU_DEP_3)
	v_add_f64_e64 v[33:34], v[25:26], -v[29:30]
	v_add_f64_e64 v[23:24], v[23:24], -v[29:30]
	v_add_f64_e32 v[27:28], v[21:22], v[11:12]
	s_delay_alu instid0(VALU_DEP_3) | instskip(NEXT) | instid1(VALU_DEP_1)
	v_add_f64_e64 v[19:20], v[19:20], -v[33:34]
	v_add_f64_e32 v[19:20], v[23:24], v[19:20]
	s_delay_alu instid0(VALU_DEP_3) | instskip(NEXT) | instid1(VALU_DEP_2)
	v_add_f64_e64 v[23:24], v[27:28], -v[21:22]
	v_add_f64_e32 v[19:20], v[27:28], v[19:20]
	s_delay_alu instid0(VALU_DEP_2) | instskip(SKIP_1) | instid1(VALU_DEP_3)
	v_add_f64_e64 v[27:28], v[27:28], -v[23:24]
	v_add_f64_e64 v[11:12], v[11:12], -v[23:24]
	v_add_f64_e32 v[29:30], v[25:26], v[19:20]
	s_delay_alu instid0(VALU_DEP_3) | instskip(NEXT) | instid1(VALU_DEP_2)
	v_add_f64_e64 v[21:22], v[21:22], -v[27:28]
	v_add_f64_e64 v[23:24], v[29:30], -v[25:26]
	s_delay_alu instid0(VALU_DEP_2) | instskip(NEXT) | instid1(VALU_DEP_2)
	v_add_f64_e32 v[11:12], v[11:12], v[21:22]
	v_add_f64_e64 v[19:20], v[19:20], -v[23:24]
	s_delay_alu instid0(VALU_DEP_1) | instskip(NEXT) | instid1(VALU_DEP_1)
	v_add_f64_e32 v[11:12], v[11:12], v[19:20]
	v_add_f64_e32 v[19:20], v[29:30], v[11:12]
	s_delay_alu instid0(VALU_DEP_1) | instskip(SKIP_1) | instid1(VALU_DEP_2)
	v_add_f64_e64 v[21:22], v[19:20], -v[29:30]
	v_mul_f64_e32 v[23:24], v[9:10], v[19:20]
	v_add_f64_e64 v[11:12], v[11:12], -v[21:22]
	s_delay_alu instid0(VALU_DEP_2) | instskip(SKIP_1) | instid1(VALU_DEP_2)
	v_fma_f64 v[19:20], v[9:10], v[19:20], -v[23:24]
	v_cmp_class_f64_e64 s2, v[23:24], 0x204
	v_fma_f64 v[11:12], v[9:10], v[11:12], v[19:20]
	s_delay_alu instid0(VALU_DEP_1) | instskip(SKIP_1) | instid1(VALU_DEP_1)
	v_add_f64_e32 v[19:20], v[23:24], v[11:12]
	s_wait_alu 0xf1ff
	v_cndmask_b32_e64 v22, v20, v24, s2
	s_delay_alu instid0(VALU_DEP_2) | instskip(SKIP_1) | instid1(VALU_DEP_2)
	v_cndmask_b32_e64 v21, v19, v23, s2
	v_add_f64_e64 v[19:20], v[19:20], -v[23:24]
	v_mul_f64_e32 v[25:26], s[56:57], v[21:22]
	v_cmp_nlt_f64_e64 s3, 0x40900000, v[21:22]
	v_cmp_neq_f64_e64 s2, 0x7ff00000, |v[21:22]|
	v_cmp_ngt_f64_e64 s4, 0xc090cc00, v[21:22]
	v_add_f64_e64 v[11:12], v[11:12], -v[19:20]
	v_trunc_f64_e32 v[19:20], v[9:10]
	v_rndne_f64_e32 v[25:26], v[25:26]
	s_wait_alu 0xf1ff
	s_delay_alu instid0(VALU_DEP_3) | instskip(NEXT) | instid1(VALU_DEP_4)
	v_cndmask_b32_e64 v12, 0, v12, s2
	v_cndmask_b32_e64 v11, 0, v11, s2
	s_and_b32 s2, s4, s3
	s_delay_alu instid0(VALU_DEP_3) | instskip(SKIP_1) | instid1(VALU_DEP_2)
	v_fma_f64 v[27:28], v[25:26], s[58:59], v[21:22]
	v_cvt_i32_f64_e32 v31, v[25:26]
	v_fma_f64 v[27:28], v[25:26], s[60:61], v[27:28]
	s_delay_alu instid0(VALU_DEP_1) | instskip(NEXT) | instid1(VALU_DEP_1)
	v_fma_f64 v[29:30], v[27:28], s[64:65], s[62:63]
	v_fma_f64 v[29:30], v[27:28], v[29:30], s[66:67]
	s_delay_alu instid0(VALU_DEP_1) | instskip(NEXT) | instid1(VALU_DEP_1)
	v_fma_f64 v[29:30], v[27:28], v[29:30], s[68:69]
	;; [unrolled: 3-line block ×5, first 2 shown]
	v_fma_f64 v[29:30], v[27:28], v[29:30], 1.0
	s_delay_alu instid0(VALU_DEP_1) | instskip(NEXT) | instid1(VALU_DEP_1)
	v_fma_f64 v[25:26], v[27:28], v[29:30], 1.0
	v_ldexp_f64 v[23:24], v[25:26], v31
	v_mul_f64_e32 v[25:26], 0.5, v[9:10]
	s_delay_alu instid0(VALU_DEP_2) | instskip(NEXT) | instid1(VALU_DEP_2)
	v_cndmask_b32_e64 v24, 0x7ff00000, v24, s3
	v_trunc_f64_e32 v[21:22], v[25:26]
	s_wait_alu 0xfffe
	s_delay_alu instid0(VALU_DEP_4) | instskip(SKIP_2) | instid1(VALU_DEP_1)
	v_cndmask_b32_e64 v23, 0, v23, s2
	v_cmp_eq_f64_e64 s2, v[19:20], v[9:10]
	v_cndmask_b32_e64 v24, 0, v24, s4
	v_fma_f64 v[11:12], v[23:24], v[11:12], v[23:24]
	v_cmp_class_f64_e64 s4, v[23:24], 0x204
	v_cmp_neq_f64_e64 s3, v[21:22], v[25:26]
	v_cndmask_b32_e64 v21, 0x7ff00000, 0, s6
	v_cmp_neq_f64_e64 s6, |v[7:8]|, 1.0
	s_wait_alu 0xf1ff
	s_delay_alu instid0(VALU_DEP_4) | instskip(SKIP_2) | instid1(VALU_DEP_2)
	v_cndmask_b32_e64 v12, v12, v24, s4
	v_cndmask_b32_e64 v11, v11, v23, s4
	v_cmp_gt_f64_e64 s4, 0, v[9:10]
	v_cndmask_b32_e64 v20, 0, v11, s2
	s_and_b32 s3, s2, s3
	s_wait_alu 0xfffe
	v_cndmask_b32_e64 v19, 0x3ff00000, v8, s3
	v_cndmask_b32_e64 v21, 0x3ff00000, v21, s6
	s_delay_alu instid0(VALU_DEP_2) | instskip(NEXT) | instid1(VALU_DEP_1)
	v_bfi_b32 v12, 0x7fffffff, v12, v19
	v_cndmask_b32_e64 v19, 0x7ff80000, v12, s2
	v_cmp_gt_f64_e64 s2, 0, v[7:8]
	s_xor_b32 s4, s4, s5
	v_cndmask_b32_e64 v11, v11, v20, s2
	v_cndmask_b32_e64 v12, v12, v19, s2
	v_cmp_class_f64_e64 s2, v[9:10], 0x204
	v_cndmask_b32_e64 v20, 0, v8, s3
	s_or_b32 s3, s5, s54
	s_wait_alu 0xfffe
	v_cndmask_b32_e64 v19, 0x7ff00000, 0, s4
	s_delay_alu instid0(VALU_DEP_1)
	v_bfi_b32 v19, 0x7fffffff, v19, v20
	v_cndmask_b32_e64 v12, v12, v21, s2
	s_or_b32 s2, s3, s2
	s_wait_alu 0xfffe
	v_cndmask_b32_e64 v11, v11, 0, s2
	v_cmp_o_f64_e64 s2, v[7:8], v[9:10]
	v_cndmask_b32_e64 v12, v12, v19, s3
	s_wait_alu 0xf1ff
	s_delay_alu instid0(VALU_DEP_2) | instskip(NEXT) | instid1(VALU_DEP_2)
	v_cndmask_b32_e64 v7, 0, v11, s2
	v_cndmask_b32_e64 v8, 0x7ff80000, v12, s2
	v_add_co_u32 v9, s2, v1, s82
	s_wait_alu 0xf1ff
	v_add_co_ci_u32_e64 v10, null, 0, v2, s2
	global_store_b64 v[9:10], v[7:8], off
	s_or_b32 exec_lo, exec_lo, s7
	s_and_saveexec_b32 s6, vcc_lo
	s_cbranch_execz .LBB53_3
.LBB53_19:                              ;   in Loop: Header=BB53_4 Depth=1
	s_wait_loadcnt 0x0
	v_cmp_neq_f64_e32 vcc_lo, 1.0, v[5:6]
	v_mov_b32_e32 v7, s21
	s_mov_b32 s54, s26
	s_mov_b32 s58, s28
	;; [unrolled: 1-line block ×3, first 2 shown]
	s_wait_alu 0xfffd
	v_cndmask_b32_e32 v8, 0x3ff00000, v7, vcc_lo
	v_cndmask_b32_e64 v7, 0, s20, vcc_lo
	s_delay_alu instid0(VALU_DEP_1) | instskip(SKIP_4) | instid1(VALU_DEP_1)
	v_cmp_neq_f64_e32 vcc_lo, 0, v[7:8]
	v_cmp_neq_f64_e64 s5, v[7:8], |v[7:8]|
	s_wait_alu 0xfffd
	v_cndmask_b32_e32 v6, 0x3ff00000, v6, vcc_lo
	v_cndmask_b32_e32 v5, 0, v5, vcc_lo
	v_frexp_mant_f64_e64 v[9:10], |v[5:6]|
	s_delay_alu instid0(VALU_DEP_1) | instskip(SKIP_2) | instid1(VALU_DEP_1)
	v_cmp_gt_f64_e32 vcc_lo, s[26:27], v[9:10]
	s_wait_alu 0xfffd
	v_cndmask_b32_e64 v11, 0, 1, vcc_lo
	v_ldexp_f64 v[9:10], v[9:10], v11
	s_delay_alu instid0(VALU_DEP_1) | instskip(SKIP_1) | instid1(VALU_DEP_2)
	v_add_f64_e32 v[11:12], 1.0, v[9:10]
	v_add_f64_e32 v[23:24], -1.0, v[9:10]
	v_rcp_f64_e32 v[19:20], v[11:12]
	v_add_f64_e32 v[25:26], -1.0, v[11:12]
	s_delay_alu instid0(VALU_DEP_1) | instskip(NEXT) | instid1(TRANS32_DEP_1)
	v_add_f64_e64 v[9:10], v[9:10], -v[25:26]
	v_fma_f64 v[21:22], -v[11:12], v[19:20], 1.0
	s_delay_alu instid0(VALU_DEP_1) | instskip(NEXT) | instid1(VALU_DEP_1)
	v_fma_f64 v[19:20], v[21:22], v[19:20], v[19:20]
	v_fma_f64 v[21:22], -v[11:12], v[19:20], 1.0
	s_delay_alu instid0(VALU_DEP_1) | instskip(NEXT) | instid1(VALU_DEP_1)
	v_fma_f64 v[19:20], v[21:22], v[19:20], v[19:20]
	v_mul_f64_e32 v[21:22], v[23:24], v[19:20]
	s_delay_alu instid0(VALU_DEP_1) | instskip(NEXT) | instid1(VALU_DEP_1)
	v_mul_f64_e32 v[27:28], v[11:12], v[21:22]
	v_fma_f64 v[11:12], v[21:22], v[11:12], -v[27:28]
	s_delay_alu instid0(VALU_DEP_1) | instskip(NEXT) | instid1(VALU_DEP_1)
	v_fma_f64 v[9:10], v[21:22], v[9:10], v[11:12]
	v_add_f64_e32 v[11:12], v[27:28], v[9:10]
	s_delay_alu instid0(VALU_DEP_1) | instskip(SKIP_1) | instid1(VALU_DEP_2)
	v_add_f64_e64 v[25:26], v[23:24], -v[11:12]
	v_add_f64_e64 v[27:28], v[11:12], -v[27:28]
	;; [unrolled: 1-line block ×3, first 2 shown]
	s_delay_alu instid0(VALU_DEP_2) | instskip(NEXT) | instid1(VALU_DEP_2)
	v_add_f64_e64 v[9:10], v[27:28], -v[9:10]
	v_add_f64_e64 v[11:12], v[23:24], -v[11:12]
	s_delay_alu instid0(VALU_DEP_1) | instskip(NEXT) | instid1(VALU_DEP_1)
	v_add_f64_e32 v[9:10], v[9:10], v[11:12]
	v_add_f64_e32 v[9:10], v[25:26], v[9:10]
	s_delay_alu instid0(VALU_DEP_1) | instskip(NEXT) | instid1(VALU_DEP_1)
	v_mul_f64_e32 v[9:10], v[19:20], v[9:10]
	v_add_f64_e32 v[11:12], v[21:22], v[9:10]
	s_delay_alu instid0(VALU_DEP_1) | instskip(SKIP_1) | instid1(VALU_DEP_2)
	v_add_f64_e64 v[19:20], v[11:12], -v[21:22]
	v_mul_f64_e32 v[21:22], v[11:12], v[11:12]
	v_add_f64_e64 v[9:10], v[9:10], -v[19:20]
	s_delay_alu instid0(VALU_DEP_2) | instskip(NEXT) | instid1(VALU_DEP_2)
	v_fma_f64 v[19:20], v[11:12], v[11:12], -v[21:22]
	v_add_f64_e32 v[23:24], v[9:10], v[9:10]
	s_delay_alu instid0(VALU_DEP_1) | instskip(NEXT) | instid1(VALU_DEP_1)
	v_fma_f64 v[19:20], v[11:12], v[23:24], v[19:20]
	v_add_f64_e32 v[23:24], v[21:22], v[19:20]
	s_delay_alu instid0(VALU_DEP_1) | instskip(SKIP_2) | instid1(VALU_DEP_3)
	v_fma_f64 v[25:26], v[23:24], s[36:37], s[34:35]
	v_add_f64_e64 v[21:22], v[23:24], -v[21:22]
	v_mul_f64_e32 v[31:32], v[11:12], v[23:24]
	v_fma_f64 v[25:26], v[23:24], v[25:26], s[38:39]
	s_delay_alu instid0(VALU_DEP_3) | instskip(NEXT) | instid1(VALU_DEP_2)
	v_add_f64_e64 v[19:20], v[19:20], -v[21:22]
	v_fma_f64 v[25:26], v[23:24], v[25:26], s[40:41]
	s_delay_alu instid0(VALU_DEP_1) | instskip(NEXT) | instid1(VALU_DEP_1)
	v_fma_f64 v[25:26], v[23:24], v[25:26], s[42:43]
	v_fma_f64 v[25:26], v[23:24], v[25:26], s[44:45]
	s_delay_alu instid0(VALU_DEP_1) | instskip(NEXT) | instid1(VALU_DEP_1)
	v_fma_f64 v[25:26], v[23:24], v[25:26], s[46:47]
	;; [unrolled: 3-line block ×3, first 2 shown]
	v_mul_f64_e32 v[27:28], v[23:24], v[25:26]
	s_delay_alu instid0(VALU_DEP_1) | instskip(NEXT) | instid1(VALU_DEP_1)
	v_fma_f64 v[21:22], v[23:24], v[25:26], -v[27:28]
	v_fma_f64 v[21:22], v[19:20], v[25:26], v[21:22]
	s_delay_alu instid0(VALU_DEP_1) | instskip(NEXT) | instid1(VALU_DEP_1)
	v_add_f64_e32 v[25:26], v[27:28], v[21:22]
	v_add_f64_e32 v[29:30], s[26:27], v[25:26]
	v_add_f64_e64 v[27:28], v[25:26], -v[27:28]
	s_wait_alu 0xfffe
	s_delay_alu instid0(VALU_DEP_2) | instskip(NEXT) | instid1(VALU_DEP_2)
	v_add_f64_e32 v[33:34], s[54:55], v[29:30]
	v_add_f64_e64 v[21:22], v[21:22], -v[27:28]
	v_fma_f64 v[27:28], v[23:24], v[11:12], -v[31:32]
	s_delay_alu instid0(VALU_DEP_3) | instskip(NEXT) | instid1(VALU_DEP_3)
	v_add_f64_e64 v[25:26], v[25:26], -v[33:34]
	v_add_f64_e32 v[21:22], s[52:53], v[21:22]
	s_delay_alu instid0(VALU_DEP_3) | instskip(SKIP_1) | instid1(VALU_DEP_3)
	v_fma_f64 v[23:24], v[23:24], v[9:10], v[27:28]
	v_ldexp_f64 v[9:10], v[9:10], 1
	v_add_f64_e32 v[21:22], v[21:22], v[25:26]
	s_delay_alu instid0(VALU_DEP_3) | instskip(SKIP_1) | instid1(VALU_DEP_3)
	v_fma_f64 v[19:20], v[19:20], v[11:12], v[23:24]
	v_ldexp_f64 v[11:12], v[11:12], 1
	v_add_f64_e32 v[23:24], v[29:30], v[21:22]
	s_delay_alu instid0(VALU_DEP_3) | instskip(NEXT) | instid1(VALU_DEP_2)
	v_add_f64_e32 v[25:26], v[31:32], v[19:20]
	v_add_f64_e64 v[27:28], v[29:30], -v[23:24]
	s_delay_alu instid0(VALU_DEP_2) | instskip(SKIP_1) | instid1(VALU_DEP_3)
	v_mul_f64_e32 v[29:30], v[25:26], v[23:24]
	v_add_f64_e64 v[31:32], v[25:26], -v[31:32]
	v_add_f64_e32 v[21:22], v[21:22], v[27:28]
	s_delay_alu instid0(VALU_DEP_3) | instskip(NEXT) | instid1(VALU_DEP_3)
	v_fma_f64 v[27:28], v[25:26], v[23:24], -v[29:30]
	v_add_f64_e64 v[19:20], v[19:20], -v[31:32]
	s_delay_alu instid0(VALU_DEP_2) | instskip(NEXT) | instid1(VALU_DEP_1)
	v_fma_f64 v[21:22], v[25:26], v[21:22], v[27:28]
	v_fma_f64 v[19:20], v[19:20], v[23:24], v[21:22]
	v_frexp_exp_i32_f64_e32 v23, v[5:6]
	s_delay_alu instid0(VALU_DEP_2) | instskip(NEXT) | instid1(VALU_DEP_2)
	v_add_f64_e32 v[21:22], v[29:30], v[19:20]
	v_subrev_co_ci_u32_e64 v23, null, 0, v23, vcc_lo
	s_delay_alu instid0(VALU_DEP_1) | instskip(NEXT) | instid1(VALU_DEP_3)
	v_cvt_f64_i32_e32 v[23:24], v23
	v_add_f64_e32 v[25:26], v[11:12], v[21:22]
	v_add_f64_e64 v[27:28], v[21:22], -v[29:30]
	s_delay_alu instid0(VALU_DEP_3) | instskip(NEXT) | instid1(VALU_DEP_3)
	v_mul_f64_e32 v[29:30], s[28:29], v[23:24]
	v_add_f64_e64 v[11:12], v[25:26], -v[11:12]
	s_delay_alu instid0(VALU_DEP_3) | instskip(NEXT) | instid1(VALU_DEP_3)
	v_add_f64_e64 v[19:20], v[19:20], -v[27:28]
	v_fma_f64 v[27:28], v[23:24], s[28:29], -v[29:30]
	s_delay_alu instid0(VALU_DEP_3) | instskip(NEXT) | instid1(VALU_DEP_3)
	v_add_f64_e64 v[11:12], v[21:22], -v[11:12]
	v_add_f64_e32 v[9:10], v[9:10], v[19:20]
	s_delay_alu instid0(VALU_DEP_3) | instskip(NEXT) | instid1(VALU_DEP_2)
	v_fma_f64 v[19:20], v[23:24], s[30:31], v[27:28]
	v_add_f64_e32 v[9:10], v[9:10], v[11:12]
	s_delay_alu instid0(VALU_DEP_2) | instskip(NEXT) | instid1(VALU_DEP_2)
	v_add_f64_e32 v[11:12], v[29:30], v[19:20]
	v_add_f64_e32 v[21:22], v[25:26], v[9:10]
	s_delay_alu instid0(VALU_DEP_2) | instskip(NEXT) | instid1(VALU_DEP_2)
	v_add_f64_e64 v[29:30], v[11:12], -v[29:30]
	v_add_f64_e32 v[23:24], v[11:12], v[21:22]
	v_add_f64_e64 v[25:26], v[21:22], -v[25:26]
	s_delay_alu instid0(VALU_DEP_3) | instskip(NEXT) | instid1(VALU_DEP_3)
	v_add_f64_e64 v[19:20], v[19:20], -v[29:30]
	v_add_f64_e64 v[27:28], v[23:24], -v[11:12]
	s_delay_alu instid0(VALU_DEP_3) | instskip(NEXT) | instid1(VALU_DEP_2)
	v_add_f64_e64 v[9:10], v[9:10], -v[25:26]
	v_add_f64_e64 v[31:32], v[23:24], -v[27:28]
	;; [unrolled: 1-line block ×3, first 2 shown]
	s_delay_alu instid0(VALU_DEP_3) | instskip(NEXT) | instid1(VALU_DEP_3)
	v_add_f64_e32 v[25:26], v[19:20], v[9:10]
	v_add_f64_e64 v[11:12], v[11:12], -v[31:32]
	s_delay_alu instid0(VALU_DEP_1) | instskip(NEXT) | instid1(VALU_DEP_3)
	v_add_f64_e32 v[11:12], v[21:22], v[11:12]
	v_add_f64_e64 v[21:22], v[25:26], -v[19:20]
	s_delay_alu instid0(VALU_DEP_2) | instskip(NEXT) | instid1(VALU_DEP_2)
	v_add_f64_e32 v[11:12], v[25:26], v[11:12]
	v_add_f64_e64 v[25:26], v[25:26], -v[21:22]
	v_add_f64_e64 v[9:10], v[9:10], -v[21:22]
	s_delay_alu instid0(VALU_DEP_3) | instskip(NEXT) | instid1(VALU_DEP_3)
	v_add_f64_e32 v[27:28], v[23:24], v[11:12]
	v_add_f64_e64 v[19:20], v[19:20], -v[25:26]
	s_delay_alu instid0(VALU_DEP_2) | instskip(NEXT) | instid1(VALU_DEP_2)
	v_add_f64_e64 v[21:22], v[27:28], -v[23:24]
	v_add_f64_e32 v[9:10], v[9:10], v[19:20]
	s_delay_alu instid0(VALU_DEP_2) | instskip(NEXT) | instid1(VALU_DEP_1)
	v_add_f64_e64 v[11:12], v[11:12], -v[21:22]
	v_add_f64_e32 v[9:10], v[9:10], v[11:12]
	s_delay_alu instid0(VALU_DEP_1) | instskip(NEXT) | instid1(VALU_DEP_1)
	v_add_f64_e32 v[11:12], v[27:28], v[9:10]
	v_add_f64_e64 v[19:20], v[11:12], -v[27:28]
	v_mul_f64_e32 v[21:22], v[7:8], v[11:12]
	s_delay_alu instid0(VALU_DEP_2) | instskip(NEXT) | instid1(VALU_DEP_2)
	v_add_f64_e64 v[9:10], v[9:10], -v[19:20]
	v_fma_f64 v[11:12], v[7:8], v[11:12], -v[21:22]
	v_cmp_class_f64_e64 vcc_lo, v[21:22], 0x204
	s_delay_alu instid0(VALU_DEP_2) | instskip(NEXT) | instid1(VALU_DEP_1)
	v_fma_f64 v[9:10], v[7:8], v[9:10], v[11:12]
	v_add_f64_e32 v[11:12], v[21:22], v[9:10]
	s_wait_alu 0xfffd
	s_delay_alu instid0(VALU_DEP_1) | instskip(SKIP_1) | instid1(VALU_DEP_2)
	v_dual_cndmask_b32 v20, v12, v22 :: v_dual_cndmask_b32 v19, v11, v21
	v_add_f64_e64 v[11:12], v[11:12], -v[21:22]
	v_mul_f64_e32 v[23:24], s[56:57], v[19:20]
	v_cmp_nlt_f64_e64 s2, 0x40900000, v[19:20]
	v_cmp_neq_f64_e64 vcc_lo, 0x7ff00000, |v[19:20]|
	v_cmp_ngt_f64_e64 s3, 0xc090cc00, v[19:20]
	v_add_f64_e64 v[9:10], v[9:10], -v[11:12]
	v_trunc_f64_e32 v[11:12], v[7:8]
	v_rndne_f64_e32 v[23:24], v[23:24]
	s_wait_alu 0xfffd
	s_delay_alu instid0(VALU_DEP_3) | instskip(SKIP_2) | instid1(VALU_DEP_3)
	v_dual_cndmask_b32 v10, 0, v10 :: v_dual_cndmask_b32 v9, 0, v9
	s_and_b32 vcc_lo, s3, s2
	v_cmp_lt_f64_e64 s7, |v[5:6]|, 1.0
	v_fma_f64 v[25:26], v[23:24], s[58:59], v[19:20]
	v_cvt_i32_f64_e32 v29, v[23:24]
	v_cmp_eq_f64_e64 s4, 0, v[5:6]
	s_xor_b32 s5, s5, s7
	v_fma_f64 v[25:26], v[23:24], s[60:61], v[25:26]
	v_cmp_class_f64_e64 s7, v[5:6], 0x204
	s_delay_alu instid0(VALU_DEP_2) | instskip(NEXT) | instid1(VALU_DEP_1)
	v_fma_f64 v[27:28], v[25:26], s[64:65], s[62:63]
	v_fma_f64 v[27:28], v[25:26], v[27:28], s[66:67]
	s_delay_alu instid0(VALU_DEP_1) | instskip(NEXT) | instid1(VALU_DEP_1)
	v_fma_f64 v[27:28], v[25:26], v[27:28], s[68:69]
	v_fma_f64 v[27:28], v[25:26], v[27:28], s[70:71]
	s_delay_alu instid0(VALU_DEP_1) | instskip(NEXT) | instid1(VALU_DEP_1)
	;; [unrolled: 3-line block ×4, first 2 shown]
	v_fma_f64 v[27:28], v[25:26], v[27:28], s[80:81]
	v_fma_f64 v[27:28], v[25:26], v[27:28], 1.0
	s_delay_alu instid0(VALU_DEP_1) | instskip(NEXT) | instid1(VALU_DEP_1)
	v_fma_f64 v[23:24], v[25:26], v[27:28], 1.0
	v_ldexp_f64 v[21:22], v[23:24], v29
	v_mul_f64_e32 v[23:24], 0.5, v[7:8]
	s_delay_alu instid0(VALU_DEP_2) | instskip(NEXT) | instid1(VALU_DEP_2)
	v_cndmask_b32_e64 v22, 0x7ff00000, v22, s2
	v_trunc_f64_e32 v[19:20], v[23:24]
	s_wait_alu 0xfffe
	s_delay_alu instid0(VALU_DEP_4) | instskip(SKIP_2) | instid1(VALU_DEP_1)
	v_cndmask_b32_e32 v21, 0, v21, vcc_lo
	v_cmp_eq_f64_e32 vcc_lo, v[11:12], v[7:8]
	v_cndmask_b32_e64 v22, 0, v22, s3
	v_fma_f64 v[9:10], v[21:22], v[9:10], v[21:22]
	v_cmp_class_f64_e64 s3, v[21:22], 0x204
	v_cmp_neq_f64_e64 s2, v[19:20], v[23:24]
	v_cndmask_b32_e64 v19, 0x7ff00000, 0, s5
	v_cmp_neq_f64_e64 s5, |v[5:6]|, 1.0
	s_wait_alu 0xf1ff
	s_delay_alu instid0(VALU_DEP_4) | instskip(SKIP_3) | instid1(VALU_DEP_2)
	v_cndmask_b32_e64 v10, v10, v22, s3
	v_cndmask_b32_e64 v9, v9, v21, s3
	v_cmp_gt_f64_e64 s3, 0, v[7:8]
	s_wait_alu 0xfffd
	v_cndmask_b32_e32 v12, 0, v9, vcc_lo
	s_and_b32 s2, vcc_lo, s2
	s_wait_alu 0xfffe
	v_cndmask_b32_e64 v11, 0x3ff00000, v6, s2
	v_cndmask_b32_e64 v19, 0x3ff00000, v19, s5
	s_delay_alu instid0(VALU_DEP_2) | instskip(NEXT) | instid1(VALU_DEP_1)
	v_bfi_b32 v10, 0x7fffffff, v10, v11
	v_cndmask_b32_e32 v11, 0x7ff80000, v10, vcc_lo
	v_cmp_gt_f64_e32 vcc_lo, 0, v[5:6]
	s_xor_b32 s3, s3, s4
	s_wait_alu 0xfffd
	s_delay_alu instid0(VALU_DEP_2)
	v_dual_cndmask_b32 v9, v9, v12 :: v_dual_cndmask_b32 v10, v10, v11
	v_cmp_class_f64_e64 vcc_lo, v[7:8], 0x204
	s_wait_alu 0xfffe
	v_cndmask_b32_e64 v11, 0x7ff00000, 0, s3
	v_cndmask_b32_e64 v12, 0, v6, s2
	s_or_b32 s2, s4, s7
	s_delay_alu instid0(VALU_DEP_1) | instskip(SKIP_3) | instid1(VALU_DEP_1)
	v_bfi_b32 v11, 0x7fffffff, v11, v12
	s_wait_alu 0xfffd
	v_cndmask_b32_e32 v10, v10, v19, vcc_lo
	s_wait_alu 0xfffe
	v_cndmask_b32_e64 v10, v10, v11, s2
	s_or_b32 s2, s2, vcc_lo
	v_cmp_o_f64_e32 vcc_lo, v[5:6], v[7:8]
	s_wait_alu 0xfffe
	v_cndmask_b32_e64 v9, v9, 0, s2
	s_wait_alu 0xfffd
	s_delay_alu instid0(VALU_DEP_1)
	v_cndmask_b32_e32 v5, 0, v9, vcc_lo
	v_cndmask_b32_e32 v6, 0x7ff80000, v10, vcc_lo
	v_add_co_u32 v7, vcc_lo, v1, s22
	s_wait_alu 0xfffd
	v_add_co_ci_u32_e64 v8, null, s23, v2, vcc_lo
	global_store_b64 v[7:8], v[5:6], off
	s_branch .LBB53_3
.LBB53_20:
	s_cbranch_execz .LBB53_22
	s_branch .LBB53_25
.LBB53_21:
.LBB53_22:
	v_cmp_gt_i64_e64 s2, 0x10000, s[12:13]
	v_dual_mov_b32 v2, 0 :: v_dual_lshlrev_b32 v1, 2, v0
	s_mov_b32 s19, 0
	s_and_b32 s2, s2, exec_lo
	s_cselect_b32 s23, s13, 0
	s_cselect_b32 s22, s12, 0x10000
	s_mov_b32 s2, exec_lo
	s_wait_alu 0xfffe
	v_cmpx_gt_i64_e64 s[22:23], v[1:2]
	s_cbranch_execz .LBB53_25
; %bb.23:
	s_load_b32 s2, s[0:1], 0xd44
	v_dual_mov_b32 v1, v2 :: v_dual_lshlrev_b32 v2, 5, v0
	s_add_nc_u64 s[0:1], s[8:9], s[10:11]
	v_mov_b32_e32 v22, s21
	s_mov_b32 s24, 0x55555555
	s_mov_b32 s26, 0x968915a9
	v_add_co_u32 v2, s0, s0, v2
	s_wait_alu 0xf1ff
	v_add_co_ci_u32_e64 v3, null, s1, 0, s0
	s_mov_b32 s28, 0x4222de17
	s_wait_loadcnt 0x0
	v_add_co_u32 v10, vcc_lo, v2, 16
	s_wait_alu 0xfffd
	v_add_co_ci_u32_e64 v11, null, 0, v3, vcc_lo
	s_mov_b32 s30, 0x3abe935a
	s_mov_b32 s34, 0x47e6c9c2
	s_mov_b32 s36, 0xcfa74449
	s_mov_b32 s38, 0x71bf3c30
	s_wait_kmcnt 0x0
	s_and_b32 s21, s2, 0xffff
	s_mov_b32 s40, 0x1c7792ce
	s_mov_b32 s42, 0x924920da
	;; [unrolled: 1-line block ×21, first 2 shown]
	s_wait_alu 0xfffe
	s_lshl_b32 s33, s21, 5
	s_mov_b32 s35, 0x3fc110ef
	s_mov_b32 s37, 0x3fc3b13b
	;; [unrolled: 1-line block ×26, first 2 shown]
.LBB53_24:                              ; =>This Inner Loop Header: Depth=1
	s_clause 0x1
	global_load_b128 v[6:9], v[10:11], off offset:-16
	global_load_b128 v[2:5], v[10:11], off
	s_wait_loadcnt 0x1
	v_cmp_neq_f64_e32 vcc_lo, 1.0, v[6:7]
	v_cmp_neq_f64_e64 s0, 1.0, v[8:9]
	s_wait_loadcnt 0x0
	v_cmp_neq_f64_e64 s1, 1.0, v[2:3]
	v_cmp_neq_f64_e64 s2, 1.0, v[4:5]
	s_wait_alu 0xfffd
	v_cndmask_b32_e32 v19, 0x3ff00000, v22, vcc_lo
	v_cndmask_b32_e64 v18, 0, s20, vcc_lo
	s_wait_alu 0xf1ff
	v_cndmask_b32_e64 v15, 0x3ff00000, v22, s0
	v_cndmask_b32_e64 v14, 0, s20, s0
	;; [unrolled: 1-line block ×4, first 2 shown]
	v_cmp_neq_f64_e32 vcc_lo, 0, v[18:19]
	v_cndmask_b32_e64 v17, 0x3ff00000, v22, s2
	v_cmp_neq_f64_e64 s0, 0, v[14:15]
	v_cndmask_b32_e64 v16, 0, s20, s2
	v_cmp_neq_f64_e64 s1, 0, v[12:13]
	v_cmp_neq_f64_e64 s80, v[18:19], |v[18:19]|
	v_cmp_neq_f64_e64 s81, v[14:15], |v[14:15]|
	;; [unrolled: 1-line block ×3, first 2 shown]
	v_cmp_neq_f64_e64 s2, 0, v[16:17]
	v_cmp_neq_f64_e64 s83, v[16:17], |v[16:17]|
	s_wait_alu 0xfffd
	v_cndmask_b32_e32 v21, 0x3ff00000, v7, vcc_lo
	v_cndmask_b32_e32 v20, 0, v6, vcc_lo
	s_wait_alu 0xf1ff
	v_cndmask_b32_e64 v7, 0x3ff00000, v9, s0
	v_cndmask_b32_e64 v6, 0, v8, s0
	;; [unrolled: 1-line block ×4, first 2 shown]
	v_frexp_mant_f64_e64 v[8:9], |v[20:21]|
	s_delay_alu instid0(VALU_DEP_4) | instskip(SKIP_1) | instid1(VALU_DEP_4)
	v_frexp_mant_f64_e64 v[23:24], |v[6:7]|
	v_cndmask_b32_e64 v5, 0x3ff00000, v5, s2
	v_frexp_mant_f64_e64 v[25:26], |v[2:3]|
	v_cndmask_b32_e64 v4, 0, v4, s2
	v_cmp_lt_f64_e64 s85, |v[6:7]|, 1.0
	v_cmp_lt_f64_e64 s86, |v[2:3]|, 1.0
	s_delay_alu instid0(VALU_DEP_3)
	v_frexp_mant_f64_e64 v[27:28], |v[4:5]|
	v_cmp_lt_f64_e64 s87, |v[4:5]|, 1.0
	v_cmp_class_f64_e64 s88, v[4:5], 0x204
	v_cmp_gt_f64_e32 vcc_lo, s[24:25], v[8:9]
	v_cmp_gt_f64_e64 s0, s[24:25], v[23:24]
	v_cmp_gt_f64_e64 s1, s[24:25], v[25:26]
	;; [unrolled: 1-line block ×3, first 2 shown]
	s_wait_alu 0xfffd
	v_cndmask_b32_e64 v29, 0, 1, vcc_lo
	s_wait_alu 0xf1ff
	s_delay_alu instid0(VALU_DEP_4) | instskip(NEXT) | instid1(VALU_DEP_4)
	v_cndmask_b32_e64 v30, 0, 1, s0
	v_cndmask_b32_e64 v31, 0, 1, s1
	s_delay_alu instid0(VALU_DEP_3) | instskip(NEXT) | instid1(VALU_DEP_3)
	v_ldexp_f64 v[8:9], v[8:9], v29
	v_ldexp_f64 v[23:24], v[23:24], v30
	s_delay_alu instid0(VALU_DEP_3) | instskip(SKIP_1) | instid1(VALU_DEP_1)
	v_ldexp_f64 v[25:26], v[25:26], v31
	v_cndmask_b32_e64 v29, 0, 1, s2
	v_ldexp_f64 v[27:28], v[27:28], v29
	v_add_f64_e32 v[29:30], 1.0, v[8:9]
	v_add_f64_e32 v[53:54], -1.0, v[8:9]
	v_add_f64_e32 v[31:32], 1.0, v[23:24]
	v_add_f64_e32 v[33:34], 1.0, v[25:26]
	v_add_f64_e32 v[35:36], 1.0, v[27:28]
	v_rcp_f64_e32 v[37:38], v[29:30]
	v_add_f64_e32 v[61:62], -1.0, v[29:30]
	s_delay_alu instid0(VALU_DEP_4) | instskip(SKIP_1) | instid1(VALU_DEP_4)
	v_rcp_f64_e32 v[39:40], v[31:32]
	v_add_f64_e32 v[65:66], -1.0, v[31:32]
	v_rcp_f64_e32 v[41:42], v[33:34]
	v_add_f64_e32 v[69:70], -1.0, v[33:34]
	s_delay_alu instid0(VALU_DEP_4) | instskip(SKIP_1) | instid1(VALU_DEP_4)
	v_rcp_f64_e32 v[43:44], v[35:36]
	v_add_f64_e32 v[73:74], -1.0, v[35:36]
	v_add_f64_e64 v[8:9], v[8:9], -v[61:62]
	v_fma_f64 v[45:46], -v[29:30], v[37:38], 1.0
	s_delay_alu instid0(TRANS32_DEP_3) | instskip(NEXT) | instid1(TRANS32_DEP_2)
	v_fma_f64 v[47:48], -v[31:32], v[39:40], 1.0
	v_fma_f64 v[49:50], -v[33:34], v[41:42], 1.0
	s_delay_alu instid0(TRANS32_DEP_1) | instskip(NEXT) | instid1(VALU_DEP_4)
	v_fma_f64 v[51:52], -v[35:36], v[43:44], 1.0
	v_fma_f64 v[37:38], v[45:46], v[37:38], v[37:38]
	s_delay_alu instid0(VALU_DEP_4) | instskip(NEXT) | instid1(VALU_DEP_4)
	v_fma_f64 v[39:40], v[47:48], v[39:40], v[39:40]
	v_fma_f64 v[41:42], v[49:50], v[41:42], v[41:42]
	s_delay_alu instid0(VALU_DEP_4) | instskip(NEXT) | instid1(VALU_DEP_4)
	v_fma_f64 v[43:44], v[51:52], v[43:44], v[43:44]
	v_fma_f64 v[45:46], -v[29:30], v[37:38], 1.0
	s_delay_alu instid0(VALU_DEP_4) | instskip(NEXT) | instid1(VALU_DEP_4)
	v_fma_f64 v[47:48], -v[31:32], v[39:40], 1.0
	v_fma_f64 v[49:50], -v[33:34], v[41:42], 1.0
	s_delay_alu instid0(VALU_DEP_4) | instskip(NEXT) | instid1(VALU_DEP_4)
	v_fma_f64 v[51:52], -v[35:36], v[43:44], 1.0
	v_fma_f64 v[37:38], v[45:46], v[37:38], v[37:38]
	v_add_f64_e32 v[45:46], -1.0, v[23:24]
	v_fma_f64 v[39:40], v[47:48], v[39:40], v[39:40]
	v_add_f64_e32 v[47:48], -1.0, v[25:26]
	;; [unrolled: 2-line block ×3, first 2 shown]
	v_add_f64_e64 v[23:24], v[23:24], -v[65:66]
	v_add_f64_e64 v[25:26], v[25:26], -v[69:70]
	;; [unrolled: 1-line block ×3, first 2 shown]
	v_fma_f64 v[43:44], v[51:52], v[43:44], v[43:44]
	v_mul_f64_e32 v[51:52], v[53:54], v[37:38]
	v_mul_f64_e32 v[55:56], v[45:46], v[39:40]
	;; [unrolled: 1-line block ×3, first 2 shown]
	s_delay_alu instid0(VALU_DEP_4) | instskip(NEXT) | instid1(VALU_DEP_4)
	v_mul_f64_e32 v[59:60], v[49:50], v[43:44]
	v_mul_f64_e32 v[63:64], v[29:30], v[51:52]
	s_delay_alu instid0(VALU_DEP_4) | instskip(NEXT) | instid1(VALU_DEP_4)
	v_mul_f64_e32 v[67:68], v[31:32], v[55:56]
	v_mul_f64_e32 v[71:72], v[33:34], v[57:58]
	s_delay_alu instid0(VALU_DEP_4) | instskip(NEXT) | instid1(VALU_DEP_4)
	v_mul_f64_e32 v[75:76], v[35:36], v[59:60]
	v_fma_f64 v[29:30], v[51:52], v[29:30], -v[63:64]
	s_delay_alu instid0(VALU_DEP_4) | instskip(NEXT) | instid1(VALU_DEP_4)
	v_fma_f64 v[31:32], v[55:56], v[31:32], -v[67:68]
	v_fma_f64 v[33:34], v[57:58], v[33:34], -v[71:72]
	s_delay_alu instid0(VALU_DEP_4) | instskip(NEXT) | instid1(VALU_DEP_4)
	v_fma_f64 v[35:36], v[59:60], v[35:36], -v[75:76]
	v_fma_f64 v[8:9], v[51:52], v[8:9], v[29:30]
	s_delay_alu instid0(VALU_DEP_4) | instskip(NEXT) | instid1(VALU_DEP_4)
	v_fma_f64 v[23:24], v[55:56], v[23:24], v[31:32]
	v_fma_f64 v[25:26], v[57:58], v[25:26], v[33:34]
	s_delay_alu instid0(VALU_DEP_4) | instskip(NEXT) | instid1(VALU_DEP_4)
	v_fma_f64 v[27:28], v[59:60], v[27:28], v[35:36]
	v_add_f64_e32 v[29:30], v[63:64], v[8:9]
	s_delay_alu instid0(VALU_DEP_4) | instskip(NEXT) | instid1(VALU_DEP_4)
	v_add_f64_e32 v[31:32], v[67:68], v[23:24]
	v_add_f64_e32 v[33:34], v[71:72], v[25:26]
	s_delay_alu instid0(VALU_DEP_4) | instskip(NEXT) | instid1(VALU_DEP_4)
	v_add_f64_e32 v[35:36], v[75:76], v[27:28]
	v_add_f64_e64 v[61:62], v[53:54], -v[29:30]
	v_add_f64_e64 v[63:64], v[29:30], -v[63:64]
	;; [unrolled: 1-line block ×20, first 2 shown]
	s_delay_alu instid0(VALU_DEP_4) | instskip(NEXT) | instid1(VALU_DEP_4)
	v_add_f64_e32 v[8:9], v[8:9], v[29:30]
	v_add_f64_e32 v[23:24], v[23:24], v[31:32]
	s_delay_alu instid0(VALU_DEP_4) | instskip(NEXT) | instid1(VALU_DEP_4)
	v_add_f64_e32 v[25:26], v[25:26], v[33:34]
	v_add_f64_e32 v[27:28], v[27:28], v[35:36]
	s_delay_alu instid0(VALU_DEP_4) | instskip(NEXT) | instid1(VALU_DEP_4)
	v_add_f64_e32 v[8:9], v[61:62], v[8:9]
	v_add_f64_e32 v[23:24], v[65:66], v[23:24]
	s_delay_alu instid0(VALU_DEP_4) | instskip(NEXT) | instid1(VALU_DEP_4)
	v_add_f64_e32 v[25:26], v[69:70], v[25:26]
	v_add_f64_e32 v[27:28], v[73:74], v[27:28]
	s_delay_alu instid0(VALU_DEP_4) | instskip(NEXT) | instid1(VALU_DEP_4)
	v_mul_f64_e32 v[8:9], v[37:38], v[8:9]
	v_mul_f64_e32 v[23:24], v[39:40], v[23:24]
	s_delay_alu instid0(VALU_DEP_4) | instskip(NEXT) | instid1(VALU_DEP_4)
	v_mul_f64_e32 v[25:26], v[41:42], v[25:26]
	v_mul_f64_e32 v[27:28], v[43:44], v[27:28]
	s_delay_alu instid0(VALU_DEP_4) | instskip(NEXT) | instid1(VALU_DEP_4)
	v_add_f64_e32 v[29:30], v[51:52], v[8:9]
	v_add_f64_e32 v[31:32], v[55:56], v[23:24]
	s_delay_alu instid0(VALU_DEP_4) | instskip(NEXT) | instid1(VALU_DEP_4)
	v_add_f64_e32 v[33:34], v[57:58], v[25:26]
	v_add_f64_e32 v[35:36], v[59:60], v[27:28]
	s_delay_alu instid0(VALU_DEP_4)
	v_add_f64_e64 v[37:38], v[29:30], -v[51:52]
	v_mul_f64_e32 v[45:46], v[29:30], v[29:30]
	v_add_f64_e64 v[39:40], v[31:32], -v[55:56]
	v_add_f64_e64 v[41:42], v[33:34], -v[57:58]
	;; [unrolled: 1-line block ×4, first 2 shown]
	v_mul_f64_e32 v[37:38], v[31:32], v[31:32]
	v_add_f64_e64 v[23:24], v[23:24], -v[39:40]
	v_mul_f64_e32 v[39:40], v[33:34], v[33:34]
	v_add_f64_e64 v[25:26], v[25:26], -v[41:42]
	;; [unrolled: 2-line block ×3, first 2 shown]
	v_fma_f64 v[43:44], v[29:30], v[29:30], -v[45:46]
	v_add_f64_e32 v[47:48], v[8:9], v[8:9]
	v_fma_f64 v[49:50], v[31:32], v[31:32], -v[37:38]
	v_add_f64_e32 v[51:52], v[23:24], v[23:24]
	;; [unrolled: 2-line block ×4, first 2 shown]
	v_fma_f64 v[43:44], v[29:30], v[47:48], v[43:44]
	v_fma_f64 v[47:48], v[31:32], v[51:52], v[49:50]
	;; [unrolled: 1-line block ×3, first 2 shown]
	s_delay_alu instid0(VALU_DEP_4) | instskip(NEXT) | instid1(VALU_DEP_4)
	v_fma_f64 v[51:52], v[35:36], v[59:60], v[57:58]
	v_add_f64_e32 v[53:54], v[45:46], v[43:44]
	s_delay_alu instid0(VALU_DEP_4) | instskip(NEXT) | instid1(VALU_DEP_4)
	v_add_f64_e32 v[55:56], v[37:38], v[47:48]
	v_add_f64_e32 v[57:58], v[39:40], v[49:50]
	s_delay_alu instid0(VALU_DEP_4) | instskip(NEXT) | instid1(VALU_DEP_4)
	v_add_f64_e32 v[59:60], v[41:42], v[51:52]
	v_fma_f64 v[61:62], v[53:54], s[28:29], s[26:27]
	v_add_f64_e64 v[45:46], v[53:54], -v[45:46]
	v_fma_f64 v[63:64], v[55:56], s[28:29], s[26:27]
	v_add_f64_e64 v[37:38], v[55:56], -v[37:38]
	;; [unrolled: 2-line block ×3, first 2 shown]
	v_mul_f64_e32 v[77:78], v[29:30], v[53:54]
	v_fma_f64 v[67:68], v[59:60], s[28:29], s[26:27]
	v_add_f64_e64 v[41:42], v[59:60], -v[41:42]
	v_fma_f64 v[61:62], v[53:54], v[61:62], s[30:31]
	v_add_f64_e64 v[43:44], v[43:44], -v[45:46]
	;; [unrolled: 2-line block ×5, first 2 shown]
	s_wait_alu 0xfffe
	v_fma_f64 v[61:62], v[53:54], v[61:62], s[34:35]
	v_fma_f64 v[63:64], v[55:56], v[63:64], s[34:35]
	;; [unrolled: 1-line block ×4, first 2 shown]
	s_delay_alu instid0(VALU_DEP_4) | instskip(NEXT) | instid1(VALU_DEP_4)
	v_fma_f64 v[61:62], v[53:54], v[61:62], s[36:37]
	v_fma_f64 v[63:64], v[55:56], v[63:64], s[36:37]
	s_delay_alu instid0(VALU_DEP_4) | instskip(NEXT) | instid1(VALU_DEP_4)
	v_fma_f64 v[65:66], v[57:58], v[65:66], s[36:37]
	v_fma_f64 v[67:68], v[59:60], v[67:68], s[36:37]
	;; [unrolled: 3-line block ×10, first 2 shown]
	s_delay_alu instid0(VALU_DEP_4) | instskip(NEXT) | instid1(VALU_DEP_4)
	v_mul_f64_e32 v[69:70], v[53:54], v[61:62]
	v_mul_f64_e32 v[71:72], v[55:56], v[63:64]
	s_delay_alu instid0(VALU_DEP_4) | instskip(NEXT) | instid1(VALU_DEP_4)
	v_mul_f64_e32 v[73:74], v[57:58], v[65:66]
	v_mul_f64_e32 v[75:76], v[59:60], v[67:68]
	s_delay_alu instid0(VALU_DEP_4) | instskip(NEXT) | instid1(VALU_DEP_4)
	v_fma_f64 v[45:46], v[53:54], v[61:62], -v[69:70]
	v_fma_f64 v[47:48], v[55:56], v[63:64], -v[71:72]
	s_delay_alu instid0(VALU_DEP_4) | instskip(NEXT) | instid1(VALU_DEP_4)
	v_fma_f64 v[49:50], v[57:58], v[65:66], -v[73:74]
	v_fma_f64 v[51:52], v[59:60], v[67:68], -v[75:76]
	s_delay_alu instid0(VALU_DEP_4)
	v_fma_f64 v[45:46], v[43:44], v[61:62], v[45:46]
	v_mul_f64_e32 v[61:62], v[31:32], v[55:56]
	v_fma_f64 v[47:48], v[37:38], v[63:64], v[47:48]
	v_mul_f64_e32 v[63:64], v[33:34], v[57:58]
	v_fma_f64 v[49:50], v[39:40], v[65:66], v[49:50]
	v_fma_f64 v[65:66], v[53:54], v[29:30], -v[77:78]
	v_fma_f64 v[51:52], v[41:42], v[67:68], v[51:52]
	v_add_f64_e32 v[67:68], v[69:70], v[45:46]
	v_fma_f64 v[83:84], v[55:56], v[31:32], -v[61:62]
	v_add_f64_e32 v[79:80], v[71:72], v[47:48]
	v_fma_f64 v[85:86], v[57:58], v[33:34], -v[63:64]
	v_add_f64_e32 v[81:82], v[73:74], v[49:50]
	v_fma_f64 v[53:54], v[53:54], v[8:9], v[65:66]
	v_ldexp_f64 v[8:9], v[8:9], 1
	v_add_f64_e32 v[87:88], v[75:76], v[51:52]
	v_add_f64_e64 v[65:66], v[67:68], -v[69:70]
	v_add_f64_e32 v[69:70], s[24:25], v[67:68]
	v_add_f64_e64 v[71:72], v[79:80], -v[71:72]
	;; [unrolled: 2-line block ×3, first 2 shown]
	v_fma_f64 v[55:56], v[55:56], v[23:24], v[83:84]
	v_fma_f64 v[57:58], v[57:58], v[25:26], v[85:86]
	v_add_f64_e32 v[83:84], s[24:25], v[81:82]
	v_fma_f64 v[43:44], v[43:44], v[29:30], v[53:54]
	v_ldexp_f64 v[29:30], v[29:30], 1
	v_add_f64_e64 v[75:76], v[87:88], -v[75:76]
	v_add_f64_e32 v[85:86], s[24:25], v[87:88]
	v_ldexp_f64 v[23:24], v[23:24], 1
	v_ldexp_f64 v[25:26], v[25:26], 1
	v_add_f64_e64 v[45:46], v[45:46], -v[65:66]
	v_add_f64_e32 v[65:66], s[50:51], v[69:70]
	v_add_f64_e64 v[47:48], v[47:48], -v[71:72]
	v_add_f64_e32 v[71:72], s[50:51], v[89:90]
	v_add_f64_e64 v[49:50], v[49:50], -v[73:74]
	v_mul_f64_e32 v[73:74], v[35:36], v[59:60]
	v_fma_f64 v[37:38], v[37:38], v[31:32], v[55:56]
	v_fma_f64 v[39:40], v[39:40], v[33:34], v[57:58]
	v_add_f64_e32 v[55:56], v[77:78], v[43:44]
	v_ldexp_f64 v[31:32], v[31:32], 1
	v_add_f64_e64 v[51:52], v[51:52], -v[75:76]
	v_add_f64_e32 v[75:76], s[50:51], v[83:84]
	v_ldexp_f64 v[33:34], v[33:34], 1
	v_add_f64_e32 v[45:46], s[52:53], v[45:46]
	v_add_f64_e64 v[65:66], v[67:68], -v[65:66]
	v_add_f64_e32 v[67:68], s[50:51], v[85:86]
	v_add_f64_e64 v[71:72], v[79:80], -v[71:72]
	v_add_f64_e32 v[47:48], s[52:53], v[47:48]
	v_fma_f64 v[79:80], v[59:60], v[35:36], -v[73:74]
	v_add_f64_e32 v[49:50], s[52:53], v[49:50]
	v_add_f64_e32 v[51:52], s[52:53], v[51:52]
	v_add_f64_e64 v[75:76], v[81:82], -v[75:76]
	v_add_f64_e32 v[45:46], v[45:46], v[65:66]
	v_add_f64_e64 v[53:54], v[87:88], -v[67:68]
	v_add_f64_e32 v[67:68], v[63:64], v[39:40]
	v_add_f64_e32 v[47:48], v[47:48], v[71:72]
	v_fma_f64 v[59:60], v[59:60], v[27:28], v[79:80]
	v_add_f64_e64 v[71:72], v[55:56], -v[77:78]
	v_ldexp_f64 v[27:28], v[27:28], 1
	v_add_f64_e32 v[49:50], v[49:50], v[75:76]
	v_add_f64_e32 v[51:52], v[51:52], v[53:54]
	;; [unrolled: 1-line block ×4, first 2 shown]
	v_fma_f64 v[41:42], v[41:42], v[35:36], v[59:60]
	v_add_f64_e32 v[59:60], v[61:62], v[37:38]
	v_add_f64_e64 v[43:44], v[43:44], -v[71:72]
	v_add_f64_e64 v[63:64], v[67:68], -v[63:64]
	v_ldexp_f64 v[35:36], v[35:36], 1
	v_add_f64_e32 v[65:66], v[83:84], v[49:50]
	v_add_f64_e32 v[75:76], v[85:86], v[51:52]
	v_add_f64_e64 v[69:70], v[69:70], -v[53:54]
	v_mul_f64_e32 v[79:80], v[55:56], v[53:54]
	v_add_f64_e32 v[77:78], v[73:74], v[41:42]
	v_add_f64_e64 v[81:82], v[89:90], -v[57:58]
	v_mul_f64_e32 v[87:88], v[59:60], v[57:58]
	v_add_f64_e64 v[61:62], v[59:60], -v[61:62]
	v_add_f64_e64 v[39:40], v[39:40], -v[63:64]
	;; [unrolled: 1-line block ×3, first 2 shown]
	v_mul_f64_e32 v[89:90], v[67:68], v[65:66]
	v_add_f64_e64 v[71:72], v[85:86], -v[75:76]
	v_add_f64_e32 v[45:46], v[45:46], v[69:70]
	v_fma_f64 v[69:70], v[55:56], v[53:54], -v[79:80]
	v_mul_f64_e32 v[85:86], v[77:78], v[75:76]
	v_add_f64_e32 v[47:48], v[47:48], v[81:82]
	v_fma_f64 v[81:82], v[59:60], v[57:58], -v[87:88]
	v_add_f64_e64 v[73:74], v[77:78], -v[73:74]
	v_add_f64_e64 v[37:38], v[37:38], -v[61:62]
	v_add_f64_e32 v[49:50], v[49:50], v[83:84]
	v_fma_f64 v[83:84], v[67:68], v[65:66], -v[89:90]
	v_add_f64_e32 v[51:52], v[51:52], v[71:72]
	v_fma_f64 v[45:46], v[55:56], v[45:46], v[69:70]
	v_fma_f64 v[71:72], v[77:78], v[75:76], -v[85:86]
	v_frexp_exp_i32_f64_e32 v56, v[4:5]
	v_fma_f64 v[47:48], v[59:60], v[47:48], v[81:82]
	v_add_f64_e64 v[41:42], v[41:42], -v[73:74]
	v_frexp_exp_i32_f64_e32 v55, v[2:3]
	v_fma_f64 v[49:50], v[67:68], v[49:50], v[83:84]
	v_fma_f64 v[43:44], v[43:44], v[53:54], v[45:46]
	;; [unrolled: 1-line block ×3, first 2 shown]
	v_frexp_exp_i32_f64_e32 v53, v[20:21]
	v_fma_f64 v[37:38], v[37:38], v[57:58], v[47:48]
	v_frexp_exp_i32_f64_e32 v54, v[6:7]
	v_subrev_co_ci_u32_e64 v59, null, 0, v56, s2
	v_subrev_co_ci_u32_e64 v58, null, 0, v55, s1
	v_fma_f64 v[39:40], v[39:40], v[65:66], v[49:50]
	s_delay_alu instid0(VALU_DEP_3)
	v_cvt_f64_i32_e32 v[59:60], v59
	v_add_f64_e32 v[45:46], v[79:80], v[43:44]
	v_fma_f64 v[41:42], v[41:42], v[75:76], v[51:52]
	v_subrev_co_ci_u32_e64 v53, null, 0, v53, vcc_lo
	v_add_f64_e32 v[47:48], v[87:88], v[37:38]
	v_subrev_co_ci_u32_e64 v57, null, 0, v54, s0
	s_delay_alu instid0(VALU_DEP_3) | instskip(SKIP_1) | instid1(VALU_DEP_3)
	v_cvt_f64_i32_e32 v[53:54], v53
	v_add_f64_e32 v[49:50], v[89:90], v[39:40]
	v_cvt_f64_i32_e32 v[55:56], v57
	v_cvt_f64_i32_e32 v[57:58], v58
	v_mul_f64_e32 v[83:84], s[46:47], v[59:60]
	v_add_f64_e32 v[61:62], v[29:30], v[45:46]
	v_add_f64_e32 v[51:52], v[85:86], v[41:42]
	v_add_f64_e64 v[63:64], v[45:46], -v[79:80]
	v_add_f64_e32 v[65:66], v[31:32], v[47:48]
	v_add_f64_e64 v[67:68], v[47:48], -v[87:88]
	v_mul_f64_e32 v[77:78], s[46:47], v[53:54]
	v_add_f64_e32 v[69:70], v[33:34], v[49:50]
	v_add_f64_e64 v[71:72], v[49:50], -v[89:90]
	v_mul_f64_e32 v[79:80], s[46:47], v[55:56]
	v_mul_f64_e32 v[81:82], s[46:47], v[57:58]
	v_add_f64_e64 v[29:30], v[61:62], -v[29:30]
	v_add_f64_e32 v[73:74], v[35:36], v[51:52]
	v_add_f64_e64 v[75:76], v[51:52], -v[85:86]
	v_add_f64_e64 v[43:44], v[43:44], -v[63:64]
	;; [unrolled: 1-line block ×4, first 2 shown]
	v_fma_f64 v[63:64], v[53:54], s[46:47], -v[77:78]
	v_add_f64_e64 v[33:34], v[69:70], -v[33:34]
	v_add_f64_e64 v[39:40], v[39:40], -v[71:72]
	v_fma_f64 v[67:68], v[55:56], s[46:47], -v[79:80]
	v_add_f64_e64 v[29:30], v[45:46], -v[29:30]
	v_add_f64_e64 v[35:36], v[73:74], -v[35:36]
	v_add_f64_e64 v[41:42], v[41:42], -v[75:76]
	v_add_f64_e32 v[8:9], v[8:9], v[43:44]
	v_add_f64_e64 v[31:32], v[47:48], -v[31:32]
	v_add_f64_e32 v[23:24], v[23:24], v[37:38]
	v_fma_f64 v[37:38], v[59:60], s[46:47], -v[83:84]
	v_fma_f64 v[43:44], v[57:58], s[46:47], -v[81:82]
	v_add_f64_e64 v[33:34], v[49:50], -v[33:34]
	v_add_f64_e32 v[25:26], v[25:26], v[39:40]
	v_fma_f64 v[39:40], v[53:54], s[48:49], v[63:64]
	v_add_f64_e64 v[35:36], v[51:52], -v[35:36]
	v_add_f64_e32 v[27:28], v[27:28], v[41:42]
	v_add_f64_e32 v[8:9], v[8:9], v[29:30]
	v_fma_f64 v[29:30], v[55:56], s[48:49], v[67:68]
	v_add_f64_e32 v[23:24], v[23:24], v[31:32]
	v_fma_f64 v[31:32], v[57:58], s[48:49], v[43:44]
	;; [unrolled: 2-line block ×3, first 2 shown]
	v_add_f64_e32 v[27:28], v[27:28], v[35:36]
	v_add_f64_e32 v[35:36], v[77:78], v[39:40]
	;; [unrolled: 1-line block ×9, first 2 shown]
	v_add_f64_e64 v[75:76], v[35:36], -v[77:78]
	v_add_f64_e32 v[53:54], v[35:36], v[37:38]
	v_add_f64_e64 v[61:62], v[37:38], -v[61:62]
	v_add_f64_e32 v[55:56], v[41:42], v[43:44]
	v_add_f64_e64 v[79:80], v[41:42], -v[79:80]
	v_add_f64_e64 v[65:66], v[43:44], -v[65:66]
	;; [unrolled: 1-line block ×3, first 2 shown]
	v_add_f64_e32 v[57:58], v[45:46], v[47:48]
	v_add_f64_e64 v[83:84], v[49:50], -v[83:84]
	v_add_f64_e64 v[69:70], v[47:48], -v[69:70]
	v_add_f64_e32 v[59:60], v[49:50], v[51:52]
	v_add_f64_e64 v[39:40], v[39:40], -v[75:76]
	v_add_f64_e64 v[63:64], v[53:54], -v[35:36]
	;; [unrolled: 1-line block ×16, first 2 shown]
	v_add_f64_e32 v[61:62], v[39:40], v[8:9]
	v_add_f64_e64 v[27:28], v[27:28], -v[73:74]
	v_add_f64_e64 v[89:90], v[57:58], -v[71:72]
	;; [unrolled: 1-line block ×9, first 2 shown]
	s_delay_alu instid0(VALU_DEP_4)
	v_add_f64_e32 v[35:36], v[37:38], v[35:36]
	v_add_f64_e32 v[37:38], v[29:30], v[23:24]
	;; [unrolled: 1-line block ×7, first 2 shown]
	v_add_f64_e64 v[51:52], v[61:62], -v[39:40]
	v_add_f64_e32 v[35:36], v[61:62], v[35:36]
	v_add_f64_e64 v[63:64], v[37:38], -v[29:30]
	v_add_f64_e32 v[41:42], v[37:38], v[41:42]
	;; [unrolled: 2-line block ×6, first 2 shown]
	v_add_f64_e64 v[8:9], v[8:9], -v[51:52]
	v_add_f64_e64 v[23:24], v[23:24], -v[63:64]
	;; [unrolled: 1-line block ×3, first 2 shown]
	v_add_f64_e32 v[73:74], v[57:58], v[45:46]
	v_add_f64_e64 v[47:48], v[47:48], -v[67:68]
	v_add_f64_e64 v[25:26], v[25:26], -v[65:66]
	;; [unrolled: 1-line block ×3, first 2 shown]
	v_add_f64_e32 v[75:76], v[59:60], v[49:50]
	v_add_f64_e64 v[39:40], v[39:40], -v[61:62]
	v_add_f64_e64 v[51:52], v[69:70], -v[53:54]
	;; [unrolled: 1-line block ×8, first 2 shown]
	v_add_f64_e32 v[8:9], v[8:9], v[39:40]
	v_add_f64_e64 v[35:36], v[35:36], -v[51:52]
	v_add_f64_e32 v[23:24], v[23:24], v[29:30]
	v_add_f64_e64 v[29:30], v[41:42], -v[37:38]
	;; [unrolled: 2-line block ×4, first 2 shown]
	v_add_f64_e32 v[8:9], v[8:9], v[35:36]
	v_add_f64_e32 v[23:24], v[23:24], v[29:30]
	v_add_f64_e32 v[25:26], v[25:26], v[31:32]
	s_delay_alu instid0(VALU_DEP_4) | instskip(NEXT) | instid1(VALU_DEP_4)
	v_add_f64_e32 v[27:28], v[27:28], v[33:34]
	v_add_f64_e32 v[29:30], v[69:70], v[8:9]
	s_delay_alu instid0(VALU_DEP_4) | instskip(NEXT) | instid1(VALU_DEP_4)
	v_add_f64_e32 v[31:32], v[71:72], v[23:24]
	v_add_f64_e32 v[33:34], v[73:74], v[25:26]
	s_delay_alu instid0(VALU_DEP_4) | instskip(NEXT) | instid1(VALU_DEP_4)
	v_add_f64_e32 v[35:36], v[75:76], v[27:28]
	v_add_f64_e64 v[37:38], v[29:30], -v[69:70]
	v_mul_f64_e32 v[39:40], v[18:19], v[29:30]
	v_add_f64_e64 v[41:42], v[31:32], -v[71:72]
	v_mul_f64_e32 v[43:44], v[14:15], v[31:32]
	;; [unrolled: 2-line block ×4, first 2 shown]
	v_add_f64_e64 v[8:9], v[8:9], -v[37:38]
	v_fma_f64 v[29:30], v[18:19], v[29:30], -v[39:40]
	v_add_f64_e64 v[23:24], v[23:24], -v[41:42]
	v_fma_f64 v[31:32], v[14:15], v[31:32], -v[43:44]
	v_cmp_class_f64_e64 vcc_lo, v[39:40], 0x204
	v_cmp_class_f64_e64 s0, v[43:44], 0x204
	v_add_f64_e64 v[25:26], v[25:26], -v[45:46]
	v_fma_f64 v[33:34], v[12:13], v[33:34], -v[47:48]
	v_cmp_class_f64_e64 s1, v[47:48], 0x204
	v_add_f64_e64 v[27:28], v[27:28], -v[49:50]
	v_fma_f64 v[35:36], v[16:17], v[35:36], -v[51:52]
	v_cmp_class_f64_e64 s2, v[51:52], 0x204
	v_fma_f64 v[8:9], v[18:19], v[8:9], v[29:30]
	v_fma_f64 v[23:24], v[14:15], v[23:24], v[31:32]
	;; [unrolled: 1-line block ×4, first 2 shown]
	s_delay_alu instid0(VALU_DEP_4) | instskip(NEXT) | instid1(VALU_DEP_4)
	v_add_f64_e32 v[29:30], v[39:40], v[8:9]
	v_add_f64_e32 v[31:32], v[43:44], v[23:24]
	s_delay_alu instid0(VALU_DEP_4) | instskip(NEXT) | instid1(VALU_DEP_4)
	v_add_f64_e32 v[33:34], v[47:48], v[25:26]
	v_add_f64_e32 v[35:36], v[51:52], v[27:28]
	s_wait_alu 0xfffd
	s_delay_alu instid0(VALU_DEP_4)
	v_dual_cndmask_b32 v38, v30, v40 :: v_dual_cndmask_b32 v37, v29, v39
	v_add_f64_e64 v[29:30], v[29:30], -v[39:40]
	s_wait_alu 0xf1ff
	v_cndmask_b32_e64 v42, v32, v44, s0
	v_cndmask_b32_e64 v41, v31, v43, s0
	v_add_f64_e64 v[31:32], v[31:32], -v[43:44]
	v_cmp_neq_f64_e64 vcc_lo, 0x7ff00000, |v[37:38]|
	v_cndmask_b32_e64 v46, v34, v48, s1
	v_cndmask_b32_e64 v45, v33, v47, s1
	v_mul_f64_e32 v[55:56], s[54:55], v[41:42]
	v_cmp_nlt_f64_e64 s5, 0x40900000, v[41:42]
	v_add_f64_e64 v[33:34], v[33:34], -v[47:48]
	v_cmp_ngt_f64_e64 s6, 0xc090cc00, v[41:42]
	v_mul_f64_e32 v[57:58], s[54:55], v[45:46]
	v_cmp_nlt_f64_e64 s7, 0x40900000, v[45:46]
	v_cmp_ngt_f64_e64 s8, 0xc090cc00, v[45:46]
	v_cmp_neq_f64_e64 s0, 0x7ff00000, |v[41:42]|
	v_cmp_neq_f64_e64 s1, 0x7ff00000, |v[45:46]|
	v_cmp_lt_f64_e64 s84, |v[20:21]|, 1.0
	v_cndmask_b32_e64 v54, v36, v52, s2
	v_cndmask_b32_e64 v53, v35, v51, s2
	v_add_f64_e64 v[35:36], v[35:36], -v[51:52]
	v_trunc_f64_e32 v[51:52], v[18:19]
	v_add_f64_e64 v[8:9], v[8:9], -v[29:30]
	s_delay_alu instid0(VALU_DEP_4)
	v_mul_f64_e32 v[59:60], s[54:55], v[53:54]
	v_cmp_nlt_f64_e64 s9, 0x40900000, v[53:54]
	v_cmp_ngt_f64_e64 s10, 0xc090cc00, v[53:54]
	v_add_f64_e64 v[23:24], v[23:24], -v[31:32]
	v_cmp_neq_f64_e64 s2, 0x7ff00000, |v[53:54]|
	v_rndne_f64_e32 v[55:56], v[55:56]
	v_add_f64_e64 v[25:26], v[25:26], -v[33:34]
	v_rndne_f64_e32 v[57:58], v[57:58]
	v_add_f64_e64 v[27:28], v[27:28], -v[35:36]
	v_cmp_eq_f64_e64 s11, v[51:52], v[18:19]
	s_wait_alu 0xfffd
	v_cndmask_b32_e32 v9, 0, v9, vcc_lo
	v_mul_f64_e32 v[49:50], s[54:55], v[37:38]
	v_rndne_f64_e32 v[59:60], v[59:60]
	v_cmp_nlt_f64_e64 s3, 0x40900000, v[37:38]
	v_cmp_ngt_f64_e64 s4, 0xc090cc00, v[37:38]
	s_wait_alu 0xf1ff
	v_cndmask_b32_e64 v24, 0, v24, s0
	v_cndmask_b32_e64 v23, 0, v23, s0
	v_fma_f64 v[63:64], v[55:56], s[56:57], v[41:42]
	v_cndmask_b32_e64 v26, 0, v26, s1
	v_cndmask_b32_e64 v25, 0, v25, s1
	v_fma_f64 v[65:66], v[57:58], s[56:57], v[45:46]
	v_cndmask_b32_e64 v28, 0, v28, s2
	v_cndmask_b32_e64 v27, 0, v27, s2
	v_rndne_f64_e32 v[49:50], v[49:50]
	v_fma_f64 v[67:68], v[59:60], s[56:57], v[53:54]
	v_fma_f64 v[63:64], v[55:56], s[58:59], v[63:64]
	;; [unrolled: 1-line block ×3, first 2 shown]
	s_delay_alu instid0(VALU_DEP_4) | instskip(NEXT) | instid1(VALU_DEP_4)
	v_fma_f64 v[61:62], v[49:50], s[56:57], v[37:38]
	v_fma_f64 v[67:68], v[59:60], s[58:59], v[67:68]
	v_cvt_i32_f64_e32 v77, v[49:50]
	v_fma_f64 v[71:72], v[63:64], s[62:63], s[60:61]
	v_fma_f64 v[73:74], v[65:66], s[62:63], s[60:61]
	;; [unrolled: 1-line block ×4, first 2 shown]
	s_delay_alu instid0(VALU_DEP_4) | instskip(NEXT) | instid1(VALU_DEP_4)
	v_fma_f64 v[71:72], v[63:64], v[71:72], s[64:65]
	v_fma_f64 v[73:74], v[65:66], v[73:74], s[64:65]
	s_delay_alu instid0(VALU_DEP_4) | instskip(NEXT) | instid1(VALU_DEP_4)
	v_fma_f64 v[69:70], v[61:62], s[62:63], s[60:61]
	v_fma_f64 v[75:76], v[67:68], v[75:76], s[64:65]
	;; [unrolled: 3-line block ×16, first 2 shown]
	s_delay_alu instid0(VALU_DEP_4) | instskip(NEXT) | instid1(VALU_DEP_4)
	v_fma_f64 v[71:72], v[63:64], v[71:72], 1.0
	v_fma_f64 v[73:74], v[65:66], v[73:74], 1.0
	s_delay_alu instid0(VALU_DEP_4) | instskip(NEXT) | instid1(VALU_DEP_4)
	v_fma_f64 v[69:70], v[61:62], v[69:70], s[78:79]
	v_fma_f64 v[75:76], v[67:68], v[75:76], 1.0
	s_delay_alu instid0(VALU_DEP_2) | instskip(NEXT) | instid1(VALU_DEP_1)
	v_fma_f64 v[69:70], v[61:62], v[69:70], 1.0
	v_fma_f64 v[49:50], v[61:62], v[69:70], 1.0
	v_cvt_i32_f64_e32 v69, v[55:56]
	v_fma_f64 v[55:56], v[63:64], v[71:72], 1.0
	v_cvt_i32_f64_e32 v70, v[57:58]
	;; [unrolled: 2-line block ×3, first 2 shown]
	v_fma_f64 v[59:60], v[67:68], v[75:76], 1.0
	v_mul_f64_e32 v[61:62], 0.5, v[18:19]
	v_mul_f64_e32 v[63:64], 0.5, v[14:15]
	;; [unrolled: 1-line block ×4, first 2 shown]
	v_ldexp_f64 v[39:40], v[49:50], v77
	v_cndmask_b32_e32 v8, 0, v8, vcc_lo
	v_ldexp_f64 v[43:44], v[55:56], v69
	s_and_b32 vcc_lo, s4, s3
	v_ldexp_f64 v[47:48], v[57:58], v70
	v_trunc_f64_e32 v[55:56], v[14:15]
	v_ldexp_f64 v[49:50], v[59:60], v71
	v_trunc_f64_e32 v[69:70], v[61:62]
	v_trunc_f64_e32 v[71:72], v[63:64]
	;; [unrolled: 1-line block ×6, first 2 shown]
	v_cndmask_b32_e64 v29, 0x7ff00000, v40, s3
	v_cndmask_b32_e64 v31, 0x7ff00000, v44, s5
	v_cndmask_b32_e64 v33, 0x7ff00000, v48, s7
	s_delay_alu instid0(VALU_DEP_3)
	v_cndmask_b32_e64 v30, 0, v29, s4
	s_wait_alu 0xfffe
	v_cndmask_b32_e32 v29, 0, v39, vcc_lo
	s_and_b32 vcc_lo, s6, s5
	v_cndmask_b32_e64 v35, 0x7ff00000, v50, s9
	v_cndmask_b32_e64 v32, 0, v31, s6
	;; [unrolled: 1-line block ×3, first 2 shown]
	v_fma_f64 v[8:9], v[29:30], v[8:9], v[29:30]
	s_wait_alu 0xfffe
	v_cndmask_b32_e32 v31, 0, v43, vcc_lo
	s_and_b32 vcc_lo, s8, s7
	v_cndmask_b32_e64 v36, 0, v35, s10
	s_wait_alu 0xfffe
	v_cndmask_b32_e32 v33, 0, v47, vcc_lo
	s_and_b32 vcc_lo, s10, s9
	v_cmp_neq_f64_e64 s15, v[69:70], v[61:62]
	s_wait_alu 0xfffe
	v_cndmask_b32_e32 v35, 0, v49, vcc_lo
	v_cmp_class_f64_e64 vcc_lo, v[29:30], 0x204
	v_cmp_eq_f64_e64 s12, v[55:56], v[14:15]
	v_cmp_neq_f64_e64 s16, v[71:72], v[63:64]
	v_cmp_eq_f64_e64 s13, v[57:58], v[12:13]
	v_cmp_neq_f64_e64 s17, v[73:74], v[65:66]
	;; [unrolled: 2-line block ×3, first 2 shown]
	v_fma_f64 v[25:26], v[33:34], v[25:26], v[33:34]
	v_cmp_class_f64_e64 s1, v[33:34], 0x204
	v_fma_f64 v[27:28], v[35:36], v[27:28], v[35:36]
	v_cmp_class_f64_e64 s2, v[35:36], 0x204
	v_cmp_gt_f64_e64 s7, 0, v[4:5]
	v_cmp_eq_f64_e64 s9, 0, v[20:21]
	v_cmp_gt_f64_e64 s8, 0, v[14:15]
	v_cmp_gt_f64_e64 s10, 0, v[12:13]
	s_and_b32 s3, s11, s15
	s_xor_b32 s15, s80, s84
	s_wait_alu 0xfffd
	v_cndmask_b32_e32 v8, v8, v29, vcc_lo
	v_fma_f64 v[23:24], v[31:32], v[23:24], v[31:32]
	v_cmp_class_f64_e64 s0, v[31:32], 0x204
	s_wait_alu 0xfffe
	v_cndmask_b32_e64 v37, 0x3ff00000, v21, s3
	s_and_b32 s4, s12, s16
	v_cndmask_b32_e32 v9, v9, v30, vcc_lo
	s_wait_alu 0xfffe
	v_cndmask_b32_e64 v38, 0x3ff00000, v7, s4
	s_and_b32 s5, s13, s17
	s_and_b32 s6, s14, s18
	s_wait_alu 0xfffe
	v_cndmask_b32_e64 v39, 0x3ff00000, v3, s5
	v_cndmask_b32_e64 v26, v26, v34, s1
	v_bfi_b32 v9, 0x7fffffff, v9, v37
	v_cndmask_b32_e64 v37, 0x7ff00000, 0, s15
	s_xor_b32 s15, s81, s85
	v_cndmask_b32_e64 v40, 0x3ff00000, v5, s6
	v_cndmask_b32_e64 v28, v28, v36, s2
	v_bfi_b32 v26, 0x7fffffff, v26, v39
	v_cndmask_b32_e64 v25, v25, v33, s1
	v_cndmask_b32_e64 v27, v27, v35, s2
	v_cmp_gt_f64_e64 s1, 0, v[6:7]
	v_bfi_b32 v28, 0x7fffffff, v28, v40
	v_cmp_gt_f64_e64 s2, 0, v[2:3]
	v_cmp_gt_f64_e32 vcc_lo, 0, v[18:19]
	v_cndmask_b32_e64 v29, 0x7ff80000, v9, s11
	v_cndmask_b32_e64 v30, 0, v8, s11
	;; [unrolled: 1-line block ×6, first 2 shown]
	v_cmp_class_f64_e64 s16, v[20:21], 0x204
	v_cmp_eq_f64_e64 s11, 0, v[6:7]
	v_cmp_eq_f64_e64 s13, 0, v[2:3]
	;; [unrolled: 1-line block ×3, first 2 shown]
	v_cmp_class_f64_e64 s17, v[6:7], 0x204
	v_cmp_class_f64_e64 s18, v[2:3], 0x204
	v_cndmask_b32_e64 v27, v27, v36, s7
	v_cndmask_b32_e64 v28, v28, v35, s7
	v_cmp_class_f64_e64 s7, v[16:17], 0x204
	v_cndmask_b32_e64 v35, 0, v3, s5
	v_cndmask_b32_e64 v36, 0, v5, s6
	v_cndmask_b32_e64 v24, v24, v32, s0
	v_cndmask_b32_e64 v23, v23, v31, s0
	v_cmp_gt_f64_e64 s0, 0, v[20:21]
	s_delay_alu instid0(VALU_DEP_3)
	v_bfi_b32 v24, 0x7fffffff, v24, v38
	s_wait_alu 0xfffe
	v_cndmask_b32_e64 v38, 0x7ff00000, 0, s15
	s_xor_b32 s15, s82, s86
	v_cndmask_b32_e64 v32, 0, v23, s12
	s_wait_alu 0xfffe
	v_cndmask_b32_e64 v39, 0x7ff00000, 0, s15
	s_xor_b32 s15, s83, s87
	v_cndmask_b32_e64 v31, 0x7ff80000, v24, s12
	s_wait_alu 0xfffe
	v_cndmask_b32_e64 v40, 0x7ff00000, 0, s15
	v_cmp_neq_f64_e64 s15, |v[20:21]|, 1.0
	v_cmp_gt_f64_e64 s12, 0, v[16:17]
	v_cndmask_b32_e64 v23, v23, v32, s1
	v_cndmask_b32_e64 v24, v24, v31, s1
	;; [unrolled: 1-line block ×3, first 2 shown]
	v_cmp_class_f64_e64 s1, v[14:15], 0x204
	v_cndmask_b32_e64 v26, v26, v33, s2
	v_cmp_class_f64_e64 s2, v[12:13], 0x204
	v_cndmask_b32_e64 v33, 0, v21, s3
	v_cndmask_b32_e64 v34, 0, v7, s4
	s_xor_b32 s8, s8, s11
	s_or_b32 s5, s14, s88
	s_or_b32 s3, s11, s17
	s_or_b32 s4, s13, s18
	v_cndmask_b32_e64 v8, v8, v30, s0
	v_cndmask_b32_e64 v9, v9, v29, s0
	v_cmp_class_f64_e64 s0, v[18:19], 0x204
	s_wait_alu 0xfffe
	v_cndmask_b32_e64 v30, 0x7ff00000, 0, s8
	s_xor_b32 s8, s10, s13
	s_wait_alu 0xfffe
	v_cndmask_b32_e64 v31, 0x7ff00000, 0, s8
	s_delay_alu instid0(VALU_DEP_2)
	v_bfi_b32 v30, 0x7fffffff, v30, v34
	v_cndmask_b32_e64 v37, 0x3ff00000, v37, s15
	v_cmp_neq_f64_e64 s15, |v[6:7]|, 1.0
	s_xor_b32 s8, s12, s14
	v_bfi_b32 v31, 0x7fffffff, v31, v35
	s_wait_alu 0xfffe
	v_cndmask_b32_e64 v32, 0x7ff00000, 0, s8
	s_delay_alu instid0(VALU_DEP_1) | instskip(SKIP_3) | instid1(VALU_DEP_2)
	v_bfi_b32 v32, 0x7fffffff, v32, v36
	v_cndmask_b32_e64 v9, v9, v37, s0
	v_cndmask_b32_e64 v38, 0x3ff00000, v38, s15
	v_cmp_neq_f64_e64 s15, |v[2:3]|, 1.0
	v_cndmask_b32_e64 v24, v24, v38, s1
	s_delay_alu instid0(VALU_DEP_1) | instskip(SKIP_1) | instid1(VALU_DEP_3)
	v_cndmask_b32_e64 v24, v24, v30, s3
	s_wait_alu 0xf1ff
	v_cndmask_b32_e64 v39, 0x3ff00000, v39, s15
	v_cmp_neq_f64_e64 s15, |v[4:5]|, 1.0
	s_delay_alu instid0(VALU_DEP_2) | instskip(NEXT) | instid1(VALU_DEP_1)
	v_cndmask_b32_e64 v26, v26, v39, s2
	v_cndmask_b32_e64 v26, v26, v31, s4
	s_wait_alu 0xf1ff
	s_delay_alu instid0(VALU_DEP_3)
	v_cndmask_b32_e64 v40, 0x3ff00000, v40, s15
	s_xor_b32 s15, vcc_lo, s9
	s_or_b32 vcc_lo, s9, s16
	s_wait_alu 0xfffe
	v_cndmask_b32_e64 v29, 0x7ff00000, 0, s15
	s_or_b32 s0, vcc_lo, s0
	v_cndmask_b32_e64 v28, v28, v40, s7
	s_wait_alu 0xfffe
	v_cndmask_b32_e64 v8, v8, 0, s0
	s_or_b32 s0, s3, s1
	v_bfi_b32 v29, 0x7fffffff, v29, v33
	s_or_b32 s1, s4, s2
	s_or_b32 s2, s5, s7
	v_add_co_u32 v0, s3, v0, s21
	s_delay_alu instid0(VALU_DEP_2)
	v_cndmask_b32_e32 v9, v9, v29, vcc_lo
	v_cmp_o_f64_e32 vcc_lo, v[20:21], v[18:19]
	s_wait_alu 0xfffe
	v_cndmask_b32_e64 v18, v23, 0, s0
	v_cmp_o_f64_e64 s0, v[6:7], v[14:15]
	v_cndmask_b32_e64 v6, v25, 0, s1
	v_cmp_o_f64_e64 s1, v[2:3], v[12:13]
	;; [unrolled: 2-line block ×3, first 2 shown]
	s_wait_alu 0xf1ff
	v_add_co_ci_u32_e64 v1, null, 0, v1, s3
	v_cndmask_b32_e64 v28, v28, v32, s5
	s_delay_alu instid0(VALU_DEP_2)
	v_lshlrev_b64_e32 v[12:13], 2, v[0:1]
	s_wait_alu 0xfffd
	v_cndmask_b32_e32 v2, 0, v8, vcc_lo
	v_cndmask_b32_e64 v4, 0, v18, s0
	v_cndmask_b32_e64 v5, 0x7ff80000, v24, s0
	;; [unrolled: 1-line block ×5, first 2 shown]
	v_cndmask_b32_e32 v3, 0x7ff80000, v9, vcc_lo
	v_cndmask_b32_e64 v9, 0x7ff80000, v28, s2
	v_cmp_le_i64_e32 vcc_lo, s[22:23], v[12:13]
	s_clause 0x1
	global_store_b128 v[10:11], v[2:5], off offset:-16
	global_store_b128 v[10:11], v[6:9], off
	v_add_co_u32 v10, s0, v10, s33
	s_wait_alu 0xf1ff
	v_add_co_ci_u32_e64 v11, null, 0, v11, s0
	s_or_b32 s19, vcc_lo, s19
	s_wait_alu 0xfffe
	s_and_not1_b32 exec_lo, exec_lo, s19
	s_cbranch_execnz .LBB53_24
.LBB53_25:
	s_endpgm
	.section	.rodata,"a",@progbits
	.p2align	6, 0x0
	.amdhsa_kernel _ZN2at6native12_GLOBAL__N_125multi_tensor_apply_kernelINS1_18TensorListMetadataILi1EEENS1_21BinaryOpScalarFunctorIdLi1ELi1ELi0EEEJNS1_13power_functorIdEEdEEEvT_T0_DpT1_
		.amdhsa_group_segment_fixed_size 0
		.amdhsa_private_segment_fixed_size 0
		.amdhsa_kernarg_size 3640
		.amdhsa_user_sgpr_count 2
		.amdhsa_user_sgpr_dispatch_ptr 0
		.amdhsa_user_sgpr_queue_ptr 0
		.amdhsa_user_sgpr_kernarg_segment_ptr 1
		.amdhsa_user_sgpr_dispatch_id 0
		.amdhsa_user_sgpr_private_segment_size 0
		.amdhsa_wavefront_size32 1
		.amdhsa_uses_dynamic_stack 0
		.amdhsa_enable_private_segment 0
		.amdhsa_system_sgpr_workgroup_id_x 1
		.amdhsa_system_sgpr_workgroup_id_y 0
		.amdhsa_system_sgpr_workgroup_id_z 0
		.amdhsa_system_sgpr_workgroup_info 0
		.amdhsa_system_vgpr_workitem_id 0
		.amdhsa_next_free_vgpr 91
		.amdhsa_next_free_sgpr 89
		.amdhsa_reserve_vcc 1
		.amdhsa_float_round_mode_32 0
		.amdhsa_float_round_mode_16_64 0
		.amdhsa_float_denorm_mode_32 3
		.amdhsa_float_denorm_mode_16_64 3
		.amdhsa_fp16_overflow 0
		.amdhsa_workgroup_processor_mode 1
		.amdhsa_memory_ordered 1
		.amdhsa_forward_progress 1
		.amdhsa_inst_pref_size 115
		.amdhsa_round_robin_scheduling 0
		.amdhsa_exception_fp_ieee_invalid_op 0
		.amdhsa_exception_fp_denorm_src 0
		.amdhsa_exception_fp_ieee_div_zero 0
		.amdhsa_exception_fp_ieee_overflow 0
		.amdhsa_exception_fp_ieee_underflow 0
		.amdhsa_exception_fp_ieee_inexact 0
		.amdhsa_exception_int_div_zero 0
	.end_amdhsa_kernel
	.section	.text._ZN2at6native12_GLOBAL__N_125multi_tensor_apply_kernelINS1_18TensorListMetadataILi1EEENS1_21BinaryOpScalarFunctorIdLi1ELi1ELi0EEEJNS1_13power_functorIdEEdEEEvT_T0_DpT1_,"axG",@progbits,_ZN2at6native12_GLOBAL__N_125multi_tensor_apply_kernelINS1_18TensorListMetadataILi1EEENS1_21BinaryOpScalarFunctorIdLi1ELi1ELi0EEEJNS1_13power_functorIdEEdEEEvT_T0_DpT1_,comdat
.Lfunc_end53:
	.size	_ZN2at6native12_GLOBAL__N_125multi_tensor_apply_kernelINS1_18TensorListMetadataILi1EEENS1_21BinaryOpScalarFunctorIdLi1ELi1ELi0EEEJNS1_13power_functorIdEEdEEEvT_T0_DpT1_, .Lfunc_end53-_ZN2at6native12_GLOBAL__N_125multi_tensor_apply_kernelINS1_18TensorListMetadataILi1EEENS1_21BinaryOpScalarFunctorIdLi1ELi1ELi0EEEJNS1_13power_functorIdEEdEEEvT_T0_DpT1_
                                        ; -- End function
	.set _ZN2at6native12_GLOBAL__N_125multi_tensor_apply_kernelINS1_18TensorListMetadataILi1EEENS1_21BinaryOpScalarFunctorIdLi1ELi1ELi0EEEJNS1_13power_functorIdEEdEEEvT_T0_DpT1_.num_vgpr, 91
	.set _ZN2at6native12_GLOBAL__N_125multi_tensor_apply_kernelINS1_18TensorListMetadataILi1EEENS1_21BinaryOpScalarFunctorIdLi1ELi1ELi0EEEJNS1_13power_functorIdEEdEEEvT_T0_DpT1_.num_agpr, 0
	.set _ZN2at6native12_GLOBAL__N_125multi_tensor_apply_kernelINS1_18TensorListMetadataILi1EEENS1_21BinaryOpScalarFunctorIdLi1ELi1ELi0EEEJNS1_13power_functorIdEEdEEEvT_T0_DpT1_.numbered_sgpr, 89
	.set _ZN2at6native12_GLOBAL__N_125multi_tensor_apply_kernelINS1_18TensorListMetadataILi1EEENS1_21BinaryOpScalarFunctorIdLi1ELi1ELi0EEEJNS1_13power_functorIdEEdEEEvT_T0_DpT1_.num_named_barrier, 0
	.set _ZN2at6native12_GLOBAL__N_125multi_tensor_apply_kernelINS1_18TensorListMetadataILi1EEENS1_21BinaryOpScalarFunctorIdLi1ELi1ELi0EEEJNS1_13power_functorIdEEdEEEvT_T0_DpT1_.private_seg_size, 0
	.set _ZN2at6native12_GLOBAL__N_125multi_tensor_apply_kernelINS1_18TensorListMetadataILi1EEENS1_21BinaryOpScalarFunctorIdLi1ELi1ELi0EEEJNS1_13power_functorIdEEdEEEvT_T0_DpT1_.uses_vcc, 1
	.set _ZN2at6native12_GLOBAL__N_125multi_tensor_apply_kernelINS1_18TensorListMetadataILi1EEENS1_21BinaryOpScalarFunctorIdLi1ELi1ELi0EEEJNS1_13power_functorIdEEdEEEvT_T0_DpT1_.uses_flat_scratch, 0
	.set _ZN2at6native12_GLOBAL__N_125multi_tensor_apply_kernelINS1_18TensorListMetadataILi1EEENS1_21BinaryOpScalarFunctorIdLi1ELi1ELi0EEEJNS1_13power_functorIdEEdEEEvT_T0_DpT1_.has_dyn_sized_stack, 0
	.set _ZN2at6native12_GLOBAL__N_125multi_tensor_apply_kernelINS1_18TensorListMetadataILi1EEENS1_21BinaryOpScalarFunctorIdLi1ELi1ELi0EEEJNS1_13power_functorIdEEdEEEvT_T0_DpT1_.has_recursion, 0
	.set _ZN2at6native12_GLOBAL__N_125multi_tensor_apply_kernelINS1_18TensorListMetadataILi1EEENS1_21BinaryOpScalarFunctorIdLi1ELi1ELi0EEEJNS1_13power_functorIdEEdEEEvT_T0_DpT1_.has_indirect_call, 0
	.section	.AMDGPU.csdata,"",@progbits
; Kernel info:
; codeLenInByte = 14700
; TotalNumSgprs: 91
; NumVgprs: 91
; ScratchSize: 0
; MemoryBound: 0
; FloatMode: 240
; IeeeMode: 1
; LDSByteSize: 0 bytes/workgroup (compile time only)
; SGPRBlocks: 0
; VGPRBlocks: 11
; NumSGPRsForWavesPerEU: 91
; NumVGPRsForWavesPerEU: 91
; Occupancy: 16
; WaveLimiterHint : 0
; COMPUTE_PGM_RSRC2:SCRATCH_EN: 0
; COMPUTE_PGM_RSRC2:USER_SGPR: 2
; COMPUTE_PGM_RSRC2:TRAP_HANDLER: 0
; COMPUTE_PGM_RSRC2:TGID_X_EN: 1
; COMPUTE_PGM_RSRC2:TGID_Y_EN: 0
; COMPUTE_PGM_RSRC2:TGID_Z_EN: 0
; COMPUTE_PGM_RSRC2:TIDIG_COMP_CNT: 0
	.section	.text._ZN2at6native12_GLOBAL__N_125multi_tensor_apply_kernelINS1_18TensorListMetadataILi1EEENS1_21BinaryOpScalarFunctorIfLi1ELi1ELi0EEEJNS1_13power_functorIfEEfEEEvT_T0_DpT1_,"axG",@progbits,_ZN2at6native12_GLOBAL__N_125multi_tensor_apply_kernelINS1_18TensorListMetadataILi1EEENS1_21BinaryOpScalarFunctorIfLi1ELi1ELi0EEEJNS1_13power_functorIfEEfEEEvT_T0_DpT1_,comdat
	.globl	_ZN2at6native12_GLOBAL__N_125multi_tensor_apply_kernelINS1_18TensorListMetadataILi1EEENS1_21BinaryOpScalarFunctorIfLi1ELi1ELi0EEEJNS1_13power_functorIfEEfEEEvT_T0_DpT1_ ; -- Begin function _ZN2at6native12_GLOBAL__N_125multi_tensor_apply_kernelINS1_18TensorListMetadataILi1EEENS1_21BinaryOpScalarFunctorIfLi1ELi1ELi0EEEJNS1_13power_functorIfEEfEEEvT_T0_DpT1_
	.p2align	8
	.type	_ZN2at6native12_GLOBAL__N_125multi_tensor_apply_kernelINS1_18TensorListMetadataILi1EEENS1_21BinaryOpScalarFunctorIfLi1ELi1ELi0EEEJNS1_13power_functorIfEEfEEEvT_T0_DpT1_,@function
_ZN2at6native12_GLOBAL__N_125multi_tensor_apply_kernelINS1_18TensorListMetadataILi1EEENS1_21BinaryOpScalarFunctorIfLi1ELi1ELi0EEEJNS1_13power_functorIfEEfEEEvT_T0_DpT1_: ; @_ZN2at6native12_GLOBAL__N_125multi_tensor_apply_kernelINS1_18TensorListMetadataILi1EEENS1_21BinaryOpScalarFunctorIfLi1ELi1ELi0EEEJNS1_13power_functorIfEEfEEEvT_T0_DpT1_
; %bb.0:
	s_load_u8 s8, s[0:1], ttmp9 offset:0x6e0
	s_mov_b32 s2, ttmp9
	s_mov_b32 s3, 0
	s_delay_alu instid0(SALU_CYCLE_1)
	s_mul_u64 s[4:5], s[2:3], 3
	s_add_nc_u64 s[6:7], s[0:1], s[2:3]
	s_mov_b32 s13, s3
	s_add_nc_u64 s[4:5], s[6:7], s[4:5]
	s_load_b32 s4, s[4:5], 0x820
	s_wait_kmcnt 0x0
	s_lshl_b32 s2, s8, 3
	s_clause 0x2
	s_load_b64 s[8:9], s[0:1], s2 offset:0x0
	s_load_b64 s[6:7], s[0:1], s2 offset:0x370
	s_load_b32 s24, s[0:1], 0xd2c
	s_ashr_i32 s5, s4, 31
	s_delay_alu instid0(SALU_CYCLE_1) | instskip(SKIP_4) | instid1(SALU_CYCLE_1)
	s_lshl_b64 s[10:11], s[4:5], 18
	s_lshl_b64 s[4:5], s[4:5], 16
	s_wait_kmcnt 0x0
	s_and_b32 s2, s8, 15
	s_and_b32 s12, s6, 3
	s_or_b64 s[2:3], s[2:3], s[12:13]
	s_sub_nc_u64 s[12:13], s[6:7], s[4:5]
	s_cmp_eq_u64 s[2:3], 0
	s_cbranch_scc1 .LBB54_21
; %bb.1:
	v_cmp_lt_i64_e64 s2, s[12:13], 1
	s_and_b32 vcc_lo, exec_lo, s2
	s_cbranch_vccnz .LBB54_20
; %bb.2:
	s_load_b32 s2, s[0:1], 0xd3c
	v_cmp_gt_i64_e64 s6, 0x10000, s[12:13]
	s_mov_b32 s3, 0
	v_cmp_gt_u64_e64 s7, 0x10000, s[12:13]
	s_mov_b32 s15, s3
	v_lshlrev_b32_e32 v1, 2, v0
	s_add_nc_u64 s[4:5], s[8:9], s[10:11]
	s_and_b32 s6, s6, exec_lo
	s_cselect_b32 s17, s13, 0
	s_cselect_b32 s16, s12, 0x10000
	v_add_co_u32 v1, s14, s4, v1
	s_delay_alu instid0(VALU_DEP_1)
	v_add_co_ci_u32_e64 v2, null, s5, 0, s14
	s_mov_b32 s26, 0x3e76c4e1
	s_wait_kmcnt 0x0
	s_and_b32 s2, s2, 0xffff
	s_and_b32 s6, s7, exec_lo
	s_mul_u64 s[20:21], s[2:3], 12
	v_add_co_u32 v5, s3, v0, s2
	s_cselect_b32 s19, s13, 0
	s_cselect_b32 s18, s12, 0x10000
	s_lshl_b32 s6, s2, 1
	v_lshlrev_b32_e32 v3, 2, v5
	s_mul_i32 s22, s2, 3
	v_add_co_ci_u32_e64 v8, null, 0, 0, s3
	v_add_co_u32 v9, s3, s6, v0
	v_add_co_u32 v6, s22, s22, v0
	s_wait_alu 0xf1ff
	v_add_co_ci_u32_e64 v10, null, 0, 0, s3
	v_add_co_u32 v3, s3, s4, v3
	v_add_co_ci_u32_e64 v7, null, 0, 0, s22
	s_wait_alu 0xf1ff
	v_add_co_ci_u32_e64 v4, null, s5, 0, s3
	s_lshl_b32 s14, s2, 2
	s_lshl_b32 s7, s2, 4
	;; [unrolled: 1-line block ×3, first 2 shown]
	s_mov_b64 s[22:23], 0
	s_branch .LBB54_4
.LBB54_3:                               ;   in Loop: Header=BB54_4 Depth=1
	s_wait_alu 0xfffe
	s_or_b32 exec_lo, exec_lo, s5
	s_add_nc_u64 s[22:23], s[22:23], s[14:15]
	v_add_co_u32 v1, vcc_lo, v1, s7
	s_wait_alu 0xfffe
	v_cmp_lt_i64_e64 s2, s[22:23], s[16:17]
	s_wait_alu 0xfffd
	v_add_co_ci_u32_e64 v2, null, 0, v2, vcc_lo
	v_add_co_u32 v3, vcc_lo, v3, s7
	s_wait_alu 0xfffd
	v_add_co_ci_u32_e64 v4, null, 0, v4, vcc_lo
	s_and_b32 vcc_lo, exec_lo, s2
	s_wait_alu 0xfffe
	s_cbranch_vccz .LBB54_20
.LBB54_4:                               ; =>This Inner Loop Header: Depth=1
	s_wait_loadcnt 0x0
	s_wait_alu 0xfffe
	v_add_co_u32 v11, s2, v0, s22
	s_wait_alu 0xf1ff
	v_add_co_ci_u32_e64 v12, null, 0, s23, s2
	v_mov_b32_e32 v14, 0
	s_delay_alu instid0(VALU_DEP_2)
	v_cmp_gt_u64_e64 s4, s[18:19], v[11:12]
	s_and_saveexec_b32 s2, s4
	s_cbranch_execz .LBB54_6
; %bb.5:                                ;   in Loop: Header=BB54_4 Depth=1
	global_load_b32 v14, v[1:2], off
.LBB54_6:                               ;   in Loop: Header=BB54_4 Depth=1
	s_wait_alu 0xfffe
	s_or_b32 exec_lo, exec_lo, s2
	v_add_co_u32 v11, vcc_lo, v5, s22
	s_wait_alu 0xfffd
	v_add_co_ci_u32_e64 v12, null, s23, v8, vcc_lo
	v_mov_b32_e32 v13, 0
	s_delay_alu instid0(VALU_DEP_2)
	v_cmp_gt_u64_e64 s3, s[18:19], v[11:12]
	v_mov_b32_e32 v12, 0
	s_and_saveexec_b32 s2, s3
	s_cbranch_execz .LBB54_8
; %bb.7:                                ;   in Loop: Header=BB54_4 Depth=1
	global_load_b32 v13, v[3:4], off
.LBB54_8:                               ;   in Loop: Header=BB54_4 Depth=1
	s_wait_alu 0xfffe
	s_or_b32 exec_lo, exec_lo, s2
	v_add_co_u32 v15, vcc_lo, v9, s22
	s_wait_alu 0xfffd
	v_add_co_ci_u32_e64 v16, null, s23, v10, vcc_lo
	s_delay_alu instid0(VALU_DEP_1)
	v_cmp_gt_u64_e64 s2, s[18:19], v[15:16]
	s_and_saveexec_b32 s5, s2
	s_cbranch_execz .LBB54_10
; %bb.9:                                ;   in Loop: Header=BB54_4 Depth=1
	v_add_co_u32 v11, vcc_lo, v1, s25
	s_wait_alu 0xfffd
	v_add_co_ci_u32_e64 v12, null, 0, v2, vcc_lo
	global_load_b32 v12, v[11:12], off
.LBB54_10:                              ;   in Loop: Header=BB54_4 Depth=1
	s_wait_alu 0xfffe
	s_or_b32 exec_lo, exec_lo, s5
	v_add_co_u32 v15, vcc_lo, v6, s22
	s_wait_alu 0xfffd
	v_add_co_ci_u32_e64 v16, null, s23, v7, vcc_lo
	v_mov_b32_e32 v11, 0
	s_delay_alu instid0(VALU_DEP_2)
	v_cmp_gt_u64_e32 vcc_lo, s[18:19], v[15:16]
	s_and_saveexec_b32 s6, vcc_lo
	s_cbranch_execnz .LBB54_15
; %bb.11:                               ;   in Loop: Header=BB54_4 Depth=1
	s_wait_alu 0xfffe
	s_or_b32 exec_lo, exec_lo, s6
	s_and_saveexec_b32 s27, s4
	s_cbranch_execnz .LBB54_16
.LBB54_12:                              ;   in Loop: Header=BB54_4 Depth=1
	s_wait_alu 0xfffe
	s_or_b32 exec_lo, exec_lo, s27
	s_and_saveexec_b32 s27, s3
	s_cbranch_execnz .LBB54_17
.LBB54_13:                              ;   in Loop: Header=BB54_4 Depth=1
	s_wait_alu 0xfffe
	s_or_b32 exec_lo, exec_lo, s27
	s_and_saveexec_b32 s6, s2
	s_cbranch_execnz .LBB54_18
.LBB54_14:                              ;   in Loop: Header=BB54_4 Depth=1
	s_wait_alu 0xfffe
	s_or_b32 exec_lo, exec_lo, s6
	s_and_saveexec_b32 s5, vcc_lo
	s_cbranch_execz .LBB54_3
	s_branch .LBB54_19
.LBB54_15:                              ;   in Loop: Header=BB54_4 Depth=1
	v_add_co_u32 v15, s5, v1, s20
	s_wait_alu 0xf1ff
	v_add_co_ci_u32_e64 v16, null, s21, v2, s5
	global_load_b32 v11, v[15:16], off
	s_wait_alu 0xfffe
	s_or_b32 exec_lo, exec_lo, s6
	s_and_saveexec_b32 s27, s4
	s_cbranch_execz .LBB54_12
.LBB54_16:                              ;   in Loop: Header=BB54_4 Depth=1
	s_wait_loadcnt 0x0
	v_cmp_neq_f32_e64 s4, 1.0, v14
	s_wait_alu 0xf1ff
	s_delay_alu instid0(VALU_DEP_1) | instskip(NEXT) | instid1(VALU_DEP_1)
	v_cndmask_b32_e64 v16, 1.0, s24, s4
	v_cmp_neq_f32_e64 s4, 0, v16
	v_cmp_neq_f32_e64 s28, v16, |v16|
	s_wait_alu 0xf1ff
	s_delay_alu instid0(VALU_DEP_2) | instskip(NEXT) | instid1(VALU_DEP_1)
	v_cndmask_b32_e64 v17, 1.0, v14, s4
	v_cvt_f64_f32_e64 v[14:15], |v17|
	v_cmp_lt_f32_e64 s29, |v17|, 1.0
	v_cmp_eq_f32_e64 s6, 0, v17
	s_xor_b32 s28, s28, s29
	v_frexp_exp_i32_f64_e32 v14, v[14:15]
	v_frexp_mant_f32_e64 v15, |v17|
	s_delay_alu instid0(VALU_DEP_1) | instskip(SKIP_1) | instid1(VALU_DEP_1)
	v_cmp_gt_f32_e64 s4, 0x3f2aaaab, v15
	s_wait_alu 0xf1ff
	v_cndmask_b32_e64 v18, 1.0, 2.0, s4
	s_delay_alu instid0(VALU_DEP_1) | instskip(NEXT) | instid1(VALU_DEP_1)
	v_mul_f32_e32 v15, v15, v18
	v_add_f32_e32 v18, 1.0, v15
	v_add_f32_e32 v20, -1.0, v15
	s_delay_alu instid0(VALU_DEP_2) | instskip(NEXT) | instid1(VALU_DEP_1)
	v_add_f32_e32 v22, -1.0, v18
	v_sub_f32_e32 v15, v15, v22
	v_rcp_f32_e32 v19, v18
	v_subrev_co_ci_u32_e64 v14, null, 0, v14, s4
	s_delay_alu instid0(TRANS32_DEP_1) | instskip(NEXT) | instid1(VALU_DEP_2)
	v_mul_f32_e32 v21, v20, v19
	v_cvt_f32_i32_e32 v14, v14
	s_delay_alu instid0(VALU_DEP_2) | instskip(NEXT) | instid1(VALU_DEP_1)
	v_mul_f32_e32 v23, v18, v21
	v_fma_f32 v18, v21, v18, -v23
	s_delay_alu instid0(VALU_DEP_1) | instskip(NEXT) | instid1(VALU_DEP_1)
	v_fmac_f32_e32 v18, v21, v15
	v_add_f32_e32 v15, v23, v18
	s_delay_alu instid0(VALU_DEP_1) | instskip(NEXT) | instid1(VALU_DEP_1)
	v_sub_f32_e32 v23, v15, v23
	v_sub_f32_e32 v18, v23, v18
	;; [unrolled: 1-line block ×3, first 2 shown]
	s_delay_alu instid0(VALU_DEP_1) | instskip(NEXT) | instid1(VALU_DEP_1)
	v_sub_f32_e32 v20, v20, v22
	v_sub_f32_e32 v15, v20, v15
	s_delay_alu instid0(VALU_DEP_1) | instskip(NEXT) | instid1(VALU_DEP_1)
	v_add_f32_e32 v15, v18, v15
	v_add_f32_e32 v15, v22, v15
	s_delay_alu instid0(VALU_DEP_1) | instskip(NEXT) | instid1(VALU_DEP_1)
	v_mul_f32_e32 v15, v19, v15
	v_add_f32_e32 v18, v21, v15
	s_delay_alu instid0(VALU_DEP_1) | instskip(NEXT) | instid1(VALU_DEP_1)
	v_sub_f32_e32 v19, v18, v21
	v_dual_mul_f32 v20, v18, v18 :: v_dual_sub_f32 v15, v15, v19
	s_delay_alu instid0(VALU_DEP_1) | instskip(NEXT) | instid1(VALU_DEP_2)
	v_fma_f32 v19, v18, v18, -v20
	v_add_f32_e32 v21, v15, v15
	s_delay_alu instid0(VALU_DEP_1) | instskip(NEXT) | instid1(VALU_DEP_1)
	v_fmac_f32_e32 v19, v18, v21
	v_add_f32_e32 v21, v20, v19
	s_delay_alu instid0(VALU_DEP_1) | instskip(SKIP_1) | instid1(VALU_DEP_1)
	v_fmaak_f32 v22, s26, v21, 0x3e91f4c4
	v_sub_f32_e32 v20, v21, v20
	v_dual_fmaak_f32 v22, v21, v22, 0x3ecccdef :: v_dual_sub_f32 v19, v19, v20
	s_delay_alu instid0(VALU_DEP_1) | instskip(NEXT) | instid1(VALU_DEP_1)
	v_mul_f32_e32 v23, v21, v22
	v_fma_f32 v20, v21, v22, -v23
	s_delay_alu instid0(VALU_DEP_1) | instskip(NEXT) | instid1(VALU_DEP_1)
	v_fmac_f32_e32 v20, v19, v22
	v_add_f32_e32 v22, v23, v20
	s_delay_alu instid0(VALU_DEP_1) | instskip(NEXT) | instid1(VALU_DEP_1)
	v_dual_sub_f32 v23, v22, v23 :: v_dual_add_f32 v24, 0x3f2aaaaa, v22
	v_dual_sub_f32 v20, v20, v23 :: v_dual_add_f32 v23, 0xbf2aaaaa, v24
	s_delay_alu instid0(VALU_DEP_1) | instskip(NEXT) | instid1(VALU_DEP_2)
	v_dual_add_f32 v20, 0x31739010, v20 :: v_dual_mul_f32 v25, v18, v21
	v_sub_f32_e32 v22, v22, v23
	s_delay_alu instid0(VALU_DEP_2) | instskip(NEXT) | instid1(VALU_DEP_2)
	v_fma_f32 v26, v21, v18, -v25
	v_add_f32_e32 v20, v20, v22
	s_delay_alu instid0(VALU_DEP_2) | instskip(SKIP_1) | instid1(VALU_DEP_2)
	v_fmac_f32_e32 v26, v21, v15
	v_ldexp_f32 v15, v15, 1
	v_dual_fmac_f32 v26, v19, v18 :: v_dual_add_f32 v19, v24, v20
	v_ldexp_f32 v18, v18, 1
	s_delay_alu instid0(VALU_DEP_2) | instskip(NEXT) | instid1(VALU_DEP_1)
	v_dual_add_f32 v21, v25, v26 :: v_dual_sub_f32 v22, v24, v19
	v_dual_mul_f32 v23, v21, v19 :: v_dual_add_f32 v20, v20, v22
	v_sub_f32_e32 v24, v21, v25
	s_delay_alu instid0(VALU_DEP_2) | instskip(NEXT) | instid1(VALU_DEP_2)
	v_fma_f32 v22, v21, v19, -v23
	v_sub_f32_e32 v24, v26, v24
	s_delay_alu instid0(VALU_DEP_2) | instskip(NEXT) | instid1(VALU_DEP_1)
	v_fmac_f32_e32 v22, v21, v20
	v_fmac_f32_e32 v22, v24, v19
	s_delay_alu instid0(VALU_DEP_1) | instskip(NEXT) | instid1(VALU_DEP_1)
	v_add_f32_e32 v19, v23, v22
	v_add_f32_e32 v21, v18, v19
	v_dual_sub_f32 v20, v19, v23 :: v_dual_mul_f32 v23, 0x3f317218, v14
	s_delay_alu instid0(VALU_DEP_2) | instskip(NEXT) | instid1(VALU_DEP_2)
	v_sub_f32_e32 v18, v21, v18
	v_sub_f32_e32 v20, v22, v20
	s_delay_alu instid0(VALU_DEP_3) | instskip(NEXT) | instid1(VALU_DEP_3)
	v_fma_f32 v22, 0x3f317218, v14, -v23
	v_sub_f32_e32 v18, v19, v18
	s_delay_alu instid0(VALU_DEP_2) | instskip(NEXT) | instid1(VALU_DEP_1)
	v_dual_add_f32 v15, v15, v20 :: v_dual_fmac_f32 v22, 0xb102e308, v14
	v_add_f32_e32 v14, v15, v18
	s_delay_alu instid0(VALU_DEP_2) | instskip(NEXT) | instid1(VALU_DEP_1)
	v_add_f32_e32 v15, v23, v22
	v_dual_add_f32 v18, v21, v14 :: v_dual_sub_f32 v23, v15, v23
	s_delay_alu instid0(VALU_DEP_1) | instskip(NEXT) | instid1(VALU_DEP_1)
	v_add_f32_e32 v19, v15, v18
	v_dual_sub_f32 v21, v18, v21 :: v_dual_sub_f32 v20, v19, v15
	s_delay_alu instid0(VALU_DEP_1) | instskip(SKIP_1) | instid1(VALU_DEP_2)
	v_sub_f32_e32 v24, v19, v20
	v_sub_f32_e32 v18, v18, v20
	v_dual_sub_f32 v15, v15, v24 :: v_dual_sub_f32 v22, v22, v23
	s_delay_alu instid0(VALU_DEP_1) | instskip(SKIP_1) | instid1(VALU_DEP_1)
	v_add_f32_e32 v15, v18, v15
	v_sub_f32_e32 v14, v14, v21
	v_add_f32_e32 v20, v22, v14
	s_delay_alu instid0(VALU_DEP_1) | instskip(NEXT) | instid1(VALU_DEP_1)
	v_add_f32_e32 v15, v20, v15
	v_dual_sub_f32 v18, v20, v22 :: v_dual_add_f32 v21, v19, v15
	s_delay_alu instid0(VALU_DEP_1) | instskip(NEXT) | instid1(VALU_DEP_1)
	v_dual_sub_f32 v20, v20, v18 :: v_dual_sub_f32 v19, v21, v19
	v_dual_sub_f32 v15, v15, v19 :: v_dual_sub_f32 v14, v14, v18
	s_delay_alu instid0(VALU_DEP_2) | instskip(NEXT) | instid1(VALU_DEP_1)
	v_sub_f32_e32 v18, v22, v20
	v_add_f32_e32 v14, v14, v18
	s_delay_alu instid0(VALU_DEP_1) | instskip(NEXT) | instid1(VALU_DEP_1)
	v_add_f32_e32 v14, v14, v15
	v_add_f32_e32 v15, v21, v14
	s_delay_alu instid0(VALU_DEP_1) | instskip(NEXT) | instid1(VALU_DEP_1)
	v_dual_sub_f32 v18, v15, v21 :: v_dual_mul_f32 v19, v16, v15
	v_sub_f32_e32 v14, v14, v18
	s_delay_alu instid0(VALU_DEP_2) | instskip(SKIP_1) | instid1(VALU_DEP_2)
	v_fma_f32 v15, v16, v15, -v19
	v_cmp_class_f32_e64 s4, v19, 0x204
	v_fmac_f32_e32 v15, v16, v14
	s_delay_alu instid0(VALU_DEP_1) | instskip(SKIP_1) | instid1(VALU_DEP_1)
	v_add_f32_e32 v14, v19, v15
	s_wait_alu 0xf1ff
	v_cndmask_b32_e64 v18, v14, v19, s4
	s_delay_alu instid0(VALU_DEP_1) | instskip(SKIP_1) | instid1(VALU_DEP_1)
	v_cmp_eq_f32_e64 s4, 0x42b17218, v18
	s_wait_alu 0xf1ff
	v_cndmask_b32_e64 v20, 0, 0x37000000, s4
	v_cmp_neq_f32_e64 s4, 0x7f800000, |v18|
	s_delay_alu instid0(VALU_DEP_2) | instskip(SKIP_1) | instid1(VALU_DEP_2)
	v_sub_f32_e32 v21, v18, v20
	v_sub_f32_e32 v14, v14, v19
	v_mul_f32_e32 v22, 0x3fb8aa3b, v21
	s_delay_alu instid0(VALU_DEP_2) | instskip(SKIP_2) | instid1(VALU_DEP_4)
	v_sub_f32_e32 v14, v15, v14
	v_trunc_f32_e32 v15, v16
	v_cmp_nlt_f32_e64 s5, 0x42b17218, v21
	v_fma_f32 v23, 0x3fb8aa3b, v21, -v22
	v_rndne_f32_e32 v24, v22
	s_wait_alu 0xf1ff
	v_cndmask_b32_e64 v14, 0, v14, s4
	v_cmp_ngt_f32_e64 s4, 0xc2ce8ed0, v21
	s_delay_alu instid0(VALU_DEP_3) | instskip(SKIP_1) | instid1(VALU_DEP_4)
	v_dual_fmac_f32 v23, 0x32a5705f, v21 :: v_dual_sub_f32 v22, v22, v24
	v_cvt_i32_f32_e32 v19, v24
	v_add_f32_e32 v14, v20, v14
	s_delay_alu instid0(VALU_DEP_3) | instskip(NEXT) | instid1(VALU_DEP_1)
	v_add_f32_e32 v22, v22, v23
	v_exp_f32_e32 v22, v22
	s_delay_alu instid0(TRANS32_DEP_1) | instskip(SKIP_2) | instid1(VALU_DEP_2)
	v_ldexp_f32 v19, v22, v19
	v_mul_f32_e32 v22, 0.5, v16
	s_wait_alu 0xf1ff
	v_cndmask_b32_e64 v18, 0, v19, s4
	s_delay_alu instid0(VALU_DEP_2) | instskip(SKIP_1) | instid1(VALU_DEP_3)
	v_trunc_f32_e32 v19, v22
	v_cmp_eq_f32_e64 s4, v15, v16
	v_cndmask_b32_e64 v15, 0x7f800000, v18, s5
	s_delay_alu instid0(VALU_DEP_3) | instskip(NEXT) | instid1(VALU_DEP_2)
	v_cmp_neq_f32_e64 s5, v19, v22
	v_fma_f32 v14, v15, v14, v15
	s_and_b32 s5, s4, s5
	s_wait_alu 0xfffe
	v_cndmask_b32_e64 v18, 0, v17, s5
	v_cndmask_b32_e64 v19, 1.0, v17, s5
	v_cmp_class_f32_e64 s5, v15, 0x204
	s_wait_alu 0xf1ff
	s_delay_alu instid0(VALU_DEP_1) | instskip(SKIP_2) | instid1(VALU_DEP_3)
	v_cndmask_b32_e64 v14, v14, v15, s5
	v_cmp_gt_f32_e64 s5, 0, v16
	v_cndmask_b32_e64 v15, 0x7f800000, 0, s28
	v_bfi_b32 v14, 0x7fffffff, v14, v19
	s_delay_alu instid0(VALU_DEP_1)
	v_cndmask_b32_e64 v19, 0x7fc00000, v14, s4
	s_xor_b32 s4, s5, s6
	v_cmp_class_f32_e64 s5, v17, 0x204
	s_wait_alu 0xfffe
	v_cndmask_b32_e64 v20, 0x7f800000, 0, s4
	v_cmp_neq_f32_e64 s4, |v17|, 1.0
	s_delay_alu instid0(VALU_DEP_2) | instskip(SKIP_1) | instid1(VALU_DEP_2)
	v_bfi_b32 v18, 0x7fffffff, v20, v18
	s_wait_alu 0xf1ff
	v_cndmask_b32_e64 v15, 1.0, v15, s4
	v_cmp_gt_f32_e64 s4, 0, v17
	s_wait_alu 0xf1ff
	s_delay_alu instid0(VALU_DEP_1) | instskip(SKIP_2) | instid1(VALU_DEP_1)
	v_cndmask_b32_e64 v14, v14, v19, s4
	v_cmp_class_f32_e64 s4, v16, 0x204
	s_wait_alu 0xf1ff
	v_cndmask_b32_e64 v14, v14, v15, s4
	s_or_b32 s4, s6, s5
	s_wait_alu 0xfffe
	s_delay_alu instid0(VALU_DEP_1) | instskip(SKIP_2) | instid1(VALU_DEP_1)
	v_cndmask_b32_e64 v14, v14, v18, s4
	v_cmp_o_f32_e64 s4, v17, v16
	s_wait_alu 0xf1ff
	v_cndmask_b32_e64 v14, 0x7fc00000, v14, s4
	global_store_b32 v[1:2], v14, off
	s_or_b32 exec_lo, exec_lo, s27
	s_and_saveexec_b32 s27, s3
	s_cbranch_execz .LBB54_13
.LBB54_17:                              ;   in Loop: Header=BB54_4 Depth=1
	s_wait_loadcnt 0x0
	v_cmp_neq_f32_e64 s3, 1.0, v13
	s_wait_alu 0xf1ff
	s_delay_alu instid0(VALU_DEP_1) | instskip(NEXT) | instid1(VALU_DEP_1)
	v_cndmask_b32_e64 v15, 1.0, s24, s3
	v_cmp_neq_f32_e64 s3, 0, v15
	v_cmp_neq_f32_e64 s28, v15, |v15|
	s_wait_alu 0xf1ff
	s_delay_alu instid0(VALU_DEP_2) | instskip(NEXT) | instid1(VALU_DEP_1)
	v_cndmask_b32_e64 v16, 1.0, v13, s3
	v_frexp_mant_f32_e64 v13, |v16|
	v_cmp_lt_f32_e64 s29, |v16|, 1.0
	v_cmp_eq_f32_e64 s6, 0, v16
	s_delay_alu instid0(VALU_DEP_3) | instskip(SKIP_2) | instid1(VALU_DEP_1)
	v_cmp_gt_f32_e64 s3, 0x3f2aaaab, v13
	s_xor_b32 s28, s28, s29
	v_cndmask_b32_e64 v14, 1.0, 2.0, s3
	v_mul_f32_e32 v13, v13, v14
	s_delay_alu instid0(VALU_DEP_1) | instskip(SKIP_1) | instid1(VALU_DEP_2)
	v_add_f32_e32 v14, 1.0, v13
	v_add_f32_e32 v18, -1.0, v13
	v_add_f32_e32 v20, -1.0, v14
	s_delay_alu instid0(VALU_DEP_1) | instskip(SKIP_1) | instid1(TRANS32_DEP_1)
	v_sub_f32_e32 v13, v13, v20
	v_rcp_f32_e32 v17, v14
	v_mul_f32_e32 v19, v18, v17
	s_delay_alu instid0(VALU_DEP_1) | instskip(NEXT) | instid1(VALU_DEP_1)
	v_mul_f32_e32 v21, v14, v19
	v_fma_f32 v14, v19, v14, -v21
	s_delay_alu instid0(VALU_DEP_1) | instskip(NEXT) | instid1(VALU_DEP_1)
	v_fmac_f32_e32 v14, v19, v13
	v_add_f32_e32 v13, v21, v14
	s_delay_alu instid0(VALU_DEP_1) | instskip(NEXT) | instid1(VALU_DEP_1)
	v_sub_f32_e32 v20, v18, v13
	v_dual_sub_f32 v21, v13, v21 :: v_dual_sub_f32 v18, v18, v20
	s_delay_alu instid0(VALU_DEP_1) | instskip(NEXT) | instid1(VALU_DEP_1)
	v_dual_sub_f32 v14, v21, v14 :: v_dual_sub_f32 v13, v18, v13
	v_add_f32_e32 v13, v14, v13
	s_delay_alu instid0(VALU_DEP_1) | instskip(NEXT) | instid1(VALU_DEP_1)
	v_add_f32_e32 v13, v20, v13
	v_mul_f32_e32 v13, v17, v13
	s_delay_alu instid0(VALU_DEP_1) | instskip(NEXT) | instid1(VALU_DEP_1)
	v_add_f32_e32 v17, v19, v13
	v_sub_f32_e32 v14, v17, v19
	s_delay_alu instid0(VALU_DEP_1) | instskip(NEXT) | instid1(VALU_DEP_1)
	v_sub_f32_e32 v19, v13, v14
	v_dual_mul_f32 v18, v17, v17 :: v_dual_add_f32 v13, v19, v19
	s_delay_alu instid0(VALU_DEP_1) | instskip(NEXT) | instid1(VALU_DEP_1)
	v_fma_f32 v20, v17, v17, -v18
	v_fmac_f32_e32 v20, v17, v13
	v_cvt_f64_f32_e64 v[13:14], |v16|
	s_delay_alu instid0(VALU_DEP_2) | instskip(NEXT) | instid1(VALU_DEP_1)
	v_add_f32_e32 v21, v18, v20
	v_fmaak_f32 v22, s26, v21, 0x3e91f4c4
	v_sub_f32_e32 v18, v21, v18
	s_delay_alu instid0(VALU_DEP_2) | instskip(NEXT) | instid1(VALU_DEP_2)
	v_fmaak_f32 v22, v21, v22, 0x3ecccdef
	v_sub_f32_e32 v18, v20, v18
	s_delay_alu instid0(VALU_DEP_2) | instskip(NEXT) | instid1(VALU_DEP_1)
	v_mul_f32_e32 v23, v21, v22
	v_fma_f32 v20, v21, v22, -v23
	s_delay_alu instid0(VALU_DEP_1) | instskip(NEXT) | instid1(VALU_DEP_1)
	v_dual_fmac_f32 v20, v18, v22 :: v_dual_mul_f32 v25, v17, v21
	v_add_f32_e32 v22, v23, v20
	v_frexp_exp_i32_f64_e32 v13, v[13:14]
	s_delay_alu instid0(VALU_DEP_2) | instskip(NEXT) | instid1(VALU_DEP_1)
	v_sub_f32_e32 v23, v22, v23
	v_sub_f32_e32 v14, v20, v23
	v_fma_f32 v23, v21, v17, -v25
	s_delay_alu instid0(VALU_DEP_1) | instskip(NEXT) | instid1(VALU_DEP_1)
	v_dual_add_f32 v24, 0x3f2aaaaa, v22 :: v_dual_fmac_f32 v23, v21, v19
	v_add_f32_e32 v20, 0xbf2aaaaa, v24
	v_ldexp_f32 v19, v19, 1
	s_delay_alu instid0(VALU_DEP_3) | instskip(NEXT) | instid1(VALU_DEP_3)
	v_dual_fmac_f32 v23, v18, v17 :: v_dual_add_f32 v14, 0x31739010, v14
	v_sub_f32_e32 v20, v22, v20
	s_delay_alu instid0(VALU_DEP_1) | instskip(NEXT) | instid1(VALU_DEP_1)
	v_add_f32_e32 v14, v14, v20
	v_add_f32_e32 v18, v24, v14
	s_delay_alu instid0(VALU_DEP_1) | instskip(SKIP_1) | instid1(VALU_DEP_2)
	v_sub_f32_e32 v21, v24, v18
	v_subrev_co_ci_u32_e64 v13, null, 0, v13, s3
	v_add_f32_e32 v14, v14, v21
	s_delay_alu instid0(VALU_DEP_2) | instskip(SKIP_1) | instid1(VALU_DEP_1)
	v_cvt_f32_i32_e32 v13, v13
	v_add_f32_e32 v20, v25, v23
	v_mul_f32_e32 v22, v20, v18
	v_sub_f32_e32 v24, v20, v25
	s_delay_alu instid0(VALU_DEP_2) | instskip(NEXT) | instid1(VALU_DEP_2)
	v_fma_f32 v21, v20, v18, -v22
	v_sub_f32_e32 v23, v23, v24
	s_delay_alu instid0(VALU_DEP_2) | instskip(SKIP_1) | instid1(VALU_DEP_2)
	v_fmac_f32_e32 v21, v20, v14
	v_ldexp_f32 v14, v17, 1
	v_fmac_f32_e32 v21, v23, v18
	s_delay_alu instid0(VALU_DEP_1) | instskip(NEXT) | instid1(VALU_DEP_1)
	v_add_f32_e32 v17, v22, v21
	v_add_f32_e32 v18, v14, v17
	v_sub_f32_e32 v20, v17, v22
	v_mul_f32_e32 v22, 0x3f317218, v13
	s_delay_alu instid0(VALU_DEP_3) | instskip(NEXT) | instid1(VALU_DEP_3)
	v_sub_f32_e32 v14, v18, v14
	v_sub_f32_e32 v20, v21, v20
	s_delay_alu instid0(VALU_DEP_3) | instskip(NEXT) | instid1(VALU_DEP_2)
	v_fma_f32 v21, 0x3f317218, v13, -v22
	v_dual_sub_f32 v14, v17, v14 :: v_dual_add_f32 v17, v19, v20
	s_delay_alu instid0(VALU_DEP_2) | instskip(NEXT) | instid1(VALU_DEP_2)
	v_fmac_f32_e32 v21, 0xb102e308, v13
	v_add_f32_e32 v13, v17, v14
	s_delay_alu instid0(VALU_DEP_1) | instskip(NEXT) | instid1(VALU_DEP_1)
	v_add_f32_e32 v17, v18, v13
	v_sub_f32_e32 v18, v17, v18
	s_delay_alu instid0(VALU_DEP_1) | instskip(NEXT) | instid1(VALU_DEP_1)
	v_dual_sub_f32 v13, v13, v18 :: v_dual_add_f32 v14, v22, v21
	v_sub_f32_e32 v22, v14, v22
	s_delay_alu instid0(VALU_DEP_1) | instskip(SKIP_1) | instid1(VALU_DEP_2)
	v_sub_f32_e32 v21, v21, v22
	v_add_f32_e32 v19, v14, v17
	v_add_f32_e32 v18, v21, v13
	s_delay_alu instid0(VALU_DEP_2) | instskip(NEXT) | instid1(VALU_DEP_1)
	v_sub_f32_e32 v20, v19, v14
	v_sub_f32_e32 v23, v19, v20
	s_delay_alu instid0(VALU_DEP_1) | instskip(NEXT) | instid1(VALU_DEP_1)
	v_dual_sub_f32 v17, v17, v20 :: v_dual_sub_f32 v14, v14, v23
	v_dual_add_f32 v14, v17, v14 :: v_dual_sub_f32 v17, v18, v21
	s_delay_alu instid0(VALU_DEP_1) | instskip(NEXT) | instid1(VALU_DEP_2)
	v_add_f32_e32 v14, v18, v14
	v_sub_f32_e32 v18, v18, v17
	s_delay_alu instid0(VALU_DEP_2) | instskip(NEXT) | instid1(VALU_DEP_1)
	v_dual_sub_f32 v13, v13, v17 :: v_dual_add_f32 v20, v19, v14
	v_dual_sub_f32 v17, v21, v18 :: v_dual_sub_f32 v18, v20, v19
	s_delay_alu instid0(VALU_DEP_1) | instskip(NEXT) | instid1(VALU_DEP_1)
	v_dual_add_f32 v13, v13, v17 :: v_dual_sub_f32 v14, v14, v18
	v_add_f32_e32 v13, v13, v14
	s_delay_alu instid0(VALU_DEP_1) | instskip(NEXT) | instid1(VALU_DEP_1)
	v_add_f32_e32 v14, v20, v13
	v_dual_sub_f32 v17, v14, v20 :: v_dual_mul_f32 v18, v15, v14
	s_delay_alu instid0(VALU_DEP_1) | instskip(NEXT) | instid1(VALU_DEP_2)
	v_sub_f32_e32 v13, v13, v17
	v_fma_f32 v14, v15, v14, -v18
	v_cmp_class_f32_e64 s3, v18, 0x204
	s_delay_alu instid0(VALU_DEP_2) | instskip(NEXT) | instid1(VALU_DEP_1)
	v_fmac_f32_e32 v14, v15, v13
	v_add_f32_e32 v13, v18, v14
	s_wait_alu 0xf1ff
	s_delay_alu instid0(VALU_DEP_1) | instskip(NEXT) | instid1(VALU_DEP_1)
	v_cndmask_b32_e64 v17, v13, v18, s3
	v_cmp_eq_f32_e64 s3, 0x42b17218, v17
	s_wait_alu 0xf1ff
	s_delay_alu instid0(VALU_DEP_1) | instskip(SKIP_1) | instid1(VALU_DEP_2)
	v_cndmask_b32_e64 v19, 0, 0x37000000, s3
	v_cmp_neq_f32_e64 s3, 0x7f800000, |v17|
	v_sub_f32_e32 v20, v17, v19
	v_sub_f32_e32 v13, v13, v18
	v_trunc_f32_e32 v17, v15
	s_delay_alu instid0(VALU_DEP_3) | instskip(NEXT) | instid1(VALU_DEP_3)
	v_mul_f32_e32 v21, 0x3fb8aa3b, v20
	v_sub_f32_e32 v13, v14, v13
	s_delay_alu instid0(VALU_DEP_2) | instskip(SKIP_2) | instid1(VALU_DEP_3)
	v_fma_f32 v22, 0x3fb8aa3b, v20, -v21
	v_rndne_f32_e32 v23, v21
	s_wait_alu 0xf1ff
	v_cndmask_b32_e64 v13, 0, v13, s3
	v_cmp_ngt_f32_e64 s3, 0xc2ce8ed0, v20
	s_delay_alu instid0(VALU_DEP_3) | instskip(SKIP_1) | instid1(VALU_DEP_4)
	v_dual_fmac_f32 v22, 0x32a5705f, v20 :: v_dual_sub_f32 v21, v21, v23
	v_cvt_i32_f32_e32 v18, v23
	v_add_f32_e32 v13, v19, v13
	s_delay_alu instid0(VALU_DEP_3) | instskip(NEXT) | instid1(VALU_DEP_1)
	v_add_f32_e32 v21, v21, v22
	v_exp_f32_e32 v21, v21
	s_delay_alu instid0(TRANS32_DEP_1) | instskip(SKIP_2) | instid1(VALU_DEP_2)
	v_ldexp_f32 v14, v21, v18
	v_mul_f32_e32 v18, 0.5, v15
	s_wait_alu 0xf1ff
	v_cndmask_b32_e64 v14, 0, v14, s3
	v_cmp_nlt_f32_e64 s3, 0x42b17218, v20
	s_delay_alu instid0(VALU_DEP_3) | instskip(SKIP_1) | instid1(VALU_DEP_2)
	v_trunc_f32_e32 v21, v18
	s_wait_alu 0xf1ff
	v_cndmask_b32_e64 v14, 0x7f800000, v14, s3
	v_cmp_eq_f32_e64 s3, v17, v15
	s_delay_alu instid0(VALU_DEP_3) | instskip(NEXT) | instid1(VALU_DEP_3)
	v_cmp_neq_f32_e64 s4, v21, v18
	v_fma_f32 v13, v14, v13, v14
	v_cmp_class_f32_e64 s5, v14, 0x204
	s_and_b32 s4, s3, s4
	s_wait_alu 0xfffe
	v_cndmask_b32_e64 v17, 1.0, v16, s4
	v_cndmask_b32_e64 v13, v13, v14, s5
	v_cmp_gt_f32_e64 s5, 0, v15
	v_cndmask_b32_e64 v14, 0x7f800000, 0, s28
	s_delay_alu instid0(VALU_DEP_3) | instskip(NEXT) | instid1(VALU_DEP_1)
	v_bfi_b32 v13, 0x7fffffff, v13, v17
	v_cndmask_b32_e64 v17, 0x7fc00000, v13, s3
	s_xor_b32 s3, s5, s6
	s_wait_alu 0xfffe
	v_cndmask_b32_e64 v18, 0x7f800000, 0, s3
	v_cmp_neq_f32_e64 s3, |v16|, 1.0
	s_wait_alu 0xf1ff
	s_delay_alu instid0(VALU_DEP_1) | instskip(SKIP_2) | instid1(VALU_DEP_1)
	v_cndmask_b32_e64 v14, 1.0, v14, s3
	v_cmp_gt_f32_e64 s3, 0, v16
	s_wait_alu 0xf1ff
	v_cndmask_b32_e64 v13, v13, v17, s3
	v_cndmask_b32_e64 v17, 0, v16, s4
	v_cmp_class_f32_e64 s3, v15, 0x204
	v_cmp_class_f32_e64 s4, v16, 0x204
	s_wait_alu 0xf1ff
	s_delay_alu instid0(VALU_DEP_2) | instskip(SKIP_3) | instid1(VALU_DEP_1)
	v_cndmask_b32_e64 v13, v13, v14, s3
	v_bfi_b32 v14, 0x7fffffff, v18, v17
	s_or_b32 s3, s6, s4
	s_wait_alu 0xfffe
	v_cndmask_b32_e64 v13, v13, v14, s3
	v_cmp_o_f32_e64 s3, v16, v15
	s_wait_alu 0xf1ff
	s_delay_alu instid0(VALU_DEP_1)
	v_cndmask_b32_e64 v13, 0x7fc00000, v13, s3
	global_store_b32 v[3:4], v13, off
	s_or_b32 exec_lo, exec_lo, s27
	s_and_saveexec_b32 s6, s2
	s_cbranch_execz .LBB54_14
.LBB54_18:                              ;   in Loop: Header=BB54_4 Depth=1
	s_wait_loadcnt 0x0
	v_cmp_neq_f32_e64 s2, 1.0, v12
	s_wait_alu 0xf1ff
	s_delay_alu instid0(VALU_DEP_1) | instskip(NEXT) | instid1(VALU_DEP_1)
	v_cndmask_b32_e64 v14, 1.0, s24, s2
	v_cmp_neq_f32_e64 s2, 0, v14
	v_cmp_neq_f32_e64 s27, v14, |v14|
	s_wait_alu 0xf1ff
	s_delay_alu instid0(VALU_DEP_2) | instskip(NEXT) | instid1(VALU_DEP_1)
	v_cndmask_b32_e64 v15, 1.0, v12, s2
	v_frexp_mant_f32_e64 v12, |v15|
	v_cmp_lt_f32_e64 s28, |v15|, 1.0
	v_cmp_eq_f32_e64 s5, 0, v15
	s_delay_alu instid0(VALU_DEP_3) | instskip(SKIP_2) | instid1(VALU_DEP_1)
	v_cmp_gt_f32_e64 s2, 0x3f2aaaab, v12
	s_xor_b32 s27, s27, s28
	v_cndmask_b32_e64 v13, 1.0, 2.0, s2
	v_mul_f32_e32 v12, v12, v13
	s_delay_alu instid0(VALU_DEP_1) | instskip(SKIP_1) | instid1(VALU_DEP_2)
	v_add_f32_e32 v13, 1.0, v12
	v_add_f32_e32 v17, -1.0, v12
	v_add_f32_e32 v19, -1.0, v13
	s_delay_alu instid0(VALU_DEP_1) | instskip(SKIP_1) | instid1(TRANS32_DEP_1)
	v_sub_f32_e32 v12, v12, v19
	v_rcp_f32_e32 v16, v13
	v_mul_f32_e32 v18, v17, v16
	s_delay_alu instid0(VALU_DEP_1) | instskip(NEXT) | instid1(VALU_DEP_1)
	v_mul_f32_e32 v20, v13, v18
	v_fma_f32 v13, v18, v13, -v20
	s_delay_alu instid0(VALU_DEP_1) | instskip(NEXT) | instid1(VALU_DEP_1)
	v_fmac_f32_e32 v13, v18, v12
	v_add_f32_e32 v12, v20, v13
	s_delay_alu instid0(VALU_DEP_1) | instskip(NEXT) | instid1(VALU_DEP_1)
	v_sub_f32_e32 v19, v17, v12
	v_dual_sub_f32 v20, v12, v20 :: v_dual_sub_f32 v17, v17, v19
	s_delay_alu instid0(VALU_DEP_1) | instskip(NEXT) | instid1(VALU_DEP_1)
	v_dual_sub_f32 v13, v20, v13 :: v_dual_sub_f32 v12, v17, v12
	v_add_f32_e32 v12, v13, v12
	s_delay_alu instid0(VALU_DEP_1) | instskip(NEXT) | instid1(VALU_DEP_1)
	v_add_f32_e32 v12, v19, v12
	v_mul_f32_e32 v12, v16, v12
	s_delay_alu instid0(VALU_DEP_1) | instskip(NEXT) | instid1(VALU_DEP_1)
	v_add_f32_e32 v16, v18, v12
	v_sub_f32_e32 v13, v16, v18
	s_delay_alu instid0(VALU_DEP_1) | instskip(NEXT) | instid1(VALU_DEP_1)
	v_sub_f32_e32 v18, v12, v13
	v_dual_mul_f32 v17, v16, v16 :: v_dual_add_f32 v12, v18, v18
	s_delay_alu instid0(VALU_DEP_1) | instskip(NEXT) | instid1(VALU_DEP_1)
	v_fma_f32 v19, v16, v16, -v17
	v_fmac_f32_e32 v19, v16, v12
	v_cvt_f64_f32_e64 v[12:13], |v15|
	s_delay_alu instid0(VALU_DEP_2) | instskip(NEXT) | instid1(VALU_DEP_1)
	v_add_f32_e32 v20, v17, v19
	v_fmaak_f32 v21, s26, v20, 0x3e91f4c4
	v_sub_f32_e32 v17, v20, v17
	s_delay_alu instid0(VALU_DEP_2) | instskip(NEXT) | instid1(VALU_DEP_2)
	v_fmaak_f32 v21, v20, v21, 0x3ecccdef
	v_sub_f32_e32 v17, v19, v17
	s_delay_alu instid0(VALU_DEP_2) | instskip(NEXT) | instid1(VALU_DEP_1)
	v_mul_f32_e32 v22, v20, v21
	v_fma_f32 v19, v20, v21, -v22
	s_delay_alu instid0(VALU_DEP_1) | instskip(NEXT) | instid1(VALU_DEP_1)
	v_dual_fmac_f32 v19, v17, v21 :: v_dual_mul_f32 v24, v16, v20
	v_add_f32_e32 v21, v22, v19
	v_frexp_exp_i32_f64_e32 v12, v[12:13]
	s_delay_alu instid0(VALU_DEP_2) | instskip(NEXT) | instid1(VALU_DEP_1)
	v_sub_f32_e32 v22, v21, v22
	v_sub_f32_e32 v13, v19, v22
	v_fma_f32 v22, v20, v16, -v24
	s_delay_alu instid0(VALU_DEP_1) | instskip(NEXT) | instid1(VALU_DEP_1)
	v_dual_add_f32 v23, 0x3f2aaaaa, v21 :: v_dual_fmac_f32 v22, v20, v18
	v_add_f32_e32 v19, 0xbf2aaaaa, v23
	v_ldexp_f32 v18, v18, 1
	s_delay_alu instid0(VALU_DEP_3) | instskip(NEXT) | instid1(VALU_DEP_3)
	v_dual_fmac_f32 v22, v17, v16 :: v_dual_add_f32 v13, 0x31739010, v13
	v_sub_f32_e32 v19, v21, v19
	s_delay_alu instid0(VALU_DEP_1) | instskip(NEXT) | instid1(VALU_DEP_1)
	v_add_f32_e32 v13, v13, v19
	v_add_f32_e32 v17, v23, v13
	s_delay_alu instid0(VALU_DEP_1) | instskip(SKIP_1) | instid1(VALU_DEP_2)
	v_sub_f32_e32 v20, v23, v17
	v_subrev_co_ci_u32_e64 v12, null, 0, v12, s2
	v_add_f32_e32 v13, v13, v20
	s_delay_alu instid0(VALU_DEP_2) | instskip(SKIP_1) | instid1(VALU_DEP_1)
	v_cvt_f32_i32_e32 v12, v12
	v_add_f32_e32 v19, v24, v22
	v_mul_f32_e32 v21, v19, v17
	v_sub_f32_e32 v23, v19, v24
	s_delay_alu instid0(VALU_DEP_2) | instskip(NEXT) | instid1(VALU_DEP_2)
	v_fma_f32 v20, v19, v17, -v21
	v_sub_f32_e32 v22, v22, v23
	s_delay_alu instid0(VALU_DEP_2) | instskip(SKIP_1) | instid1(VALU_DEP_2)
	v_fmac_f32_e32 v20, v19, v13
	v_ldexp_f32 v13, v16, 1
	v_fmac_f32_e32 v20, v22, v17
	s_delay_alu instid0(VALU_DEP_1) | instskip(NEXT) | instid1(VALU_DEP_1)
	v_add_f32_e32 v16, v21, v20
	v_add_f32_e32 v17, v13, v16
	v_sub_f32_e32 v19, v16, v21
	v_mul_f32_e32 v21, 0x3f317218, v12
	s_delay_alu instid0(VALU_DEP_3) | instskip(NEXT) | instid1(VALU_DEP_3)
	v_sub_f32_e32 v13, v17, v13
	v_sub_f32_e32 v19, v20, v19
	s_delay_alu instid0(VALU_DEP_3) | instskip(NEXT) | instid1(VALU_DEP_2)
	v_fma_f32 v20, 0x3f317218, v12, -v21
	v_dual_sub_f32 v13, v16, v13 :: v_dual_add_f32 v16, v18, v19
	s_delay_alu instid0(VALU_DEP_2) | instskip(NEXT) | instid1(VALU_DEP_2)
	v_fmac_f32_e32 v20, 0xb102e308, v12
	v_add_f32_e32 v12, v16, v13
	s_delay_alu instid0(VALU_DEP_1) | instskip(NEXT) | instid1(VALU_DEP_1)
	v_add_f32_e32 v16, v17, v12
	v_sub_f32_e32 v17, v16, v17
	s_delay_alu instid0(VALU_DEP_1) | instskip(NEXT) | instid1(VALU_DEP_1)
	v_dual_sub_f32 v12, v12, v17 :: v_dual_add_f32 v13, v21, v20
	v_sub_f32_e32 v21, v13, v21
	s_delay_alu instid0(VALU_DEP_1) | instskip(SKIP_1) | instid1(VALU_DEP_2)
	v_sub_f32_e32 v20, v20, v21
	v_add_f32_e32 v18, v13, v16
	v_add_f32_e32 v17, v20, v12
	s_delay_alu instid0(VALU_DEP_2) | instskip(NEXT) | instid1(VALU_DEP_1)
	v_sub_f32_e32 v19, v18, v13
	v_sub_f32_e32 v22, v18, v19
	s_delay_alu instid0(VALU_DEP_1) | instskip(NEXT) | instid1(VALU_DEP_1)
	v_dual_sub_f32 v16, v16, v19 :: v_dual_sub_f32 v13, v13, v22
	v_dual_add_f32 v13, v16, v13 :: v_dual_sub_f32 v16, v17, v20
	s_delay_alu instid0(VALU_DEP_1) | instskip(NEXT) | instid1(VALU_DEP_2)
	v_add_f32_e32 v13, v17, v13
	v_sub_f32_e32 v17, v17, v16
	s_delay_alu instid0(VALU_DEP_2) | instskip(NEXT) | instid1(VALU_DEP_1)
	v_dual_sub_f32 v12, v12, v16 :: v_dual_add_f32 v19, v18, v13
	v_dual_sub_f32 v16, v20, v17 :: v_dual_sub_f32 v17, v19, v18
	s_delay_alu instid0(VALU_DEP_1) | instskip(NEXT) | instid1(VALU_DEP_1)
	v_dual_add_f32 v12, v12, v16 :: v_dual_sub_f32 v13, v13, v17
	v_add_f32_e32 v12, v12, v13
	s_delay_alu instid0(VALU_DEP_1) | instskip(NEXT) | instid1(VALU_DEP_1)
	v_add_f32_e32 v13, v19, v12
	v_dual_sub_f32 v16, v13, v19 :: v_dual_mul_f32 v17, v14, v13
	s_delay_alu instid0(VALU_DEP_1) | instskip(NEXT) | instid1(VALU_DEP_2)
	v_sub_f32_e32 v12, v12, v16
	v_fma_f32 v13, v14, v13, -v17
	v_cmp_class_f32_e64 s2, v17, 0x204
	s_delay_alu instid0(VALU_DEP_2) | instskip(NEXT) | instid1(VALU_DEP_1)
	v_fmac_f32_e32 v13, v14, v12
	v_add_f32_e32 v12, v17, v13
	s_wait_alu 0xf1ff
	s_delay_alu instid0(VALU_DEP_1) | instskip(NEXT) | instid1(VALU_DEP_1)
	v_cndmask_b32_e64 v16, v12, v17, s2
	v_cmp_eq_f32_e64 s2, 0x42b17218, v16
	s_wait_alu 0xf1ff
	s_delay_alu instid0(VALU_DEP_1) | instskip(SKIP_1) | instid1(VALU_DEP_2)
	v_cndmask_b32_e64 v18, 0, 0x37000000, s2
	v_cmp_neq_f32_e64 s2, 0x7f800000, |v16|
	v_sub_f32_e32 v19, v16, v18
	v_sub_f32_e32 v12, v12, v17
	v_trunc_f32_e32 v16, v14
	s_delay_alu instid0(VALU_DEP_3) | instskip(NEXT) | instid1(VALU_DEP_3)
	v_mul_f32_e32 v20, 0x3fb8aa3b, v19
	v_sub_f32_e32 v12, v13, v12
	s_delay_alu instid0(VALU_DEP_2) | instskip(SKIP_2) | instid1(VALU_DEP_3)
	v_fma_f32 v21, 0x3fb8aa3b, v19, -v20
	v_rndne_f32_e32 v22, v20
	s_wait_alu 0xf1ff
	v_cndmask_b32_e64 v12, 0, v12, s2
	v_cmp_ngt_f32_e64 s2, 0xc2ce8ed0, v19
	s_delay_alu instid0(VALU_DEP_3) | instskip(SKIP_1) | instid1(VALU_DEP_4)
	v_dual_fmac_f32 v21, 0x32a5705f, v19 :: v_dual_sub_f32 v20, v20, v22
	v_cvt_i32_f32_e32 v17, v22
	v_add_f32_e32 v12, v18, v12
	s_delay_alu instid0(VALU_DEP_3) | instskip(NEXT) | instid1(VALU_DEP_1)
	v_add_f32_e32 v20, v20, v21
	v_exp_f32_e32 v20, v20
	s_delay_alu instid0(TRANS32_DEP_1) | instskip(SKIP_2) | instid1(VALU_DEP_2)
	v_ldexp_f32 v13, v20, v17
	v_mul_f32_e32 v17, 0.5, v14
	s_wait_alu 0xf1ff
	v_cndmask_b32_e64 v13, 0, v13, s2
	v_cmp_nlt_f32_e64 s2, 0x42b17218, v19
	s_delay_alu instid0(VALU_DEP_3) | instskip(SKIP_1) | instid1(VALU_DEP_2)
	v_trunc_f32_e32 v20, v17
	s_wait_alu 0xf1ff
	v_cndmask_b32_e64 v13, 0x7f800000, v13, s2
	v_cmp_eq_f32_e64 s2, v16, v14
	s_delay_alu instid0(VALU_DEP_3) | instskip(NEXT) | instid1(VALU_DEP_3)
	v_cmp_neq_f32_e64 s3, v20, v17
	v_fma_f32 v12, v13, v12, v13
	v_cmp_class_f32_e64 s4, v13, 0x204
	s_and_b32 s3, s2, s3
	s_wait_alu 0xfffe
	v_cndmask_b32_e64 v16, 1.0, v15, s3
	v_cndmask_b32_e64 v18, 0, v15, s3
	v_cndmask_b32_e64 v12, v12, v13, s4
	;; [unrolled: 1-line block ×3, first 2 shown]
	v_cmp_gt_f32_e64 s4, 0, v14
	v_cmp_class_f32_e64 s3, v15, 0x204
	s_delay_alu instid0(VALU_DEP_4) | instskip(SKIP_3) | instid1(VALU_DEP_2)
	v_bfi_b32 v12, 0x7fffffff, v12, v16
	s_xor_b32 s4, s4, s5
	s_wait_alu 0xfffe
	v_cndmask_b32_e64 v16, 0x7f800000, 0, s4
	v_cndmask_b32_e64 v17, 0x7fc00000, v12, s2
	v_cmp_neq_f32_e64 s2, |v15|, 1.0
	s_delay_alu instid0(VALU_DEP_3) | instskip(SKIP_1) | instid1(VALU_DEP_2)
	v_bfi_b32 v16, 0x7fffffff, v16, v18
	s_wait_alu 0xf1ff
	v_cndmask_b32_e64 v13, 1.0, v13, s2
	v_cmp_gt_f32_e64 s2, 0, v15
	s_wait_alu 0xf1ff
	s_delay_alu instid0(VALU_DEP_1) | instskip(SKIP_2) | instid1(VALU_DEP_1)
	v_cndmask_b32_e64 v12, v12, v17, s2
	v_cmp_class_f32_e64 s2, v14, 0x204
	s_wait_alu 0xf1ff
	v_cndmask_b32_e64 v12, v12, v13, s2
	s_or_b32 s2, s5, s3
	s_wait_alu 0xfffe
	s_delay_alu instid0(VALU_DEP_1) | instskip(SKIP_2) | instid1(VALU_DEP_1)
	v_cndmask_b32_e64 v12, v12, v16, s2
	v_cmp_o_f32_e64 s2, v15, v14
	s_wait_alu 0xf1ff
	v_cndmask_b32_e64 v14, 0x7fc00000, v12, s2
	v_add_co_u32 v12, s2, v1, s25
	s_wait_alu 0xf1ff
	v_add_co_ci_u32_e64 v13, null, 0, v2, s2
	global_store_b32 v[12:13], v14, off
	s_or_b32 exec_lo, exec_lo, s6
	s_and_saveexec_b32 s5, vcc_lo
	s_cbranch_execz .LBB54_3
.LBB54_19:                              ;   in Loop: Header=BB54_4 Depth=1
	s_wait_loadcnt 0x0
	v_cmp_neq_f32_e32 vcc_lo, 1.0, v11
	s_wait_alu 0xfffd
	v_cndmask_b32_e64 v13, 1.0, s24, vcc_lo
	s_delay_alu instid0(VALU_DEP_1) | instskip(SKIP_3) | instid1(VALU_DEP_1)
	v_cmp_neq_f32_e32 vcc_lo, 0, v13
	v_cmp_neq_f32_e64 s6, v13, |v13|
	s_wait_alu 0xfffd
	v_cndmask_b32_e32 v14, 1.0, v11, vcc_lo
	v_frexp_mant_f32_e64 v11, |v14|
	s_delay_alu instid0(VALU_DEP_1) | instskip(SKIP_2) | instid1(VALU_DEP_1)
	v_cmp_gt_f32_e32 vcc_lo, 0x3f2aaaab, v11
	s_wait_alu 0xfffd
	v_cndmask_b32_e64 v12, 1.0, 2.0, vcc_lo
	v_mul_f32_e32 v11, v11, v12
	v_cmp_lt_f32_e64 s27, |v14|, 1.0
	v_cmp_eq_f32_e64 s4, 0, v14
	s_delay_alu instid0(VALU_DEP_3) | instskip(SKIP_2) | instid1(VALU_DEP_2)
	v_add_f32_e32 v12, 1.0, v11
	v_add_f32_e32 v16, -1.0, v11
	s_xor_b32 s6, s6, s27
	v_add_f32_e32 v18, -1.0, v12
	s_delay_alu instid0(VALU_DEP_1) | instskip(SKIP_1) | instid1(TRANS32_DEP_1)
	v_sub_f32_e32 v11, v11, v18
	v_rcp_f32_e32 v15, v12
	v_mul_f32_e32 v17, v16, v15
	s_delay_alu instid0(VALU_DEP_1) | instskip(NEXT) | instid1(VALU_DEP_1)
	v_mul_f32_e32 v19, v12, v17
	v_fma_f32 v12, v17, v12, -v19
	s_delay_alu instid0(VALU_DEP_1) | instskip(NEXT) | instid1(VALU_DEP_1)
	v_fmac_f32_e32 v12, v17, v11
	v_add_f32_e32 v11, v19, v12
	s_delay_alu instid0(VALU_DEP_1) | instskip(NEXT) | instid1(VALU_DEP_1)
	v_sub_f32_e32 v18, v16, v11
	v_dual_sub_f32 v16, v16, v18 :: v_dual_sub_f32 v19, v11, v19
	s_delay_alu instid0(VALU_DEP_1) | instskip(NEXT) | instid1(VALU_DEP_1)
	v_dual_sub_f32 v11, v16, v11 :: v_dual_sub_f32 v12, v19, v12
	v_add_f32_e32 v11, v12, v11
	s_delay_alu instid0(VALU_DEP_1) | instskip(NEXT) | instid1(VALU_DEP_1)
	v_add_f32_e32 v11, v18, v11
	v_mul_f32_e32 v11, v15, v11
	s_delay_alu instid0(VALU_DEP_1) | instskip(NEXT) | instid1(VALU_DEP_1)
	v_add_f32_e32 v15, v17, v11
	v_sub_f32_e32 v12, v15, v17
	s_delay_alu instid0(VALU_DEP_1) | instskip(NEXT) | instid1(VALU_DEP_1)
	v_sub_f32_e32 v17, v11, v12
	v_dual_mul_f32 v16, v15, v15 :: v_dual_add_f32 v11, v17, v17
	s_delay_alu instid0(VALU_DEP_1) | instskip(NEXT) | instid1(VALU_DEP_1)
	v_fma_f32 v18, v15, v15, -v16
	v_fmac_f32_e32 v18, v15, v11
	v_cvt_f64_f32_e64 v[11:12], |v14|
	s_delay_alu instid0(VALU_DEP_2) | instskip(NEXT) | instid1(VALU_DEP_1)
	v_add_f32_e32 v19, v16, v18
	v_fmaak_f32 v20, s26, v19, 0x3e91f4c4
	v_sub_f32_e32 v16, v19, v16
	s_delay_alu instid0(VALU_DEP_2) | instskip(NEXT) | instid1(VALU_DEP_2)
	v_fmaak_f32 v20, v19, v20, 0x3ecccdef
	v_sub_f32_e32 v16, v18, v16
	s_delay_alu instid0(VALU_DEP_2) | instskip(NEXT) | instid1(VALU_DEP_1)
	v_mul_f32_e32 v21, v19, v20
	v_fma_f32 v18, v19, v20, -v21
	s_delay_alu instid0(VALU_DEP_1) | instskip(NEXT) | instid1(VALU_DEP_1)
	v_dual_fmac_f32 v18, v16, v20 :: v_dual_mul_f32 v23, v15, v19
	v_add_f32_e32 v20, v21, v18
	v_frexp_exp_i32_f64_e32 v11, v[11:12]
	s_delay_alu instid0(VALU_DEP_2) | instskip(NEXT) | instid1(VALU_DEP_1)
	v_sub_f32_e32 v21, v20, v21
	v_sub_f32_e32 v12, v18, v21
	v_fma_f32 v21, v19, v15, -v23
	s_delay_alu instid0(VALU_DEP_1) | instskip(SKIP_2) | instid1(VALU_DEP_2)
	v_dual_add_f32 v12, 0x31739010, v12 :: v_dual_fmac_f32 v21, v19, v17
	v_add_f32_e32 v22, 0x3f2aaaaa, v20
	v_ldexp_f32 v17, v17, 1
	v_dual_fmac_f32 v21, v16, v15 :: v_dual_add_f32 v18, 0xbf2aaaaa, v22
	s_delay_alu instid0(VALU_DEP_1) | instskip(NEXT) | instid1(VALU_DEP_1)
	v_sub_f32_e32 v18, v20, v18
	v_add_f32_e32 v12, v12, v18
	s_delay_alu instid0(VALU_DEP_1) | instskip(SKIP_1) | instid1(VALU_DEP_2)
	v_add_f32_e32 v16, v22, v12
	v_subrev_co_ci_u32_e64 v11, null, 0, v11, vcc_lo
	v_sub_f32_e32 v19, v22, v16
	s_delay_alu instid0(VALU_DEP_2) | instskip(SKIP_1) | instid1(VALU_DEP_3)
	v_cvt_f32_i32_e32 v11, v11
	v_add_f32_e32 v18, v23, v21
	v_add_f32_e32 v12, v12, v19
	s_delay_alu instid0(VALU_DEP_2) | instskip(SKIP_1) | instid1(VALU_DEP_2)
	v_mul_f32_e32 v20, v18, v16
	v_sub_f32_e32 v22, v18, v23
	v_fma_f32 v19, v18, v16, -v20
	s_delay_alu instid0(VALU_DEP_2) | instskip(NEXT) | instid1(VALU_DEP_2)
	v_sub_f32_e32 v21, v21, v22
	v_fmac_f32_e32 v19, v18, v12
	v_ldexp_f32 v12, v15, 1
	s_delay_alu instid0(VALU_DEP_2) | instskip(NEXT) | instid1(VALU_DEP_1)
	v_fmac_f32_e32 v19, v21, v16
	v_add_f32_e32 v15, v20, v19
	s_delay_alu instid0(VALU_DEP_1) | instskip(SKIP_2) | instid1(VALU_DEP_3)
	v_add_f32_e32 v16, v12, v15
	v_sub_f32_e32 v18, v15, v20
	v_mul_f32_e32 v20, 0x3f317218, v11
	v_sub_f32_e32 v12, v16, v12
	s_delay_alu instid0(VALU_DEP_3) | instskip(NEXT) | instid1(VALU_DEP_3)
	v_sub_f32_e32 v18, v19, v18
	v_fma_f32 v19, 0x3f317218, v11, -v20
	s_delay_alu instid0(VALU_DEP_2) | instskip(NEXT) | instid1(VALU_DEP_2)
	v_dual_sub_f32 v12, v15, v12 :: v_dual_add_f32 v15, v17, v18
	v_fmac_f32_e32 v19, 0xb102e308, v11
	s_delay_alu instid0(VALU_DEP_2) | instskip(NEXT) | instid1(VALU_DEP_1)
	v_add_f32_e32 v11, v15, v12
	v_add_f32_e32 v15, v16, v11
	s_delay_alu instid0(VALU_DEP_1) | instskip(NEXT) | instid1(VALU_DEP_1)
	v_sub_f32_e32 v16, v15, v16
	v_dual_sub_f32 v11, v11, v16 :: v_dual_add_f32 v12, v20, v19
	s_delay_alu instid0(VALU_DEP_1) | instskip(NEXT) | instid1(VALU_DEP_1)
	v_sub_f32_e32 v20, v12, v20
	v_sub_f32_e32 v19, v19, v20
	v_add_f32_e32 v17, v12, v15
	s_delay_alu instid0(VALU_DEP_2) | instskip(NEXT) | instid1(VALU_DEP_2)
	v_add_f32_e32 v16, v19, v11
	v_sub_f32_e32 v18, v17, v12
	s_delay_alu instid0(VALU_DEP_1) | instskip(NEXT) | instid1(VALU_DEP_1)
	v_sub_f32_e32 v21, v17, v18
	v_dual_sub_f32 v15, v15, v18 :: v_dual_sub_f32 v12, v12, v21
	s_delay_alu instid0(VALU_DEP_1) | instskip(NEXT) | instid1(VALU_DEP_1)
	v_dual_add_f32 v12, v15, v12 :: v_dual_sub_f32 v15, v16, v19
	v_add_f32_e32 v12, v16, v12
	s_delay_alu instid0(VALU_DEP_2) | instskip(NEXT) | instid1(VALU_DEP_2)
	v_sub_f32_e32 v16, v16, v15
	v_dual_sub_f32 v11, v11, v15 :: v_dual_add_f32 v18, v17, v12
	s_delay_alu instid0(VALU_DEP_1) | instskip(NEXT) | instid1(VALU_DEP_1)
	v_dual_sub_f32 v15, v19, v16 :: v_dual_sub_f32 v16, v18, v17
	v_dual_add_f32 v11, v11, v15 :: v_dual_sub_f32 v12, v12, v16
	s_delay_alu instid0(VALU_DEP_1) | instskip(NEXT) | instid1(VALU_DEP_1)
	v_add_f32_e32 v11, v11, v12
	v_add_f32_e32 v12, v18, v11
	s_delay_alu instid0(VALU_DEP_1) | instskip(NEXT) | instid1(VALU_DEP_1)
	v_dual_sub_f32 v15, v12, v18 :: v_dual_mul_f32 v16, v13, v12
	v_sub_f32_e32 v11, v11, v15
	s_delay_alu instid0(VALU_DEP_2) | instskip(SKIP_1) | instid1(VALU_DEP_2)
	v_fma_f32 v12, v13, v12, -v16
	v_cmp_class_f32_e64 vcc_lo, v16, 0x204
	v_fmac_f32_e32 v12, v13, v11
	s_delay_alu instid0(VALU_DEP_1) | instskip(SKIP_1) | instid1(VALU_DEP_1)
	v_add_f32_e32 v11, v16, v12
	s_wait_alu 0xfffd
	v_cndmask_b32_e32 v15, v11, v16, vcc_lo
	s_delay_alu instid0(VALU_DEP_1) | instskip(SKIP_3) | instid1(VALU_DEP_2)
	v_cmp_eq_f32_e32 vcc_lo, 0x42b17218, v15
	s_wait_alu 0xfffd
	v_cndmask_b32_e64 v17, 0, 0x37000000, vcc_lo
	v_cmp_neq_f32_e64 vcc_lo, 0x7f800000, |v15|
	v_sub_f32_e32 v18, v15, v17
	v_sub_f32_e32 v11, v11, v16
	v_trunc_f32_e32 v15, v13
	s_delay_alu instid0(VALU_DEP_3) | instskip(NEXT) | instid1(VALU_DEP_3)
	v_mul_f32_e32 v19, 0x3fb8aa3b, v18
	v_sub_f32_e32 v11, v12, v11
	s_delay_alu instid0(VALU_DEP_2) | instskip(SKIP_2) | instid1(VALU_DEP_3)
	v_fma_f32 v20, 0x3fb8aa3b, v18, -v19
	v_rndne_f32_e32 v21, v19
	s_wait_alu 0xfffd
	v_cndmask_b32_e32 v11, 0, v11, vcc_lo
	v_cmp_ngt_f32_e32 vcc_lo, 0xc2ce8ed0, v18
	s_delay_alu instid0(VALU_DEP_3) | instskip(SKIP_1) | instid1(VALU_DEP_4)
	v_dual_fmac_f32 v20, 0x32a5705f, v18 :: v_dual_sub_f32 v19, v19, v21
	v_cvt_i32_f32_e32 v16, v21
	v_add_f32_e32 v11, v17, v11
	s_delay_alu instid0(VALU_DEP_3) | instskip(NEXT) | instid1(VALU_DEP_1)
	v_add_f32_e32 v19, v19, v20
	v_exp_f32_e32 v19, v19
	s_delay_alu instid0(TRANS32_DEP_1) | instskip(SKIP_2) | instid1(VALU_DEP_2)
	v_ldexp_f32 v12, v19, v16
	v_mul_f32_e32 v16, 0.5, v13
	s_wait_alu 0xfffd
	v_cndmask_b32_e32 v12, 0, v12, vcc_lo
	v_cmp_nlt_f32_e32 vcc_lo, 0x42b17218, v18
	s_delay_alu instid0(VALU_DEP_3) | instskip(SKIP_1) | instid1(VALU_DEP_3)
	v_trunc_f32_e32 v19, v16
	s_wait_alu 0xfffd
	v_cndmask_b32_e32 v12, 0x7f800000, v12, vcc_lo
	v_cmp_eq_f32_e32 vcc_lo, v15, v13
	s_delay_alu instid0(VALU_DEP_3) | instskip(NEXT) | instid1(VALU_DEP_3)
	v_cmp_neq_f32_e64 s2, v19, v16
	v_fma_f32 v11, v12, v11, v12
	v_cmp_class_f32_e64 s3, v12, 0x204
	s_and_b32 s2, vcc_lo, s2
	s_wait_alu 0xfffe
	v_cndmask_b32_e64 v15, 1.0, v14, s2
	v_cndmask_b32_e64 v17, 0, v14, s2
	v_cndmask_b32_e64 v11, v11, v12, s3
	;; [unrolled: 1-line block ×3, first 2 shown]
	v_cmp_gt_f32_e64 s3, 0, v13
	v_cmp_class_f32_e64 s2, v14, 0x204
	s_delay_alu instid0(VALU_DEP_4) | instskip(SKIP_3) | instid1(VALU_DEP_2)
	v_bfi_b32 v11, 0x7fffffff, v11, v15
	s_xor_b32 s3, s3, s4
	s_wait_alu 0xfffe
	v_cndmask_b32_e64 v15, 0x7f800000, 0, s3
	v_cndmask_b32_e32 v16, 0x7fc00000, v11, vcc_lo
	v_cmp_neq_f32_e64 vcc_lo, |v14|, 1.0
	s_delay_alu instid0(VALU_DEP_3)
	v_bfi_b32 v15, 0x7fffffff, v15, v17
	s_wait_alu 0xfffd
	v_cndmask_b32_e32 v12, 1.0, v12, vcc_lo
	v_cmp_gt_f32_e32 vcc_lo, 0, v14
	s_wait_alu 0xfffd
	v_cndmask_b32_e32 v11, v11, v16, vcc_lo
	v_cmp_class_f32_e64 vcc_lo, v13, 0x204
	s_wait_alu 0xfffd
	s_delay_alu instid0(VALU_DEP_2) | instskip(SKIP_2) | instid1(VALU_DEP_1)
	v_cndmask_b32_e32 v11, v11, v12, vcc_lo
	s_or_b32 vcc_lo, s4, s2
	s_wait_alu 0xfffe
	v_cndmask_b32_e32 v11, v11, v15, vcc_lo
	v_cmp_o_f32_e32 vcc_lo, v14, v13
	s_wait_alu 0xfffd
	s_delay_alu instid0(VALU_DEP_2)
	v_cndmask_b32_e32 v13, 0x7fc00000, v11, vcc_lo
	v_add_co_u32 v11, vcc_lo, v1, s20
	s_wait_alu 0xfffd
	v_add_co_ci_u32_e64 v12, null, s21, v2, vcc_lo
	global_store_b32 v[11:12], v13, off
	s_branch .LBB54_3
.LBB54_20:
	s_cbranch_execz .LBB54_22
	s_branch .LBB54_25
.LBB54_21:
.LBB54_22:
	v_cmp_gt_i64_e64 s2, 0x10000, s[12:13]
	v_dual_mov_b32 v2, 0 :: v_dual_lshlrev_b32 v1, 2, v0
	s_mov_b32 s20, 0
	s_and_b32 s2, s2, exec_lo
	s_cselect_b32 s19, s13, 0
	s_cselect_b32 s18, s12, 0x10000
	s_mov_b32 s2, exec_lo
	s_wait_alu 0xfffe
	v_cmpx_gt_i64_e64 s[18:19], v[1:2]
	s_cbranch_execz .LBB54_25
; %bb.23:
	s_load_b32 s2, s[0:1], 0xd3c
	v_lshlrev_b32_e32 v1, 4, v0
	s_add_nc_u64 s[0:1], s[8:9], s[10:11]
	s_mov_b32 s23, 0x3e76c4e1
	s_delay_alu instid0(VALU_DEP_1) | instskip(SKIP_3) | instid1(VALU_DEP_3)
	v_add_co_u32 v3, s0, s0, v1
	s_wait_alu 0xf1ff
	v_add_co_ci_u32_e64 v4, null, s1, 0, s0
	v_mov_b32_e32 v1, v2
	v_add_co_u32 v6, vcc_lo, v3, 8
	s_wait_alu 0xfffd
	s_delay_alu instid0(VALU_DEP_3)
	v_add_co_ci_u32_e64 v7, null, 0, v4, vcc_lo
	s_wait_kmcnt 0x0
	s_and_b32 s21, s2, 0xffff
	s_wait_alu 0xfffe
	s_lshl_b32 s22, s21, 4
.LBB54_24:                              ; =>This Inner Loop Header: Depth=1
	global_load_b128 v[2:5], v[6:7], off offset:-8
	v_add_co_u32 v0, vcc_lo, v0, s21
	s_wait_alu 0xfffd
	v_add_co_ci_u32_e64 v1, null, 0, v1, vcc_lo
	s_delay_alu instid0(VALU_DEP_1)
	v_lshlrev_b64_e32 v[8:9], 2, v[0:1]
	s_wait_loadcnt 0x0
	v_cmp_neq_f32_e32 vcc_lo, 1.0, v2
	s_wait_alu 0xfffd
	v_cndmask_b32_e64 v10, 1.0, s24, vcc_lo
	v_cmp_neq_f32_e32 vcc_lo, 1.0, v3
	s_delay_alu instid0(VALU_DEP_2)
	v_trunc_f32_e32 v14, v10
	s_wait_alu 0xfffd
	v_cndmask_b32_e64 v11, 1.0, s24, vcc_lo
	v_cmp_neq_f32_e32 vcc_lo, 1.0, v4
	v_cmp_neq_f32_e64 s13, v10, |v10|
	v_cmp_gt_f32_e64 s7, 0, v10
	v_cmp_eq_f32_e64 s3, v14, v10
	v_trunc_f32_e32 v16, v11
	s_wait_alu 0xfffd
	v_cndmask_b32_e64 v12, 1.0, s24, vcc_lo
	v_cmp_neq_f32_e32 vcc_lo, 1.0, v5
	v_mul_f32_e32 v17, 0.5, v11
	v_cmp_neq_f32_e64 s14, v11, |v11|
	v_cmp_eq_f32_e64 s4, v16, v11
	v_mul_f32_e32 v20, 0.5, v12
	s_wait_alu 0xfffd
	v_cndmask_b32_e64 v13, 1.0, s24, vcc_lo
	v_cmp_neq_f32_e32 vcc_lo, 0, v10
	v_trunc_f32_e32 v16, v17
	v_cmp_gt_f32_e64 s8, 0, v11
	v_cmp_neq_f32_e64 s16, v12, |v12|
	v_trunc_f32_e32 v19, v13
	s_wait_alu 0xfffd
	v_cndmask_b32_e32 v2, 1.0, v2, vcc_lo
	v_cmp_neq_f32_e32 vcc_lo, 0, v11
	v_cmp_gt_f32_e64 s9, 0, v12
	v_trunc_f32_e32 v18, v12
	v_cmp_eq_f32_e64 s6, v19, v13
	v_cmp_neq_f32_e64 s29, v13, |v13|
	s_wait_alu 0xfffd
	v_cndmask_b32_e32 v3, 1.0, v3, vcc_lo
	v_cmp_neq_f32_e32 vcc_lo, 0, v12
	v_mul_f32_e32 v15, 0.5, v10
	v_cmp_lt_f32_e64 s15, |v2|, 1.0
	v_frexp_mant_f32_e64 v22, |v2|
	v_frexp_mant_f32_e64 v23, |v3|
	s_wait_alu 0xfffd
	v_cndmask_b32_e32 v4, 1.0, v4, vcc_lo
	v_trunc_f32_e32 v14, v15
	s_xor_b32 s13, s13, s15
	v_cmp_neq_f32_e32 vcc_lo, 0, v13
	v_cvt_f64_f32_e64 v[26:27], |v3|
	v_cmp_lt_f32_e64 s17, |v3|, 1.0
	v_cmp_neq_f32_e64 s12, v14, v15
	s_wait_alu 0xfffe
	v_cndmask_b32_e64 v14, 0x7f800000, 0, s13
	v_cmp_gt_f32_e64 s13, 0x3f2aaaab, v23
	v_frexp_mant_f32_e64 v32, |v4|
	s_xor_b32 s14, s14, s17
	v_cmp_gt_f32_e64 s11, 0x3f2aaaab, v22
	v_cmp_eq_f32_e64 s0, 0, v3
	v_cndmask_b32_e64 v15, 1.0, 2.0, s13
	s_wait_alu 0xfffd
	v_cndmask_b32_e32 v5, 1.0, v5, vcc_lo
	v_cmp_eq_f32_e32 vcc_lo, 0, v2
	s_wait_alu 0xf1ff
	v_cndmask_b32_e64 v35, 1.0, 2.0, s11
	v_cmp_lt_f32_e64 s30, |v4|, 1.0
	v_mul_f32_e32 v40, v23, v15
	v_cvt_f64_f32_e64 v[30:31], |v5|
	s_xor_b32 s7, s7, vcc_lo
	v_frexp_mant_f32_e64 v33, |v5|
	s_wait_alu 0xfffe
	v_cndmask_b32_e64 v36, 0x7f800000, 0, s7
	v_cmp_neq_f32_e64 s7, v16, v17
	v_cndmask_b32_e64 v16, 0x7f800000, 0, s14
	v_cmp_gt_f32_e64 s14, 0x3f2aaaab, v32
	s_xor_b32 s8, s8, s0
	v_cmp_eq_f32_e64 s1, 0, v4
	s_wait_alu 0xfffe
	v_cndmask_b32_e64 v19, 0x7f800000, 0, s8
	s_xor_b32 s8, s16, s30
	v_cndmask_b32_e64 v37, 1.0, 2.0, s14
	v_mul_f32_e32 v35, v22, v35
	v_cmp_gt_f32_e64 s16, 0x3f2aaaab, v33
	v_cmp_lt_f32_e64 s31, |v5|, 1.0
	v_cmp_gt_f32_e64 s10, 0, v13
	v_mul_f32_e32 v32, v32, v37
	v_mul_f32_e32 v21, 0.5, v13
	v_cmp_eq_f32_e64 s2, 0, v5
	s_wait_alu 0xfffe
	v_cndmask_b32_e64 v38, 0x7f800000, 0, s8
	s_xor_b32 s8, s9, s1
	v_cmp_eq_f32_e64 s5, v18, v12
	v_trunc_f32_e32 v34, v21
	v_frexp_exp_i32_f64_e32 v26, v[26:27]
	v_trunc_f32_e32 v18, v20
	v_cndmask_b32_e64 v39, 1.0, 2.0, s16
	s_wait_alu 0xfffe
	v_cndmask_b32_e64 v17, 0x7f800000, 0, s8
	s_xor_b32 s8, s29, s31
	v_cmp_neq_f32_e64 s17, v34, v21
	s_wait_alu 0xfffe
	v_cndmask_b32_e64 v34, 0x7f800000, 0, s8
	s_xor_b32 s8, s10, s2
	v_cmp_neq_f32_e64 s15, v18, v20
	s_wait_alu 0xfffe
	v_cndmask_b32_e64 v18, 0x7f800000, 0, s8
	v_cmp_neq_f32_e64 s8, |v2|, 1.0
	v_dual_mul_f32 v33, v33, v39 :: v_dual_add_f32 v42, -1.0, v32
	v_cvt_f64_f32_e64 v[24:25], |v2|
	v_add_f32_e32 v37, -1.0, v35
	v_frexp_exp_i32_f64_e32 v30, v[30:31]
	s_wait_alu 0xf1ff
	v_cndmask_b32_e64 v14, 1.0, v14, s8
	s_and_b32 s8, s4, s7
	v_cmp_neq_f32_e64 s7, |v3|, 1.0
	v_dual_add_f32 v43, 1.0, v32 :: v_dual_add_f32 v44, 1.0, v33
	v_add_f32_e32 v41, 1.0, v40
	v_cvt_f64_f32_e64 v[28:29], |v4|
	s_wait_alu 0xf1ff
	v_cndmask_b32_e64 v15, 1.0, v16, s7
	v_cmp_neq_f32_e64 s7, |v4|, 1.0
	v_rcp_f32_e32 v50, v44
	v_add_f32_e32 v51, -1.0, v43
	v_dual_add_f32 v39, -1.0, v40 :: v_dual_add_f32 v52, -1.0, v33
	s_wait_alu 0xf1ff
	v_cndmask_b32_e64 v16, 1.0, v38, s7
	v_dual_add_f32 v38, 1.0, v35 :: v_dual_add_f32 v47, -1.0, v41
	v_sub_f32_e32 v32, v32, v51
	v_rcp_f32_e32 v49, v43
	v_add_f32_e32 v53, -1.0, v44
	s_delay_alu instid0(VALU_DEP_3) | instskip(SKIP_4) | instid1(VALU_DEP_3)
	v_rcp_f32_e32 v46, v38
	v_mul_f32_e32 v54, v52, v50
	v_sub_f32_e32 v40, v40, v47
	v_rcp_f32_e32 v48, v41
	v_subrev_co_ci_u32_e64 v26, null, 0, v26, s13
	v_mul_f32_e32 v57, v44, v54
	v_sub_f32_e32 v33, v33, v53
	s_delay_alu instid0(TRANS32_DEP_3) | instskip(SKIP_4) | instid1(TRANS32_DEP_1)
	v_mul_f32_e32 v51, v42, v49
	v_add_f32_e32 v45, -1.0, v38
	v_cvt_f32_i32_e32 v26, v26
	v_cmp_class_f32_e64 s25, v2, 0x204
	s_and_b32 s7, s6, s17
	v_mul_f32_e32 v47, v39, v48
	v_mul_f32_e32 v56, v43, v51
	v_sub_f32_e32 v35, v35, v45
	v_mul_f32_e32 v45, v37, v46
	v_frexp_exp_i32_f64_e32 v24, v[24:25]
	v_mul_f32_e32 v55, v41, v47
	v_subrev_co_ci_u32_e64 v30, null, 0, v30, s16
	s_delay_alu instid0(VALU_DEP_4) | instskip(SKIP_1) | instid1(VALU_DEP_3)
	v_mul_f32_e32 v53, v38, v45
	s_or_b32 vcc_lo, vcc_lo, s25
	v_fma_f32 v27, v47, v41, -v55
	v_fma_f32 v41, v54, v44, -v57
	v_cvt_f32_i32_e32 v30, v30
	v_fma_f32 v25, v45, v38, -v53
	v_fma_f32 v38, v51, v43, -v56
	v_frexp_exp_i32_f64_e32 v28, v[28:29]
	v_fmac_f32_e32 v41, v54, v33
	s_wait_alu 0xfffe
	v_cndmask_b32_e64 v23, 1.0, v5, s7
	s_and_b32 s10, s3, s12
	v_dual_fmac_f32 v38, v51, v32 :: v_dual_fmac_f32 v25, v45, v35
	v_add_f32_e32 v33, v57, v41
	s_wait_alu 0xfffe
	v_cndmask_b32_e64 v20, 1.0, v2, s10
	v_cndmask_b32_e64 v21, 1.0, v3, s8
	v_dual_add_f32 v32, v56, v38 :: v_dual_add_f32 v29, v53, v25
	s_and_b32 s9, s5, s15
	v_cmp_neq_f32_e64 s12, |v5|, 1.0
	s_wait_alu 0xfffe
	v_cndmask_b32_e64 v22, 1.0, v4, s9
	v_cmp_class_f32_e64 s26, v3, 0x204
	v_sub_f32_e32 v35, v29, v53
	v_dual_sub_f32 v53, v32, v56 :: v_dual_sub_f32 v56, v33, v57
	v_dual_fmac_f32 v27, v47, v40 :: v_dual_sub_f32 v40, v37, v29
	s_delay_alu instid0(VALU_DEP_3)
	v_sub_f32_e32 v25, v35, v25
	s_wait_alu 0xf1ff
	v_cndmask_b32_e64 v34, 1.0, v34, s12
	v_cmp_class_f32_e64 s27, v4, 0x204
	v_add_f32_e32 v31, v55, v27
	v_sub_f32_e32 v37, v37, v40
	v_cmp_class_f32_e64 s28, v5, 0x204
	v_subrev_co_ci_u32_e64 v24, null, 0, v24, s11
	s_delay_alu instid0(VALU_DEP_3) | instskip(SKIP_2) | instid1(VALU_DEP_4)
	v_dual_sub_f32 v44, v39, v31 :: v_dual_sub_f32 v29, v37, v29
	v_sub_f32_e32 v43, v31, v55
	v_sub_f32_e32 v55, v42, v32
	v_cvt_f32_i32_e32 v24, v24
	s_delay_alu instid0(VALU_DEP_4) | instskip(SKIP_2) | instid1(VALU_DEP_3)
	v_sub_f32_e32 v35, v39, v44
	v_add_f32_e32 v25, v25, v29
	v_subrev_co_ci_u32_e64 v28, null, 0, v28, s14
	v_sub_f32_e32 v31, v35, v31
	s_delay_alu instid0(VALU_DEP_3) | instskip(SKIP_1) | instid1(VALU_DEP_4)
	v_dual_add_f32 v25, v40, v25 :: v_dual_mul_f32 v40, 0x3f317218, v26
	v_sub_f32_e32 v27, v43, v27
	v_cvt_f32_i32_e32 v28, v28
	s_delay_alu instid0(VALU_DEP_3) | instskip(NEXT) | instid1(VALU_DEP_3)
	v_mul_f32_e32 v25, v46, v25
	v_add_f32_e32 v27, v27, v31
	s_delay_alu instid0(VALU_DEP_1) | instskip(NEXT) | instid1(VALU_DEP_1)
	v_add_f32_e32 v27, v44, v27
	v_mul_f32_e32 v27, v48, v27
	s_delay_alu instid0(VALU_DEP_1) | instskip(NEXT) | instid1(VALU_DEP_1)
	v_add_f32_e32 v35, v47, v27
	v_sub_f32_e32 v46, v35, v47
	v_mul_f32_e32 v47, v35, v35
	v_sub_f32_e32 v41, v56, v41
	v_fma_f32 v56, 0x3f317218, v26, -v40
	s_delay_alu instid0(VALU_DEP_4) | instskip(NEXT) | instid1(VALU_DEP_4)
	v_sub_f32_e32 v27, v27, v46
	v_fma_f32 v46, v35, v35, -v47
	s_delay_alu instid0(VALU_DEP_3) | instskip(SKIP_1) | instid1(VALU_DEP_2)
	v_dual_sub_f32 v39, v42, v55 :: v_dual_fmac_f32 v56, 0xb102e308, v26
	v_sub_f32_e32 v57, v52, v33
	v_add_f32_e32 v64, v40, v56
	s_delay_alu instid0(VALU_DEP_2) | instskip(NEXT) | instid1(VALU_DEP_1)
	v_sub_f32_e32 v42, v52, v57
	v_dual_sub_f32 v33, v42, v33 :: v_dual_mul_f32 v42, 0x3f317218, v30
	s_delay_alu instid0(VALU_DEP_1) | instskip(NEXT) | instid1(VALU_DEP_2)
	v_add_f32_e32 v31, v41, v33
	v_fma_f32 v58, 0x3f317218, v30, -v42
	v_mul_f32_e32 v41, 0x3f317218, v28
	s_delay_alu instid0(VALU_DEP_2) | instskip(SKIP_1) | instid1(VALU_DEP_2)
	v_dual_add_f32 v33, v45, v25 :: v_dual_fmac_f32 v58, 0xb102e308, v30
	v_ldexp_f32 v30, v27, 1
	v_sub_f32_e32 v43, v33, v45
	v_mul_f32_e32 v44, v33, v33
	v_ldexp_f32 v45, v33, 1
	v_dual_add_f32 v66, v42, v58 :: v_dual_add_f32 v31, v57, v31
	v_fma_f32 v57, 0x3f317218, v28, -v41
	v_sub_f32_e32 v25, v25, v43
	v_fma_f32 v43, v33, v33, -v44
	s_delay_alu instid0(VALU_DEP_3) | instskip(SKIP_1) | instid1(VALU_DEP_4)
	v_dual_fmac_f32 v57, 0xb102e308, v28 :: v_dual_add_f32 v28, v27, v27
	v_sub_f32_e32 v38, v53, v38
	v_ldexp_f32 v26, v25, 1
	s_delay_alu instid0(VALU_DEP_3) | instskip(SKIP_3) | instid1(VALU_DEP_3)
	v_fmac_f32_e32 v46, v35, v28
	v_sub_f32_e32 v32, v39, v32
	v_mul_f32_e32 v39, 0x3f317218, v24
	v_sub_f32_e32 v28, v64, v40
	v_add_f32_e32 v29, v38, v32
	v_cndmask_b32_e64 v32, 0, v2, s10
	s_delay_alu instid0(VALU_DEP_2) | instskip(SKIP_1) | instid1(VALU_DEP_1)
	v_add_f32_e32 v29, v55, v29
	v_fma_f32 v55, 0x3f317218, v24, -v39
	v_dual_fmac_f32 v55, 0xb102e308, v24 :: v_dual_add_f32 v24, v25, v25
	s_delay_alu instid0(VALU_DEP_1) | instskip(NEXT) | instid1(VALU_DEP_1)
	v_add_f32_e32 v63, v39, v55
	v_dual_fmac_f32 v43, v33, v24 :: v_dual_sub_f32 v24, v63, v39
	s_delay_alu instid0(VALU_DEP_1) | instskip(NEXT) | instid1(VALU_DEP_1)
	v_add_f32_e32 v40, v44, v43
	v_sub_f32_e32 v44, v40, v44
	v_mul_f32_e32 v68, v33, v40
	v_fmaak_f32 v67, s23, v40, 0x3e91f4c4
	s_delay_alu instid0(VALU_DEP_3) | instskip(NEXT) | instid1(VALU_DEP_3)
	v_sub_f32_e32 v43, v43, v44
	v_fma_f32 v44, v40, v33, -v68
	v_mul_f32_e32 v31, v50, v31
	s_delay_alu instid0(VALU_DEP_4) | instskip(NEXT) | instid1(VALU_DEP_3)
	v_fmaak_f32 v67, v40, v67, 0x3ecccdef
	v_fmac_f32_e32 v44, v40, v25
	s_delay_alu instid0(VALU_DEP_3) | instskip(NEXT) | instid1(VALU_DEP_2)
	v_add_f32_e32 v38, v54, v31
	v_dual_mul_f32 v25, v40, v67 :: v_dual_fmac_f32 v44, v43, v33
	s_delay_alu instid0(VALU_DEP_2) | instskip(NEXT) | instid1(VALU_DEP_2)
	v_sub_f32_e32 v52, v38, v54
	v_fma_f32 v33, v40, v67, -v25
	v_ldexp_f32 v54, v38, 1
	s_delay_alu instid0(VALU_DEP_4) | instskip(NEXT) | instid1(VALU_DEP_4)
	v_dual_add_f32 v40, v68, v44 :: v_dual_mul_f32 v29, v49, v29
	v_sub_f32_e32 v31, v31, v52
	s_delay_alu instid0(VALU_DEP_4) | instskip(NEXT) | instid1(VALU_DEP_3)
	v_fmac_f32_e32 v33, v43, v67
	v_add_f32_e32 v37, v51, v29
	s_delay_alu instid0(VALU_DEP_3) | instskip(NEXT) | instid1(VALU_DEP_2)
	v_ldexp_f32 v62, v31, 1
	v_sub_f32_e32 v49, v37, v51
	v_mul_f32_e32 v50, v37, v37
	v_ldexp_f32 v51, v37, 1
	s_delay_alu instid0(VALU_DEP_3) | instskip(NEXT) | instid1(VALU_DEP_3)
	v_sub_f32_e32 v29, v29, v49
	v_fma_f32 v49, v37, v37, -v50
	s_delay_alu instid0(VALU_DEP_2) | instskip(SKIP_1) | instid1(VALU_DEP_2)
	v_add_f32_e32 v59, v29, v29
	v_ldexp_f32 v60, v29, 1
	v_fmac_f32_e32 v49, v37, v59
	s_delay_alu instid0(VALU_DEP_1) | instskip(NEXT) | instid1(VALU_DEP_1)
	v_add_f32_e32 v59, v50, v49
	v_dual_fmaak_f32 v71, s23, v59, 0x3e91f4c4 :: v_dual_sub_f32 v50, v59, v50
	v_mul_f32_e32 v72, v37, v59
	s_delay_alu instid0(VALU_DEP_2) | instskip(NEXT) | instid1(VALU_DEP_3)
	v_fmaak_f32 v71, v59, v71, 0x3ecccdef
	v_sub_f32_e32 v49, v49, v50
	s_delay_alu instid0(VALU_DEP_3) | instskip(NEXT) | instid1(VALU_DEP_1)
	v_fma_f32 v50, v59, v37, -v72
	v_fmac_f32_e32 v50, v59, v29
	s_delay_alu instid0(VALU_DEP_1) | instskip(NEXT) | instid1(VALU_DEP_1)
	v_dual_mul_f32 v29, v59, v71 :: v_dual_fmac_f32 v50, v49, v37
	v_fma_f32 v37, v59, v71, -v29
	v_ldexp_f32 v48, v35, 1
	v_add_f32_e32 v61, v31, v31
	s_delay_alu instid0(VALU_DEP_3) | instskip(SKIP_1) | instid1(VALU_DEP_2)
	v_fmac_f32_e32 v37, v49, v71
	v_mul_f32_e32 v53, v38, v38
	v_dual_sub_f32 v49, v40, v68 :: v_dual_add_f32 v68, v29, v37
	s_delay_alu instid0(VALU_DEP_2) | instskip(NEXT) | instid1(VALU_DEP_2)
	v_fma_f32 v52, v38, v38, -v53
	v_sub_f32_e32 v44, v44, v49
	s_delay_alu instid0(VALU_DEP_3) | instskip(NEXT) | instid1(VALU_DEP_3)
	v_sub_f32_e32 v29, v68, v29
	v_fmac_f32_e32 v52, v38, v61
	s_delay_alu instid0(VALU_DEP_2) | instskip(NEXT) | instid1(VALU_DEP_2)
	v_sub_f32_e32 v29, v37, v29
	v_add_f32_e32 v61, v53, v52
	s_delay_alu instid0(VALU_DEP_2) | instskip(NEXT) | instid1(VALU_DEP_2)
	v_add_f32_e32 v29, 0x31739010, v29
	v_fmaak_f32 v73, s23, v61, 0x3e91f4c4
	v_sub_f32_e32 v53, v61, v53
	v_mul_f32_e32 v74, v38, v61
	s_delay_alu instid0(VALU_DEP_3) | instskip(NEXT) | instid1(VALU_DEP_3)
	v_fmaak_f32 v73, v61, v73, 0x3ecccdef
	v_sub_f32_e32 v52, v52, v53
	s_delay_alu instid0(VALU_DEP_3) | instskip(NEXT) | instid1(VALU_DEP_1)
	v_fma_f32 v53, v61, v38, -v74
	v_fmac_f32_e32 v53, v61, v31
	s_delay_alu instid0(VALU_DEP_4) | instskip(NEXT) | instid1(VALU_DEP_2)
	v_mul_f32_e32 v31, v61, v73
	v_fmac_f32_e32 v53, v52, v38
	s_delay_alu instid0(VALU_DEP_2) | instskip(NEXT) | instid1(VALU_DEP_1)
	v_fma_f32 v38, v61, v73, -v31
	v_fmac_f32_e32 v38, v52, v73
	v_add_f32_e32 v65, v41, v57
	v_add_f32_e32 v52, v25, v33
	s_delay_alu instid0(VALU_DEP_2) | instskip(SKIP_1) | instid1(VALU_DEP_3)
	v_sub_f32_e32 v39, v65, v41
	v_sub_f32_e32 v41, v66, v42
	v_dual_add_f32 v42, v47, v46 :: v_dual_add_f32 v49, 0x3f2aaaaa, v52
	v_sub_f32_e32 v25, v52, v25
	s_delay_alu instid0(VALU_DEP_2) | instskip(SKIP_1) | instid1(VALU_DEP_3)
	v_fmaak_f32 v69, s23, v42, 0x3e91f4c4
	v_dual_sub_f32 v47, v42, v47 :: v_dual_mul_f32 v70, v35, v42
	v_sub_f32_e32 v25, v33, v25
	v_add_f32_e32 v33, 0xbf2aaaaa, v49
	s_delay_alu instid0(VALU_DEP_4) | instskip(NEXT) | instid1(VALU_DEP_4)
	v_fmaak_f32 v69, v42, v69, 0x3ecccdef
	v_sub_f32_e32 v46, v46, v47
	v_fma_f32 v47, v42, v35, -v70
	v_add_f32_e32 v25, 0x31739010, v25
	v_sub_f32_e32 v33, v52, v33
	s_delay_alu instid0(VALU_DEP_3) | instskip(SKIP_1) | instid1(VALU_DEP_3)
	v_fmac_f32_e32 v47, v42, v27
	v_mul_f32_e32 v27, v42, v69
	v_add_f32_e32 v25, v25, v33
	s_delay_alu instid0(VALU_DEP_3) | instskip(NEXT) | instid1(VALU_DEP_3)
	v_fmac_f32_e32 v47, v46, v35
	v_fma_f32 v35, v42, v69, -v27
	s_delay_alu instid0(VALU_DEP_2) | instskip(NEXT) | instid1(VALU_DEP_2)
	v_add_f32_e32 v42, v70, v47
	v_fmac_f32_e32 v35, v46, v69
	v_add_f32_e32 v46, v74, v53
	s_delay_alu instid0(VALU_DEP_3) | instskip(NEXT) | instid1(VALU_DEP_3)
	v_sub_f32_e32 v59, v42, v70
	v_add_f32_e32 v61, v27, v35
	v_add_f32_e32 v70, v31, v38
	s_delay_alu instid0(VALU_DEP_4) | instskip(NEXT) | instid1(VALU_DEP_4)
	v_sub_f32_e32 v69, v46, v74
	v_sub_f32_e32 v33, v47, v59
	s_delay_alu instid0(VALU_DEP_4) | instskip(SKIP_3) | instid1(VALU_DEP_3)
	v_add_f32_e32 v71, 0x3f2aaaaa, v61
	v_sub_f32_e32 v27, v61, v27
	v_add_f32_e32 v73, 0x3f2aaaaa, v70
	v_sub_f32_e32 v31, v70, v31
	v_sub_f32_e32 v27, v35, v27
	v_add_f32_e32 v35, 0xbf2aaaaa, v71
	s_delay_alu instid0(VALU_DEP_3) | instskip(NEXT) | instid1(VALU_DEP_3)
	v_dual_sub_f32 v31, v38, v31 :: v_dual_add_f32 v38, 0xbf2aaaaa, v73
	v_add_f32_e32 v27, 0x31739010, v27
	s_delay_alu instid0(VALU_DEP_3) | instskip(NEXT) | instid1(VALU_DEP_3)
	v_sub_f32_e32 v35, v61, v35
	v_dual_add_f32 v31, 0x31739010, v31 :: v_dual_sub_f32 v38, v70, v38
	s_delay_alu instid0(VALU_DEP_2) | instskip(SKIP_1) | instid1(VALU_DEP_3)
	v_add_f32_e32 v27, v27, v35
	v_add_f32_e32 v35, v49, v25
	;; [unrolled: 1-line block ×3, first 2 shown]
	s_delay_alu instid0(VALU_DEP_3) | instskip(NEXT) | instid1(VALU_DEP_3)
	v_add_f32_e32 v38, v71, v27
	v_sub_f32_e32 v49, v49, v35
	s_delay_alu instid0(VALU_DEP_2) | instskip(SKIP_1) | instid1(VALU_DEP_3)
	v_dual_mul_f32 v52, v40, v35 :: v_dual_sub_f32 v59, v71, v38
	v_mul_f32_e32 v61, v42, v38
	v_add_f32_e32 v25, v25, v49
	s_delay_alu instid0(VALU_DEP_3) | instskip(NEXT) | instid1(VALU_DEP_4)
	v_fma_f32 v49, v40, v35, -v52
	v_add_f32_e32 v27, v27, v59
	s_delay_alu instid0(VALU_DEP_4) | instskip(NEXT) | instid1(VALU_DEP_3)
	v_fma_f32 v59, v42, v38, -v61
	v_fmac_f32_e32 v49, v40, v25
	v_sub_f32_e32 v25, v53, v69
	s_delay_alu instid0(VALU_DEP_3) | instskip(SKIP_3) | instid1(VALU_DEP_4)
	v_fmac_f32_e32 v59, v42, v27
	v_sub_f32_e32 v27, v56, v28
	v_add_f32_e32 v43, v72, v50
	v_fmac_f32_e32 v49, v44, v35
	v_fmac_f32_e32 v59, v33, v38
	s_delay_alu instid0(VALU_DEP_3) | instskip(SKIP_1) | instid1(VALU_DEP_1)
	v_sub_f32_e32 v67, v43, v72
	v_add_f32_e32 v72, 0x3f2aaaaa, v68
	v_dual_add_f32 v28, v61, v59 :: v_dual_add_f32 v37, 0xbf2aaaaa, v72
	s_delay_alu instid0(VALU_DEP_1) | instskip(NEXT) | instid1(VALU_DEP_2)
	v_add_f32_e32 v38, v48, v28
	v_sub_f32_e32 v37, v68, v37
	s_delay_alu instid0(VALU_DEP_1) | instskip(SKIP_1) | instid1(VALU_DEP_2)
	v_add_f32_e32 v29, v29, v37
	v_sub_f32_e32 v37, v50, v67
	v_dual_add_f32 v50, v73, v31 :: v_dual_add_f32 v47, v72, v29
	s_delay_alu instid0(VALU_DEP_1) | instskip(SKIP_1) | instid1(VALU_DEP_3)
	v_sub_f32_e32 v70, v73, v50
	v_mul_f32_e32 v71, v46, v50
	v_sub_f32_e32 v67, v72, v47
	v_mul_f32_e32 v68, v43, v47
	s_delay_alu instid0(VALU_DEP_4) | instskip(NEXT) | instid1(VALU_DEP_4)
	v_add_f32_e32 v31, v31, v70
	v_fma_f32 v70, v46, v50, -v71
	s_delay_alu instid0(VALU_DEP_4) | instskip(NEXT) | instid1(VALU_DEP_4)
	v_add_f32_e32 v29, v29, v67
	v_fma_f32 v67, v43, v47, -v68
	s_delay_alu instid0(VALU_DEP_3) | instskip(SKIP_2) | instid1(VALU_DEP_3)
	v_fmac_f32_e32 v70, v46, v31
	v_sub_f32_e32 v46, v38, v48
	v_sub_f32_e32 v24, v55, v24
	v_dual_fmac_f32 v67, v43, v29 :: v_dual_fmac_f32 v70, v25, v50
	v_add_f32_e32 v25, v52, v49
	s_delay_alu instid0(VALU_DEP_2) | instskip(SKIP_1) | instid1(VALU_DEP_4)
	v_fmac_f32_e32 v67, v37, v47
	v_sub_f32_e32 v37, v28, v61
	v_add_f32_e32 v31, v71, v70
	s_delay_alu instid0(VALU_DEP_4)
	v_sub_f32_e32 v33, v25, v52
	v_add_f32_e32 v35, v45, v25
	v_add_f32_e32 v29, v68, v67
	v_sub_f32_e32 v37, v59, v37
	v_sub_f32_e32 v43, v31, v71
	v_dual_add_f32 v44, v54, v31 :: v_dual_sub_f32 v33, v49, v33
	s_delay_alu instid0(VALU_DEP_4) | instskip(SKIP_2) | instid1(VALU_DEP_4)
	v_sub_f32_e32 v40, v29, v68
	v_add_f32_e32 v42, v51, v29
	v_sub_f32_e32 v45, v35, v45
	v_dual_sub_f32 v43, v70, v43 :: v_dual_sub_f32 v48, v44, v54
	s_delay_alu instid0(VALU_DEP_3) | instskip(NEXT) | instid1(VALU_DEP_3)
	v_dual_sub_f32 v40, v67, v40 :: v_dual_sub_f32 v47, v42, v51
	v_sub_f32_e32 v25, v25, v45
	v_add_f32_e32 v26, v26, v33
	v_sub_f32_e32 v28, v28, v46
	s_delay_alu instid0(VALU_DEP_4) | instskip(SKIP_4) | instid1(VALU_DEP_4)
	v_dual_add_f32 v30, v30, v37 :: v_dual_sub_f32 v29, v29, v47
	v_add_f32_e32 v33, v60, v40
	v_sub_f32_e32 v31, v31, v48
	v_add_f32_e32 v37, v62, v43
	v_add_f32_e32 v25, v26, v25
	v_dual_add_f32 v28, v30, v28 :: v_dual_add_f32 v29, v33, v29
	v_sub_f32_e32 v26, v57, v39
	s_delay_alu instid0(VALU_DEP_3) | instskip(SKIP_1) | instid1(VALU_DEP_4)
	v_dual_add_f32 v30, v37, v31 :: v_dual_add_f32 v31, v35, v25
	v_sub_f32_e32 v33, v58, v41
	v_add_f32_e32 v37, v38, v28
	s_delay_alu instid0(VALU_DEP_3) | instskip(NEXT) | instid1(VALU_DEP_4)
	v_dual_add_f32 v39, v42, v29 :: v_dual_add_f32 v40, v44, v30
	v_sub_f32_e32 v35, v31, v35
	s_delay_alu instid0(VALU_DEP_3) | instskip(NEXT) | instid1(VALU_DEP_3)
	v_dual_add_f32 v41, v63, v31 :: v_dual_sub_f32 v38, v37, v38
	v_dual_add_f32 v43, v64, v37 :: v_dual_sub_f32 v42, v39, v42
	s_delay_alu instid0(VALU_DEP_4) | instskip(NEXT) | instid1(VALU_DEP_4)
	v_dual_add_f32 v45, v65, v39 :: v_dual_sub_f32 v44, v40, v44
	v_dual_add_f32 v46, v66, v40 :: v_dual_sub_f32 v25, v25, v35
	s_delay_alu instid0(VALU_DEP_4) | instskip(NEXT) | instid1(VALU_DEP_4)
	v_dual_sub_f32 v35, v41, v63 :: v_dual_sub_f32 v28, v28, v38
	v_dual_sub_f32 v38, v43, v64 :: v_dual_sub_f32 v29, v29, v42
	s_delay_alu instid0(VALU_DEP_4) | instskip(SKIP_1) | instid1(VALU_DEP_4)
	v_sub_f32_e32 v42, v45, v65
	v_sub_f32_e32 v30, v30, v44
	v_dual_sub_f32 v44, v46, v66 :: v_dual_sub_f32 v47, v41, v35
	v_sub_f32_e32 v31, v31, v35
	v_dual_add_f32 v35, v24, v25 :: v_dual_sub_f32 v48, v43, v38
	v_dual_sub_f32 v37, v37, v38 :: v_dual_add_f32 v38, v27, v28
	s_delay_alu instid0(VALU_DEP_4) | instskip(SKIP_1) | instid1(VALU_DEP_4)
	v_dual_sub_f32 v49, v45, v42 :: v_dual_sub_f32 v50, v46, v44
	v_sub_f32_e32 v47, v63, v47
	v_sub_f32_e32 v51, v35, v24
	v_dual_sub_f32 v39, v39, v42 :: v_dual_add_f32 v42, v26, v29
	v_sub_f32_e32 v40, v40, v44
	v_sub_f32_e32 v48, v64, v48
	v_dual_sub_f32 v52, v38, v27 :: v_dual_sub_f32 v49, v65, v49
	v_dual_sub_f32 v50, v66, v50 :: v_dual_add_f32 v31, v31, v47
	v_dual_sub_f32 v47, v35, v51 :: v_dual_add_f32 v44, v33, v30
	v_sub_f32_e32 v53, v42, v26
	v_sub_f32_e32 v25, v25, v51
	v_add_f32_e32 v37, v37, v48
	v_dual_sub_f32 v48, v38, v52 :: v_dual_add_f32 v39, v39, v49
	v_add_f32_e32 v40, v40, v50
	v_sub_f32_e32 v24, v24, v47
	v_dual_add_f32 v31, v35, v31 :: v_dual_sub_f32 v54, v44, v33
	v_dual_sub_f32 v28, v28, v52 :: v_dual_sub_f32 v49, v42, v53
	v_sub_f32_e32 v27, v27, v48
	v_add_f32_e32 v35, v38, v37
	v_dual_add_f32 v37, v42, v39 :: v_dual_add_f32 v38, v44, v40
	v_add_f32_e32 v24, v25, v24
	v_add_f32_e32 v25, v41, v31
	v_dual_sub_f32 v29, v29, v53 :: v_dual_sub_f32 v50, v44, v54
	v_dual_sub_f32 v26, v26, v49 :: v_dual_add_f32 v27, v28, v27
	v_dual_add_f32 v28, v43, v35 :: v_dual_add_f32 v39, v45, v37
	s_delay_alu instid0(VALU_DEP_4) | instskip(SKIP_2) | instid1(VALU_DEP_4)
	v_dual_add_f32 v40, v46, v38 :: v_dual_sub_f32 v41, v25, v41
	v_sub_f32_e32 v30, v30, v54
	v_sub_f32_e32 v33, v33, v50
	v_dual_add_f32 v26, v29, v26 :: v_dual_sub_f32 v29, v28, v43
	s_delay_alu instid0(VALU_DEP_4) | instskip(SKIP_1) | instid1(VALU_DEP_4)
	v_dual_sub_f32 v42, v39, v45 :: v_dual_sub_f32 v43, v40, v46
	v_sub_f32_e32 v31, v31, v41
	v_add_f32_e32 v30, v30, v33
	s_delay_alu instid0(VALU_DEP_4) | instskip(NEXT) | instid1(VALU_DEP_4)
	v_sub_f32_e32 v29, v35, v29
	v_sub_f32_e32 v33, v37, v42
	;; [unrolled: 1-line block ×3, first 2 shown]
	v_add_f32_e32 v24, v24, v31
	v_cndmask_b32_e64 v31, 0, v3, s8
	v_add_f32_e32 v27, v27, v29
	v_add_f32_e32 v26, v26, v33
	s_delay_alu instid0(VALU_DEP_4) | instskip(NEXT) | instid1(VALU_DEP_4)
	v_dual_add_f32 v29, v30, v35 :: v_dual_add_f32 v30, v25, v24
	v_bfi_b32 v19, 0x7fffffff, v19, v31
	s_delay_alu instid0(VALU_DEP_4) | instskip(NEXT) | instid1(VALU_DEP_3)
	v_add_f32_e32 v35, v28, v27
	v_dual_add_f32 v37, v39, v26 :: v_dual_add_f32 v38, v40, v29
	s_delay_alu instid0(VALU_DEP_4) | instskip(NEXT) | instid1(VALU_DEP_3)
	v_sub_f32_e32 v25, v30, v25
	v_dual_mul_f32 v41, v10, v30 :: v_dual_sub_f32 v28, v35, v28
	v_mul_f32_e32 v42, v11, v35
	s_delay_alu instid0(VALU_DEP_4)
	v_sub_f32_e32 v39, v37, v39
	v_mul_f32_e32 v43, v12, v37
	v_sub_f32_e32 v24, v24, v25
	v_fma_f32 v25, v10, v30, -v41
	v_sub_f32_e32 v40, v38, v40
	v_dual_mul_f32 v44, v13, v38 :: v_dual_sub_f32 v27, v27, v28
	v_fma_f32 v28, v11, v35, -v42
	v_sub_f32_e32 v26, v26, v39
	v_fma_f32 v30, v12, v37, -v43
	v_fmac_f32_e32 v25, v10, v24
	v_sub_f32_e32 v29, v29, v40
	v_fma_f32 v35, v13, v38, -v44
	v_cndmask_b32_e64 v24, 0, v5, s7
	v_fmac_f32_e32 v28, v11, v27
	v_fmac_f32_e32 v30, v12, v26
	v_add_f32_e32 v26, v41, v25
	v_cmp_class_f32_e64 s7, v41, 0x204
	v_fmac_f32_e32 v35, v13, v29
	v_add_f32_e32 v29, v42, v28
	v_bfi_b32 v27, 0x7fffffff, v36, v32
	v_sub_f32_e32 v37, v26, v41
	s_wait_alu 0xf1ff
	v_cndmask_b32_e64 v26, v26, v41, s7
	v_cmp_class_f32_e64 s7, v42, 0x204
	v_add_f32_e32 v32, v43, v30
	v_sub_f32_e32 v38, v29, v42
	v_dual_add_f32 v36, v44, v35 :: v_dual_sub_f32 v25, v25, v37
	s_wait_alu 0xf1ff
	v_cndmask_b32_e64 v29, v29, v42, s7
	v_cmp_class_f32_e64 s7, v43, 0x204
	v_sub_f32_e32 v39, v32, v43
	v_sub_f32_e32 v40, v36, v44
	;; [unrolled: 1-line block ×3, first 2 shown]
	v_bfi_b32 v18, 0x7fffffff, v18, v24
	s_wait_alu 0xf1ff
	v_cndmask_b32_e64 v32, v32, v43, s7
	v_cmp_class_f32_e64 s7, v44, 0x204
	v_dual_sub_f32 v30, v30, v39 :: v_dual_sub_f32 v35, v35, v40
	v_cndmask_b32_e64 v33, 0, v4, s9
	s_wait_alu 0xf1ff
	s_delay_alu instid0(VALU_DEP_3) | instskip(SKIP_1) | instid1(VALU_DEP_3)
	v_cndmask_b32_e64 v36, v36, v44, s7
	v_cmp_eq_f32_e64 s7, 0x42b17218, v26
	v_bfi_b32 v17, 0x7fffffff, v17, v33
	s_wait_alu 0xf1ff
	s_delay_alu instid0(VALU_DEP_2) | instskip(SKIP_2) | instid1(VALU_DEP_1)
	v_cndmask_b32_e64 v37, 0, 0x37000000, s7
	v_cmp_eq_f32_e64 s7, 0x42b17218, v29
	s_wait_alu 0xf1ff
	v_cndmask_b32_e64 v38, 0, 0x37000000, s7
	v_cmp_eq_f32_e64 s7, 0x42b17218, v32
	s_wait_alu 0xf1ff
	s_delay_alu instid0(VALU_DEP_1) | instskip(SKIP_2) | instid1(VALU_DEP_1)
	v_cndmask_b32_e64 v39, 0, 0x37000000, s7
	v_cmp_eq_f32_e64 s7, 0x42b17218, v36
	s_wait_alu 0xf1ff
	v_cndmask_b32_e64 v40, 0, 0x37000000, s7
	v_cmp_neq_f32_e64 s7, 0x7f800000, |v26|
	s_delay_alu instid0(VALU_DEP_2) | instskip(SKIP_1) | instid1(VALU_DEP_2)
	v_dual_sub_f32 v26, v26, v37 :: v_dual_sub_f32 v41, v36, v40
	s_wait_alu 0xf1ff
	v_cndmask_b32_e64 v25, 0, v25, s7
	v_cmp_neq_f32_e64 s7, 0x7f800000, |v29|
	v_sub_f32_e32 v29, v29, v38
	v_mul_f32_e32 v42, 0x3fb8aa3b, v26
	v_mul_f32_e32 v44, 0x3fb8aa3b, v41
	v_add_f32_e32 v25, v37, v25
	s_wait_alu 0xf1ff
	v_cndmask_b32_e64 v28, 0, v28, s7
	v_cmp_neq_f32_e64 s7, 0x7f800000, |v32|
	v_sub_f32_e32 v32, v32, v39
	v_fma_f32 v45, 0x3fb8aa3b, v26, -v42
	v_rndne_f32_e32 v46, v42
	v_fma_f32 v51, 0x3fb8aa3b, v41, -v44
	s_wait_alu 0xf1ff
	v_cndmask_b32_e64 v30, 0, v30, s7
	v_cmp_neq_f32_e64 s7, 0x7f800000, |v36|
	v_dual_mul_f32 v36, 0x3fb8aa3b, v29 :: v_dual_mul_f32 v43, 0x3fb8aa3b, v32
	v_fmac_f32_e32 v45, 0x32a5705f, v26
	v_sub_f32_e32 v42, v42, v46
	v_rndne_f32_e32 v52, v44
	s_delay_alu instid0(VALU_DEP_4) | instskip(SKIP_4) | instid1(VALU_DEP_4)
	v_fma_f32 v47, 0x3fb8aa3b, v29, -v36
	v_rndne_f32_e32 v48, v36
	v_fma_f32 v49, 0x3fb8aa3b, v32, -v43
	v_rndne_f32_e32 v50, v43
	v_add_f32_e32 v37, v42, v45
	v_dual_fmac_f32 v47, 0x32a5705f, v29 :: v_dual_sub_f32 v36, v36, v48
	s_delay_alu instid0(VALU_DEP_4) | instskip(NEXT) | instid1(VALU_DEP_4)
	v_fmac_f32_e32 v49, 0x32a5705f, v32
	v_sub_f32_e32 v43, v43, v50
	v_dual_fmac_f32 v51, 0x32a5705f, v41 :: v_dual_sub_f32 v44, v44, v52
	s_delay_alu instid0(VALU_DEP_4) | instskip(SKIP_1) | instid1(VALU_DEP_3)
	v_add_f32_e32 v36, v36, v47
	v_exp_f32_e32 v37, v37
	v_add_f32_e32 v42, v43, v49
	s_delay_alu instid0(VALU_DEP_3) | instskip(NEXT) | instid1(VALU_DEP_3)
	v_dual_add_f32 v30, v39, v30 :: v_dual_add_f32 v43, v44, v51
	v_exp_f32_e32 v36, v36
	v_cvt_i32_f32_e32 v39, v46
	s_wait_alu 0xf1ff
	v_cndmask_b32_e64 v35, 0, v35, s7
	v_add_f32_e32 v28, v38, v28
	v_exp_f32_e32 v38, v42
	v_exp_f32_e32 v42, v43
	v_cvt_i32_f32_e32 v43, v48
	v_ldexp_f32 v37, v37, v39
	v_cmp_ngt_f32_e64 s7, 0xc2ce8ed0, v26
	v_cvt_i32_f32_e32 v44, v50
	v_cvt_i32_f32_e32 v45, v52
	v_ldexp_f32 v36, v36, v43
	v_add_f32_e32 v35, v40, v35
	s_wait_alu 0xf1ff
	v_cndmask_b32_e64 v37, 0, v37, s7
	v_cmp_ngt_f32_e64 s7, 0xc2ce8ed0, v29
	v_ldexp_f32 v38, v38, v44
	v_ldexp_f32 v39, v42, v45
	s_wait_alu 0xf1ff
	s_delay_alu instid0(VALU_DEP_3) | instskip(SKIP_2) | instid1(VALU_DEP_1)
	v_cndmask_b32_e64 v36, 0, v36, s7
	v_cmp_ngt_f32_e64 s7, 0xc2ce8ed0, v32
	s_wait_alu 0xf1ff
	v_cndmask_b32_e64 v38, 0, v38, s7
	v_cmp_ngt_f32_e64 s7, 0xc2ce8ed0, v41
	s_wait_alu 0xf1ff
	s_delay_alu instid0(VALU_DEP_1) | instskip(SKIP_2) | instid1(VALU_DEP_1)
	v_cndmask_b32_e64 v39, 0, v39, s7
	v_cmp_nlt_f32_e64 s7, 0x42b17218, v26
	s_wait_alu 0xf1ff
	v_cndmask_b32_e64 v26, 0x7f800000, v37, s7
	v_cmp_nlt_f32_e64 s7, 0x42b17218, v29
	s_delay_alu instid0(VALU_DEP_2) | instskip(SKIP_1) | instid1(VALU_DEP_2)
	v_fma_f32 v25, v26, v25, v26
	s_wait_alu 0xf1ff
	v_cndmask_b32_e64 v29, 0x7f800000, v36, s7
	v_cmp_nlt_f32_e64 s7, 0x42b17218, v32
	s_delay_alu instid0(VALU_DEP_2) | instskip(SKIP_1) | instid1(VALU_DEP_2)
	v_fma_f32 v28, v29, v28, v29
	;; [unrolled: 5-line block ×3, first 2 shown]
	s_wait_alu 0xf1ff
	v_cndmask_b32_e64 v36, 0x7f800000, v39, s7
	v_cmp_class_f32_e64 s7, v26, 0x204
	s_delay_alu instid0(VALU_DEP_2) | instskip(SKIP_1) | instid1(VALU_DEP_2)
	v_fma_f32 v31, v36, v35, v36
	s_wait_alu 0xf1ff
	v_cndmask_b32_e64 v25, v25, v26, s7
	v_cmp_class_f32_e64 s7, v29, 0x204
	s_delay_alu instid0(VALU_DEP_2) | instskip(SKIP_1) | instid1(VALU_DEP_2)
	v_bfi_b32 v20, 0x7fffffff, v25, v20
	s_wait_alu 0xf1ff
	v_cndmask_b32_e64 v26, v28, v29, s7
	v_cmp_class_f32_e64 s7, v32, 0x204
	s_delay_alu instid0(VALU_DEP_3) | instskip(NEXT) | instid1(VALU_DEP_3)
	v_cndmask_b32_e64 v24, 0x7fc00000, v20, s3
	v_bfi_b32 v21, 0x7fffffff, v26, v21
	s_wait_alu 0xf1ff
	s_delay_alu instid0(VALU_DEP_3) | instskip(SKIP_3) | instid1(VALU_DEP_4)
	v_cndmask_b32_e64 v28, v30, v32, s7
	v_cmp_class_f32_e64 s7, v36, 0x204
	v_cmp_gt_f32_e64 s3, 0, v2
	v_cndmask_b32_e64 v25, 0x7fc00000, v21, s4
	v_bfi_b32 v22, 0x7fffffff, v28, v22
	s_wait_alu 0xf1ff
	v_cndmask_b32_e64 v29, v31, v36, s7
	v_cndmask_b32_e64 v20, v20, v24, s3
	v_cmp_gt_f32_e64 s3, 0, v3
	v_cndmask_b32_e64 v26, 0x7fc00000, v22, s5
	s_delay_alu instid0(VALU_DEP_4) | instskip(SKIP_1) | instid1(VALU_DEP_3)
	v_bfi_b32 v23, 0x7fffffff, v29, v23
	s_wait_alu 0xf1ff
	v_cndmask_b32_e64 v21, v21, v25, s3
	v_cmp_gt_f32_e64 s3, 0, v4
	s_delay_alu instid0(VALU_DEP_3) | instskip(SKIP_1) | instid1(VALU_DEP_2)
	v_cndmask_b32_e64 v28, 0x7fc00000, v23, s6
	s_wait_alu 0xf1ff
	v_cndmask_b32_e64 v22, v22, v26, s3
	v_cmp_gt_f32_e64 s3, 0, v5
	s_wait_alu 0xf1ff
	s_delay_alu instid0(VALU_DEP_1) | instskip(SKIP_2) | instid1(VALU_DEP_1)
	v_cndmask_b32_e64 v23, v23, v28, s3
	v_cmp_class_f32_e64 s3, v10, 0x204
	s_wait_alu 0xf1ff
	v_cndmask_b32_e64 v14, v20, v14, s3
	v_cmp_class_f32_e64 s3, v11, 0x204
	s_delay_alu instid0(VALU_DEP_2) | instskip(SKIP_1) | instid1(VALU_DEP_2)
	v_cndmask_b32_e32 v14, v14, v27, vcc_lo
	s_wait_alu 0xf1ff
	v_cndmask_b32_e64 v15, v21, v15, s3
	v_cmp_class_f32_e64 s3, v12, 0x204
	s_or_b32 vcc_lo, s0, s26
	s_wait_alu 0xfffe
	v_cndmask_b32_e32 v15, v15, v19, vcc_lo
	v_cndmask_b32_e64 v16, v22, v16, s3
	v_cmp_class_f32_e64 s3, v13, 0x204
	s_or_b32 vcc_lo, s1, s27
	s_wait_alu 0xfffe
	v_cndmask_b32_e32 v16, v16, v17, vcc_lo
	v_cndmask_b32_e64 v20, v23, v34, s3
	s_or_b32 vcc_lo, s2, s28
	s_wait_alu 0xfffe
	s_delay_alu instid0(VALU_DEP_1)
	v_cndmask_b32_e32 v17, v20, v18, vcc_lo
	v_cmp_o_f32_e32 vcc_lo, v2, v10
	s_wait_alu 0xfffd
	v_cndmask_b32_e32 v2, 0x7fc00000, v14, vcc_lo
	v_cmp_o_f32_e32 vcc_lo, v3, v11
	s_wait_alu 0xfffd
	;; [unrolled: 3-line block ×4, first 2 shown]
	v_cndmask_b32_e32 v5, 0x7fc00000, v17, vcc_lo
	v_cmp_le_i64_e32 vcc_lo, s[18:19], v[8:9]
	global_store_b128 v[6:7], v[2:5], off offset:-8
	v_add_co_u32 v6, s0, v6, s22
	s_wait_alu 0xf1ff
	v_add_co_ci_u32_e64 v7, null, 0, v7, s0
	s_or_b32 s20, vcc_lo, s20
	s_wait_alu 0xfffe
	s_and_not1_b32 exec_lo, exec_lo, s20
	s_cbranch_execnz .LBB54_24
.LBB54_25:
	s_endpgm
	.section	.rodata,"a",@progbits
	.p2align	6, 0x0
	.amdhsa_kernel _ZN2at6native12_GLOBAL__N_125multi_tensor_apply_kernelINS1_18TensorListMetadataILi1EEENS1_21BinaryOpScalarFunctorIfLi1ELi1ELi0EEEJNS1_13power_functorIfEEfEEEvT_T0_DpT1_
		.amdhsa_group_segment_fixed_size 0
		.amdhsa_private_segment_fixed_size 0
		.amdhsa_kernarg_size 3632
		.amdhsa_user_sgpr_count 2
		.amdhsa_user_sgpr_dispatch_ptr 0
		.amdhsa_user_sgpr_queue_ptr 0
		.amdhsa_user_sgpr_kernarg_segment_ptr 1
		.amdhsa_user_sgpr_dispatch_id 0
		.amdhsa_user_sgpr_private_segment_size 0
		.amdhsa_wavefront_size32 1
		.amdhsa_uses_dynamic_stack 0
		.amdhsa_enable_private_segment 0
		.amdhsa_system_sgpr_workgroup_id_x 1
		.amdhsa_system_sgpr_workgroup_id_y 0
		.amdhsa_system_sgpr_workgroup_id_z 0
		.amdhsa_system_sgpr_workgroup_info 0
		.amdhsa_system_vgpr_workitem_id 0
		.amdhsa_next_free_vgpr 75
		.amdhsa_next_free_sgpr 32
		.amdhsa_reserve_vcc 1
		.amdhsa_float_round_mode_32 0
		.amdhsa_float_round_mode_16_64 0
		.amdhsa_float_denorm_mode_32 3
		.amdhsa_float_denorm_mode_16_64 3
		.amdhsa_fp16_overflow 0
		.amdhsa_workgroup_processor_mode 1
		.amdhsa_memory_ordered 1
		.amdhsa_forward_progress 1
		.amdhsa_inst_pref_size 85
		.amdhsa_round_robin_scheduling 0
		.amdhsa_exception_fp_ieee_invalid_op 0
		.amdhsa_exception_fp_denorm_src 0
		.amdhsa_exception_fp_ieee_div_zero 0
		.amdhsa_exception_fp_ieee_overflow 0
		.amdhsa_exception_fp_ieee_underflow 0
		.amdhsa_exception_fp_ieee_inexact 0
		.amdhsa_exception_int_div_zero 0
	.end_amdhsa_kernel
	.section	.text._ZN2at6native12_GLOBAL__N_125multi_tensor_apply_kernelINS1_18TensorListMetadataILi1EEENS1_21BinaryOpScalarFunctorIfLi1ELi1ELi0EEEJNS1_13power_functorIfEEfEEEvT_T0_DpT1_,"axG",@progbits,_ZN2at6native12_GLOBAL__N_125multi_tensor_apply_kernelINS1_18TensorListMetadataILi1EEENS1_21BinaryOpScalarFunctorIfLi1ELi1ELi0EEEJNS1_13power_functorIfEEfEEEvT_T0_DpT1_,comdat
.Lfunc_end54:
	.size	_ZN2at6native12_GLOBAL__N_125multi_tensor_apply_kernelINS1_18TensorListMetadataILi1EEENS1_21BinaryOpScalarFunctorIfLi1ELi1ELi0EEEJNS1_13power_functorIfEEfEEEvT_T0_DpT1_, .Lfunc_end54-_ZN2at6native12_GLOBAL__N_125multi_tensor_apply_kernelINS1_18TensorListMetadataILi1EEENS1_21BinaryOpScalarFunctorIfLi1ELi1ELi0EEEJNS1_13power_functorIfEEfEEEvT_T0_DpT1_
                                        ; -- End function
	.set _ZN2at6native12_GLOBAL__N_125multi_tensor_apply_kernelINS1_18TensorListMetadataILi1EEENS1_21BinaryOpScalarFunctorIfLi1ELi1ELi0EEEJNS1_13power_functorIfEEfEEEvT_T0_DpT1_.num_vgpr, 75
	.set _ZN2at6native12_GLOBAL__N_125multi_tensor_apply_kernelINS1_18TensorListMetadataILi1EEENS1_21BinaryOpScalarFunctorIfLi1ELi1ELi0EEEJNS1_13power_functorIfEEfEEEvT_T0_DpT1_.num_agpr, 0
	.set _ZN2at6native12_GLOBAL__N_125multi_tensor_apply_kernelINS1_18TensorListMetadataILi1EEENS1_21BinaryOpScalarFunctorIfLi1ELi1ELi0EEEJNS1_13power_functorIfEEfEEEvT_T0_DpT1_.numbered_sgpr, 32
	.set _ZN2at6native12_GLOBAL__N_125multi_tensor_apply_kernelINS1_18TensorListMetadataILi1EEENS1_21BinaryOpScalarFunctorIfLi1ELi1ELi0EEEJNS1_13power_functorIfEEfEEEvT_T0_DpT1_.num_named_barrier, 0
	.set _ZN2at6native12_GLOBAL__N_125multi_tensor_apply_kernelINS1_18TensorListMetadataILi1EEENS1_21BinaryOpScalarFunctorIfLi1ELi1ELi0EEEJNS1_13power_functorIfEEfEEEvT_T0_DpT1_.private_seg_size, 0
	.set _ZN2at6native12_GLOBAL__N_125multi_tensor_apply_kernelINS1_18TensorListMetadataILi1EEENS1_21BinaryOpScalarFunctorIfLi1ELi1ELi0EEEJNS1_13power_functorIfEEfEEEvT_T0_DpT1_.uses_vcc, 1
	.set _ZN2at6native12_GLOBAL__N_125multi_tensor_apply_kernelINS1_18TensorListMetadataILi1EEENS1_21BinaryOpScalarFunctorIfLi1ELi1ELi0EEEJNS1_13power_functorIfEEfEEEvT_T0_DpT1_.uses_flat_scratch, 0
	.set _ZN2at6native12_GLOBAL__N_125multi_tensor_apply_kernelINS1_18TensorListMetadataILi1EEENS1_21BinaryOpScalarFunctorIfLi1ELi1ELi0EEEJNS1_13power_functorIfEEfEEEvT_T0_DpT1_.has_dyn_sized_stack, 0
	.set _ZN2at6native12_GLOBAL__N_125multi_tensor_apply_kernelINS1_18TensorListMetadataILi1EEENS1_21BinaryOpScalarFunctorIfLi1ELi1ELi0EEEJNS1_13power_functorIfEEfEEEvT_T0_DpT1_.has_recursion, 0
	.set _ZN2at6native12_GLOBAL__N_125multi_tensor_apply_kernelINS1_18TensorListMetadataILi1EEENS1_21BinaryOpScalarFunctorIfLi1ELi1ELi0EEEJNS1_13power_functorIfEEfEEEvT_T0_DpT1_.has_indirect_call, 0
	.section	.AMDGPU.csdata,"",@progbits
; Kernel info:
; codeLenInByte = 10784
; TotalNumSgprs: 34
; NumVgprs: 75
; ScratchSize: 0
; MemoryBound: 0
; FloatMode: 240
; IeeeMode: 1
; LDSByteSize: 0 bytes/workgroup (compile time only)
; SGPRBlocks: 0
; VGPRBlocks: 9
; NumSGPRsForWavesPerEU: 34
; NumVGPRsForWavesPerEU: 75
; Occupancy: 16
; WaveLimiterHint : 0
; COMPUTE_PGM_RSRC2:SCRATCH_EN: 0
; COMPUTE_PGM_RSRC2:USER_SGPR: 2
; COMPUTE_PGM_RSRC2:TRAP_HANDLER: 0
; COMPUTE_PGM_RSRC2:TGID_X_EN: 1
; COMPUTE_PGM_RSRC2:TGID_Y_EN: 0
; COMPUTE_PGM_RSRC2:TGID_Z_EN: 0
; COMPUTE_PGM_RSRC2:TIDIG_COMP_CNT: 0
	.text
	.p2align	2                               ; -- Begin function _ZN2at6native12_GLOBAL__N_14pow_IdEEN3c107complexIT_EES6_S6_
	.type	_ZN2at6native12_GLOBAL__N_14pow_IdEEN3c107complexIT_EES6_S6_,@function
_ZN2at6native12_GLOBAL__N_14pow_IdEEN3c107complexIT_EES6_S6_: ; @_ZN2at6native12_GLOBAL__N_14pow_IdEEN3c107complexIT_EES6_S6_
; %bb.0:
                                        ; implicit-def: $vgpr12_vgpr13
                                        ; implicit-def: $vgpr14_vgpr15
	s_wait_loadcnt_dscnt 0x0
	s_wait_expcnt 0x0
	s_wait_samplecnt 0x0
	s_wait_bvhcnt 0x0
	s_wait_kmcnt 0x0
	s_mov_b32 s0, exec_lo
	v_cmpx_o_f64_e32 v[0:1], v[2:3]
	s_wait_alu 0xfffe
	s_xor_b32 s11, exec_lo, s0
	s_cbranch_execz .LBB55_28
; %bb.1:
	v_cmp_lt_f64_e64 s0, |v[0:1]|, |v[2:3]|
	v_and_b32_e32 v8, 0x7fffffff, v1
	v_dual_mov_b32 v16, v2 :: v_dual_and_b32 v9, 0x7fffffff, v3
	s_mov_b32 s2, 0x85ebc8a0
	s_mov_b32 s3, 0x7fd1ccf3
                                        ; implicit-def: $vgpr12_vgpr13
                                        ; implicit-def: $vgpr14_vgpr15
	s_mov_b32 s1, exec_lo
	s_wait_alu 0xf1ff
	v_cndmask_b32_e64 v11, v9, v8, s0
	v_cndmask_b32_e64 v10, v2, v0, s0
	s_wait_alu 0xfffe
	s_delay_alu instid0(VALU_DEP_1)
	v_cmpx_nlt_f64_e32 s[2:3], v[10:11]
	s_xor_b32 s12, exec_lo, s1
	s_cbranch_execz .LBB55_25
; %bb.2:
	v_cndmask_b32_e64 v17, v8, v9, s0
	v_cndmask_b32_e64 v16, v0, v16, s0
                                        ; implicit-def: $vgpr12_vgpr13
                                        ; implicit-def: $vgpr14_vgpr15
	s_mov_b32 s1, exec_lo
	s_delay_alu instid0(VALU_DEP_1)
	v_cmpx_neq_f64_e32 1.0, v[16:17]
	s_wait_alu 0xfffe
	s_xor_b32 s13, exec_lo, s1
	s_cbranch_execz .LBB55_18
; %bb.3:
	v_max_num_f64_e32 v[8:9], v[10:11], v[10:11]
	v_max_num_f64_e32 v[12:13], v[16:17], v[16:17]
	s_mov_b32 s2, 0x4ad4b81f
	s_mov_b32 s4, 0xc57e649a
	;; [unrolled: 1-line block ×4, first 2 shown]
	s_delay_alu instid0(VALU_DEP_1) | instskip(SKIP_2) | instid1(VALU_DEP_2)
	v_min_num_f64_e32 v[14:15], v[12:13], v[8:9]
	v_max_num_f64_e32 v[8:9], v[12:13], v[8:9]
                                        ; implicit-def: $vgpr12_vgpr13
	s_wait_alu 0xfffe
	v_cmp_ngt_f64_e32 vcc_lo, s[2:3], v[14:15]
	s_delay_alu instid0(VALU_DEP_2)
	v_cmp_nlt_f64_e64 s1, s[4:5], v[8:9]
                                        ; implicit-def: $vgpr14_vgpr15
	s_and_b32 s1, s1, vcc_lo
	s_wait_alu 0xfffe
	s_and_saveexec_b32 s2, s1
	s_wait_alu 0xfffe
	s_xor_b32 s14, exec_lo, s2
	s_cbranch_execz .LBB55_15
; %bb.4:
                                        ; implicit-def: $vgpr12_vgpr13
                                        ; implicit-def: $vgpr14_vgpr15
	s_mov_b32 s1, exec_lo
	v_cmpx_le_f64_e32 1.0, v[16:17]
	s_wait_alu 0xfffe
	s_xor_b32 s4, exec_lo, s1
	s_cbranch_execz .LBB55_6
; %bb.5:
	v_add_f64_e32 v[8:9], -1.0, v[16:17]
	v_add_f64_e32 v[12:13], 1.0, v[16:17]
	s_mov_b32 s3, 0x3fe55555
	s_mov_b32 s2, 0x55555555
	;; [unrolled: 1-line block ×8, first 2 shown]
	v_cmp_eq_f64_e64 s1, 0, v[2:3]
	v_cmp_class_f64_e64 s5, v[2:3], 0x204
	s_delay_alu instid0(VALU_DEP_3) | instskip(NEXT) | instid1(VALU_DEP_1)
	v_mul_f64_e32 v[8:9], v[8:9], v[12:13]
	v_fma_f64 v[8:9], v[10:11], v[10:11], v[8:9]
	s_delay_alu instid0(VALU_DEP_1) | instskip(NEXT) | instid1(VALU_DEP_1)
	v_add_f64_e32 v[10:11], 1.0, v[8:9]
	v_frexp_mant_f64_e32 v[12:13], v[10:11]
	v_frexp_exp_i32_f64_e32 v16, v[10:11]
	v_add_f64_e32 v[14:15], -1.0, v[10:11]
	s_wait_alu 0xfffe
	s_delay_alu instid0(VALU_DEP_3) | instskip(SKIP_1) | instid1(VALU_DEP_2)
	v_cmp_gt_f64_e32 vcc_lo, s[2:3], v[12:13]
	s_mov_b32 s2, 0x55555780
	v_add_f64_e64 v[12:13], v[14:15], -v[10:11]
	v_add_f64_e64 v[14:15], v[8:9], -v[14:15]
	s_wait_alu 0xfffd
	v_subrev_co_ci_u32_e64 v48, null, 0, v16, vcc_lo
	s_delay_alu instid0(VALU_DEP_3) | instskip(NEXT) | instid1(VALU_DEP_2)
	v_add_f64_e32 v[12:13], 1.0, v[12:13]
	v_sub_nc_u32_e32 v18, 0, v48
	s_delay_alu instid0(VALU_DEP_1) | instskip(NEXT) | instid1(VALU_DEP_3)
	v_ldexp_f64 v[10:11], v[10:11], v18
	v_add_f64_e32 v[12:13], v[14:15], v[12:13]
	s_delay_alu instid0(VALU_DEP_2) | instskip(SKIP_1) | instid1(VALU_DEP_3)
	v_add_f64_e32 v[16:17], 1.0, v[10:11]
	v_add_f64_e32 v[22:23], -1.0, v[10:11]
	v_ldexp_f64 v[12:13], v[12:13], v18
	s_delay_alu instid0(VALU_DEP_3) | instskip(NEXT) | instid1(VALU_DEP_3)
	v_add_f64_e32 v[14:15], -1.0, v[16:17]
	v_add_f64_e32 v[24:25], 1.0, v[22:23]
	s_delay_alu instid0(VALU_DEP_2) | instskip(NEXT) | instid1(VALU_DEP_2)
	v_add_f64_e64 v[14:15], v[10:11], -v[14:15]
	v_add_f64_e64 v[10:11], v[10:11], -v[24:25]
	s_delay_alu instid0(VALU_DEP_2) | instskip(NEXT) | instid1(VALU_DEP_2)
	v_add_f64_e32 v[14:15], v[12:13], v[14:15]
	v_add_f64_e32 v[10:11], v[12:13], v[10:11]
	s_delay_alu instid0(VALU_DEP_2) | instskip(NEXT) | instid1(VALU_DEP_2)
	v_add_f64_e32 v[18:19], v[16:17], v[14:15]
	v_add_f64_e32 v[24:25], v[22:23], v[10:11]
	s_delay_alu instid0(VALU_DEP_2) | instskip(SKIP_1) | instid1(VALU_DEP_2)
	v_rcp_f64_e32 v[20:21], v[18:19]
	v_add_f64_e64 v[16:17], v[18:19], -v[16:17]
	v_add_f64_e64 v[22:23], v[24:25], -v[22:23]
	s_delay_alu instid0(VALU_DEP_2) | instskip(NEXT) | instid1(TRANS32_DEP_1)
	v_add_f64_e64 v[14:15], v[14:15], -v[16:17]
	v_fma_f64 v[26:27], -v[18:19], v[20:21], 1.0
	s_delay_alu instid0(VALU_DEP_3) | instskip(NEXT) | instid1(VALU_DEP_2)
	v_add_f64_e64 v[10:11], v[10:11], -v[22:23]
	v_fma_f64 v[20:21], v[26:27], v[20:21], v[20:21]
	s_delay_alu instid0(VALU_DEP_1) | instskip(NEXT) | instid1(VALU_DEP_1)
	v_fma_f64 v[12:13], -v[18:19], v[20:21], 1.0
	v_fma_f64 v[12:13], v[12:13], v[20:21], v[20:21]
	s_delay_alu instid0(VALU_DEP_1) | instskip(NEXT) | instid1(VALU_DEP_1)
	v_mul_f64_e32 v[20:21], v[24:25], v[12:13]
	v_mul_f64_e32 v[26:27], v[18:19], v[20:21]
	s_delay_alu instid0(VALU_DEP_1) | instskip(NEXT) | instid1(VALU_DEP_1)
	v_fma_f64 v[16:17], v[20:21], v[18:19], -v[26:27]
	v_fma_f64 v[16:17], v[20:21], v[14:15], v[16:17]
	s_delay_alu instid0(VALU_DEP_1) | instskip(NEXT) | instid1(VALU_DEP_1)
	v_add_f64_e32 v[28:29], v[26:27], v[16:17]
	v_add_f64_e64 v[30:31], v[24:25], -v[28:29]
	v_add_f64_e64 v[22:23], v[28:29], -v[26:27]
	v_max_num_f64_e64 v[26:27], |v[2:3]|, |v[2:3]|
	s_delay_alu instid0(VALU_DEP_3) | instskip(NEXT) | instid1(VALU_DEP_3)
	v_add_f64_e64 v[24:25], v[24:25], -v[30:31]
	v_add_f64_e64 v[16:17], v[22:23], -v[16:17]
	s_delay_alu instid0(VALU_DEP_2) | instskip(SKIP_1) | instid1(VALU_DEP_2)
	v_add_f64_e64 v[24:25], v[24:25], -v[28:29]
	v_max_num_f64_e64 v[28:29], |v[0:1]|, |v[0:1]|
	v_add_f64_e32 v[10:11], v[10:11], v[24:25]
	s_delay_alu instid0(VALU_DEP_2) | instskip(SKIP_1) | instid1(VALU_DEP_3)
	v_max_num_f64_e32 v[32:33], v[28:29], v[26:27]
	v_min_num_f64_e32 v[26:27], v[28:29], v[26:27]
	v_add_f64_e32 v[10:11], v[16:17], v[10:11]
	s_delay_alu instid0(VALU_DEP_1) | instskip(NEXT) | instid1(VALU_DEP_1)
	v_add_f64_e32 v[16:17], v[30:31], v[10:11]
	v_mul_f64_e32 v[22:23], v[12:13], v[16:17]
	v_add_f64_e64 v[30:31], v[30:31], -v[16:17]
	s_delay_alu instid0(VALU_DEP_2) | instskip(NEXT) | instid1(VALU_DEP_2)
	v_mul_f64_e32 v[24:25], v[18:19], v[22:23]
	v_add_f64_e32 v[10:11], v[10:11], v[30:31]
	s_delay_alu instid0(VALU_DEP_2) | instskip(NEXT) | instid1(VALU_DEP_1)
	v_fma_f64 v[18:19], v[22:23], v[18:19], -v[24:25]
	v_fma_f64 v[14:15], v[22:23], v[14:15], v[18:19]
	v_div_scale_f64 v[18:19], null, v[32:33], v[32:33], v[26:27]
	s_delay_alu instid0(VALU_DEP_2) | instskip(NEXT) | instid1(VALU_DEP_2)
	v_add_f64_e32 v[28:29], v[24:25], v[14:15]
	v_rcp_f64_e32 v[34:35], v[18:19]
	s_delay_alu instid0(VALU_DEP_1) | instskip(SKIP_1) | instid1(TRANS32_DEP_1)
	v_add_f64_e64 v[36:37], v[16:17], -v[28:29]
	v_add_f64_e64 v[24:25], v[28:29], -v[24:25]
	v_fma_f64 v[38:39], -v[18:19], v[34:35], 1.0
	s_delay_alu instid0(VALU_DEP_3) | instskip(NEXT) | instid1(VALU_DEP_3)
	v_add_f64_e64 v[16:17], v[16:17], -v[36:37]
	v_add_f64_e64 v[14:15], v[24:25], -v[14:15]
	s_delay_alu instid0(VALU_DEP_3) | instskip(NEXT) | instid1(VALU_DEP_3)
	v_fma_f64 v[34:35], v[34:35], v[38:39], v[34:35]
	v_add_f64_e64 v[16:17], v[16:17], -v[28:29]
	s_delay_alu instid0(VALU_DEP_2) | instskip(NEXT) | instid1(VALU_DEP_2)
	v_fma_f64 v[28:29], -v[18:19], v[34:35], 1.0
	v_add_f64_e32 v[10:11], v[10:11], v[16:17]
	v_div_scale_f64 v[16:17], vcc_lo, v[26:27], v[32:33], v[26:27]
	s_delay_alu instid0(VALU_DEP_3) | instskip(SKIP_1) | instid1(VALU_DEP_4)
	v_fma_f64 v[24:25], v[34:35], v[28:29], v[34:35]
	v_add_f64_e32 v[28:29], v[20:21], v[22:23]
	v_add_f64_e32 v[10:11], v[14:15], v[10:11]
	s_delay_alu instid0(VALU_DEP_3) | instskip(NEXT) | instid1(VALU_DEP_3)
	v_mul_f64_e32 v[14:15], v[16:17], v[24:25]
	v_add_f64_e64 v[20:21], v[28:29], -v[20:21]
	s_delay_alu instid0(VALU_DEP_3) | instskip(NEXT) | instid1(VALU_DEP_3)
	v_add_f64_e32 v[10:11], v[36:37], v[10:11]
	v_fma_f64 v[16:17], -v[18:19], v[14:15], v[16:17]
	s_delay_alu instid0(VALU_DEP_3) | instskip(NEXT) | instid1(VALU_DEP_3)
	v_add_f64_e64 v[18:19], v[22:23], -v[20:21]
	v_mul_f64_e32 v[10:11], v[12:13], v[10:11]
	s_wait_alu 0xfffd
	s_delay_alu instid0(VALU_DEP_3) | instskip(SKIP_1) | instid1(VALU_DEP_3)
	v_div_fmas_f64 v[12:13], v[16:17], v[24:25], v[14:15]
	v_cmp_gt_i32_e32 vcc_lo, 0, v1
	v_add_f64_e32 v[10:11], v[18:19], v[10:11]
	s_delay_alu instid0(VALU_DEP_3) | instskip(NEXT) | instid1(VALU_DEP_2)
	v_div_fixup_f64 v[12:13], v[12:13], v[32:33], v[26:27]
	v_add_f64_e32 v[14:15], v[28:29], v[10:11]
	s_delay_alu instid0(VALU_DEP_2) | instskip(NEXT) | instid1(VALU_DEP_2)
	v_mul_f64_e32 v[16:17], v[12:13], v[12:13]
	v_mul_f64_e32 v[18:19], v[14:15], v[14:15]
	s_delay_alu instid0(VALU_DEP_2) | instskip(SKIP_3) | instid1(VALU_DEP_2)
	v_fma_f64 v[20:21], v[16:17], s[8:9], s[6:7]
	s_mov_b32 s6, 0xbf559e2b
	s_mov_b32 s7, 0x3fc3ab76
	s_wait_alu 0xfffe
	v_fma_f64 v[22:23], v[18:19], s[6:7], s[16:17]
	s_mov_b32 s6, 0x69efb384
	s_mov_b32 s7, 0x3f4b2bb0
	v_mul_f64_e32 v[24:25], v[14:15], v[18:19]
	s_wait_alu 0xfffe
	s_delay_alu instid0(VALU_DEP_3) | instskip(SKIP_3) | instid1(VALU_DEP_3)
	v_fma_f64 v[20:21], v[16:17], v[20:21], s[6:7]
	s_mov_b32 s6, 0xd7f4df2e
	s_mov_b32 s7, 0x3fc7474d
	s_wait_alu 0xfffe
	v_fma_f64 v[22:23], v[18:19], v[22:23], s[6:7]
	s_mov_b32 s6, 0xaf56de9b
	s_mov_b32 s7, 0xbf67952d
	s_wait_alu 0xfffe
	s_delay_alu instid0(VALU_DEP_2) | instskip(SKIP_3) | instid1(VALU_DEP_2)
	v_fma_f64 v[20:21], v[16:17], v[20:21], s[6:7]
	s_mov_b32 s6, 0x16291751
	s_mov_b32 s7, 0x3fcc71c0
	s_wait_alu 0xfffe
	v_fma_f64 v[22:23], v[18:19], v[22:23], s[6:7]
	s_mov_b32 s6, 0xa595c56f
	s_mov_b32 s7, 0x3f7d6d43
	s_wait_alu 0xfffe
	s_delay_alu instid0(VALU_DEP_2) | instskip(SKIP_3) | instid1(VALU_DEP_2)
	;; [unrolled: 9-line block ×3, first 2 shown]
	v_fma_f64 v[20:21], v[16:17], v[20:21], s[6:7]
	s_mov_b32 s6, 0x998ef7b6
	s_mov_b32 s7, 0x3fd99999
	s_wait_alu 0xfffe
	v_fma_f64 v[22:23], v[18:19], v[22:23], s[6:7]
	s_mov_b32 s6, 0x5f08b19f
	s_mov_b32 s7, 0x3f967e29
	s_wait_alu 0xfffe
	s_delay_alu instid0(VALU_DEP_2) | instskip(SKIP_2) | instid1(VALU_DEP_2)
	v_fma_f64 v[20:21], v[16:17], v[20:21], s[6:7]
	s_mov_b32 s6, 0xfefa39ef
	s_mov_b32 s7, 0x3fe62e42
	v_fma_f64 v[18:19], v[18:19], v[22:23], s[2:3]
	s_mov_b32 s2, 0xfc27006a
	s_mov_b32 s3, 0xbf9e9ae6
	v_ldexp_f64 v[22:23], v[14:15], 1
	s_wait_alu 0xfffe
	s_delay_alu instid0(VALU_DEP_3) | instskip(SKIP_3) | instid1(VALU_DEP_4)
	v_fma_f64 v[20:21], v[16:17], v[20:21], s[2:3]
	s_mov_b32 s2, 0x5711927a
	s_mov_b32 s3, 0x3fa2c15b
	v_add_f64_e64 v[14:15], v[14:15], -v[28:29]
	v_mul_f64_e32 v[18:19], v[24:25], v[18:19]
	v_cvt_f64_i32_e32 v[24:25], v48
	s_wait_alu 0xfffe
	s_delay_alu instid0(VALU_DEP_4) | instskip(SKIP_2) | instid1(VALU_DEP_4)
	v_fma_f64 v[20:21], v[16:17], v[20:21], s[2:3]
	s_mov_b32 s2, 0xe82d3ff0
	s_mov_b32 s3, 0xbfa59976
	v_add_f64_e64 v[10:11], v[10:11], -v[14:15]
	s_delay_alu instid0(VALU_DEP_4) | instskip(NEXT) | instid1(VALU_DEP_4)
	v_add_f64_e32 v[26:27], v[22:23], v[18:19]
	v_mul_f64_e32 v[28:29], s[6:7], v[24:25]
	s_wait_alu 0xfffe
	s_delay_alu instid0(VALU_DEP_4) | instskip(SKIP_2) | instid1(VALU_DEP_4)
	v_fma_f64 v[20:21], v[16:17], v[20:21], s[2:3]
	s_mov_b32 s2, 0x6ef28734
	s_mov_b32 s3, 0x3fa82d5d
	v_ldexp_f64 v[10:11], v[10:11], 1
	s_delay_alu instid0(VALU_DEP_4) | instskip(NEXT) | instid1(VALU_DEP_4)
	v_add_f64_e64 v[14:15], v[26:27], -v[22:23]
	v_fma_f64 v[22:23], v[24:25], s[6:7], -v[28:29]
	v_cmp_class_f64_e64 s6, v[0:1], 0x204
	v_mov_b32_e32 v0, 0x4002d97c
	s_wait_alu 0xfffe
	v_fma_f64 v[20:21], v[16:17], v[20:21], s[2:3]
	s_mov_b32 s2, 0x6a214619
	s_mov_b32 s3, 0xbfaae5ce
	s_wait_alu 0xfffd
	v_cndmask_b32_e32 v0, 0x3fe921fb, v0, vcc_lo
	s_delay_alu instid0(VALU_DEP_1) | instskip(SKIP_2) | instid1(VALU_DEP_4)
	v_bfi_b32 v0, 0x7fffffff, v0, v3
	v_add_f64_e64 v[14:15], v[18:19], -v[14:15]
	s_wait_alu 0xfffe
	v_fma_f64 v[18:19], v[16:17], v[20:21], s[2:3]
	s_mov_b32 s2, 0x3b39803f
	s_mov_b32 s3, 0x3c7abc9e
	s_wait_alu 0xfffe
	v_fma_f64 v[20:21], v[24:25], s[2:3], v[22:23]
	s_mov_b32 s2, 0x8427b883
	s_mov_b32 s3, 0x3fae1bb4
	s_delay_alu instid0(VALU_DEP_3) | instskip(SKIP_1) | instid1(VALU_DEP_3)
	v_add_f64_e32 v[10:11], v[10:11], v[14:15]
	s_wait_alu 0xfffe
	v_fma_f64 v[14:15], v[16:17], v[18:19], s[2:3]
	s_mov_b32 s2, 0x8b207f05
	s_mov_b32 s3, 0xbfb110e4
	s_delay_alu instid0(VALU_DEP_3) | instskip(NEXT) | instid1(VALU_DEP_3)
	v_add_f64_e32 v[18:19], v[28:29], v[20:21]
	v_add_f64_e32 v[22:23], v[26:27], v[10:11]
	s_wait_alu 0xfffe
	s_delay_alu instid0(VALU_DEP_3) | instskip(SKIP_2) | instid1(VALU_DEP_3)
	v_fma_f64 v[14:15], v[16:17], v[14:15], s[2:3]
	s_mov_b32 s2, 0x57b87036
	s_mov_b32 s3, 0x3fb3b136
	v_add_f64_e64 v[28:29], v[18:19], -v[28:29]
	s_delay_alu instid0(VALU_DEP_3) | instskip(SKIP_2) | instid1(VALU_DEP_4)
	v_add_f64_e32 v[24:25], v[18:19], v[22:23]
	v_add_f64_e64 v[26:27], v[22:23], -v[26:27]
	s_wait_alu 0xfffe
	v_fma_f64 v[14:15], v[16:17], v[14:15], s[2:3]
	s_mov_b32 s2, 0x19378e4f
	s_mov_b32 s3, 0xbfb745d1
	s_delay_alu instid0(VALU_DEP_4) | instskip(NEXT) | instid1(VALU_DEP_4)
	v_add_f64_e64 v[20:21], v[20:21], -v[28:29]
	v_add_f64_e64 v[30:31], v[24:25], -v[18:19]
	s_delay_alu instid0(VALU_DEP_4) | instskip(SKIP_1) | instid1(VALU_DEP_4)
	v_add_f64_e64 v[10:11], v[10:11], -v[26:27]
	s_wait_alu 0xfffe
	v_fma_f64 v[14:15], v[16:17], v[14:15], s[2:3]
	s_mov_b32 s2, 0x17e1913c
	s_mov_b32 s3, 0x3fbc71c7
	s_delay_alu instid0(VALU_DEP_3) | instskip(SKIP_1) | instid1(VALU_DEP_4)
	v_add_f64_e64 v[32:33], v[24:25], -v[30:31]
	v_add_f64_e64 v[22:23], v[22:23], -v[30:31]
	v_add_f64_e32 v[26:27], v[20:21], v[10:11]
	s_wait_alu 0xfffe
	s_delay_alu instid0(VALU_DEP_4) | instskip(SKIP_2) | instid1(VALU_DEP_4)
	v_fma_f64 v[14:15], v[16:17], v[14:15], s[2:3]
	s_mov_b32 s2, 0x92376b7d
	s_mov_b32 s3, 0xbfc24924
	v_add_f64_e64 v[18:19], v[18:19], -v[32:33]
	s_wait_alu 0xfffe
	s_delay_alu instid0(VALU_DEP_2) | instskip(SKIP_2) | instid1(VALU_DEP_2)
	v_fma_f64 v[14:15], v[16:17], v[14:15], s[2:3]
	s_mov_b32 s2, 0x999952cc
	s_mov_b32 s3, 0x3fc99999
	v_add_f64_e32 v[18:19], v[22:23], v[18:19]
	v_add_f64_e64 v[22:23], v[26:27], -v[20:21]
	s_wait_alu 0xfffe
	s_delay_alu instid0(VALU_DEP_3) | instskip(SKIP_2) | instid1(VALU_DEP_3)
	v_fma_f64 v[14:15], v[16:17], v[14:15], s[2:3]
	s_mov_b32 s2, 0x55555523
	s_mov_b32 s3, 0xbfd55555
	v_add_f64_e32 v[18:19], v[26:27], v[18:19]
	s_delay_alu instid0(VALU_DEP_3) | instskip(SKIP_2) | instid1(VALU_DEP_4)
	v_add_f64_e64 v[26:27], v[26:27], -v[22:23]
	v_add_f64_e64 v[10:11], v[10:11], -v[22:23]
	s_wait_alu 0xfffe
	v_fma_f64 v[14:15], v[16:17], v[14:15], s[2:3]
	s_mov_b32 s2, 0x54442d18
	s_mov_b32 s3, 0x3ff921fb
	s_delay_alu instid0(VALU_DEP_4) | instskip(NEXT) | instid1(VALU_DEP_2)
	v_add_f64_e32 v[28:29], v[24:25], v[18:19]
	v_mul_f64_e32 v[14:15], v[16:17], v[14:15]
	v_add_f64_e64 v[16:17], v[20:21], -v[26:27]
	s_delay_alu instid0(VALU_DEP_3) | instskip(NEXT) | instid1(VALU_DEP_3)
	v_add_f64_e64 v[20:21], v[28:29], -v[24:25]
	v_fma_f64 v[12:13], v[12:13], v[14:15], v[12:13]
	s_delay_alu instid0(VALU_DEP_3) | instskip(NEXT) | instid1(VALU_DEP_3)
	v_add_f64_e32 v[10:11], v[10:11], v[16:17]
	v_add_f64_e64 v[14:15], v[18:19], -v[20:21]
	s_wait_alu 0xfffe
	s_delay_alu instid0(VALU_DEP_3) | instskip(SKIP_1) | instid1(VALU_DEP_2)
	v_add_f64_e64 v[16:17], -v[12:13], s[2:3]
	s_mov_b32 s3, 0x400921fb
	v_add_f64_e32 v[10:11], v[10:11], v[14:15]
	s_delay_alu instid0(VALU_DEP_2) | instskip(NEXT) | instid1(VALU_DEP_3)
	v_cndmask_b32_e64 v13, v13, v17, s0
	v_cndmask_b32_e64 v12, v12, v16, s0
	v_ashrrev_i32_e32 v17, 31, v1
	s_wait_alu 0xfffe
	s_delay_alu instid0(VALU_DEP_2)
	v_add_f64_e64 v[14:15], -v[12:13], s[2:3]
	v_mov_b32_e32 v16, 0x7f3321d2
	v_cmp_neq_f64_e64 s3, 0x7ff00000, v[8:9]
	v_cmp_nge_f64_e64 s2, -1.0, v[8:9]
	v_and_b32_e32 v1, 0x400921fb, v17
	v_add_f64_e32 v[10:11], v[28:29], v[10:11]
	v_dual_cndmask_b32 v12, v12, v14 :: v_dual_cndmask_b32 v13, v13, v15
	v_cndmask_b32_e32 v16, 0x54442d18, v16, vcc_lo
	v_cmp_ngt_f64_e32 vcc_lo, -1.0, v[8:9]
	s_wait_alu 0xf1ff
	s_delay_alu instid0(VALU_DEP_3) | instskip(SKIP_1) | instid1(VALU_DEP_1)
	v_cndmask_b32_e64 v1, v13, v1, s1
	v_mul_f64_e32 v[10:11], 0.5, v[10:11]
	v_cndmask_b32_e64 v11, 0x7ff00000, v11, s3
	s_wait_alu 0xfffd
	s_delay_alu instid0(VALU_DEP_1) | instskip(SKIP_3) | instid1(VALU_DEP_1)
	v_cndmask_b32_e32 v11, 0x7ff80000, v11, vcc_lo
	s_and_b32 vcc_lo, s6, s5
	s_wait_alu 0xfffe
	v_dual_cndmask_b32 v15, v1, v0 :: v_dual_and_b32 v18, 0x54442d18, v17
                                        ; implicit-def: $vgpr0_vgpr1
	v_cndmask_b32_e64 v14, v12, v18, s1
	s_and_b32 s1, s2, s3
	s_wait_alu 0xfffe
	v_cndmask_b32_e64 v12, 0, v10, s1
	v_cmp_neq_f64_e64 s1, -1.0, v[8:9]
	v_cndmask_b32_e32 v14, v14, v16, vcc_lo
                                        ; implicit-def: $vgpr16_vgpr17
	s_wait_alu 0xf1ff
	s_delay_alu instid0(VALU_DEP_2)
	v_cndmask_b32_e64 v13, 0xfff00000, v11, s1
                                        ; implicit-def: $vgpr10_vgpr11
.LBB55_6:
	s_wait_alu 0xfffe
	s_and_not1_saveexec_b32 s15, s4
	s_cbranch_execz .LBB55_14
; %bb.7:
	v_mul_f64_e32 v[8:9], v[10:11], v[10:11]
	s_mov_b32 s2, 0x66666666
	s_mov_b32 s3, 0x3fe66666
                                        ; implicit-def: $vgpr12_vgpr13
                                        ; implicit-def: $vgpr14_vgpr15
	s_mov_b32 s1, exec_lo
	s_delay_alu instid0(VALU_DEP_1) | instskip(SKIP_1) | instid1(VALU_DEP_1)
	v_fma_f64 v[8:9], v[16:17], v[16:17], v[8:9]
	s_wait_alu 0xfffe
	v_cmpx_ge_f64_e32 s[2:3], v[8:9]
	s_xor_b32 s4, exec_lo, s1
	s_cbranch_execz .LBB55_9
; %bb.8:
	v_frexp_mant_f64_e32 v[10:11], v[8:9]
	s_mov_b32 s3, 0x3fe55555
	s_mov_b32 s2, 0x55555555
	v_max_num_f64_e64 v[20:21], |v[0:1]|, |v[0:1]|
	s_mov_b32 s6, 0xbd3237f4
	s_mov_b32 s8, 0xb5e68a13
	;; [unrolled: 1-line block ×4, first 2 shown]
	v_cmp_class_f64_e64 s5, v[0:1], 0x204
	s_wait_alu 0xfffe
	s_delay_alu instid0(VALU_DEP_3) | instskip(SKIP_3) | instid1(VALU_DEP_1)
	v_cmp_gt_f64_e64 s1, s[2:3], v[10:11]
	s_mov_b32 s2, 0x55555780
	s_wait_alu 0xf1ff
	v_cndmask_b32_e64 v12, 0, 1, s1
	v_ldexp_f64 v[10:11], v[10:11], v12
	s_delay_alu instid0(VALU_DEP_1) | instskip(SKIP_1) | instid1(VALU_DEP_2)
	v_add_f64_e32 v[12:13], 1.0, v[10:11]
	v_add_f64_e32 v[18:19], -1.0, v[10:11]
	v_rcp_f64_e32 v[14:15], v[12:13]
	s_delay_alu instid0(TRANS32_DEP_1) | instskip(NEXT) | instid1(VALU_DEP_1)
	v_fma_f64 v[16:17], -v[12:13], v[14:15], 1.0
	v_fma_f64 v[14:15], v[16:17], v[14:15], v[14:15]
	s_delay_alu instid0(VALU_DEP_1) | instskip(NEXT) | instid1(VALU_DEP_1)
	v_fma_f64 v[16:17], -v[12:13], v[14:15], 1.0
	v_fma_f64 v[14:15], v[16:17], v[14:15], v[14:15]
	v_max_num_f64_e64 v[16:17], |v[2:3]|, |v[2:3]|
	s_delay_alu instid0(VALU_DEP_2) | instskip(NEXT) | instid1(VALU_DEP_2)
	v_mul_f64_e32 v[22:23], v[18:19], v[14:15]
	v_max_num_f64_e32 v[24:25], v[20:21], v[16:17]
	v_min_num_f64_e32 v[16:17], v[20:21], v[16:17]
	v_add_f64_e32 v[20:21], -1.0, v[12:13]
	s_delay_alu instid0(VALU_DEP_4) | instskip(NEXT) | instid1(VALU_DEP_3)
	v_mul_f64_e32 v[26:27], v[12:13], v[22:23]
	v_div_scale_f64 v[28:29], null, v[24:25], v[24:25], v[16:17]
	s_delay_alu instid0(VALU_DEP_3) | instskip(SKIP_1) | instid1(VALU_DEP_4)
	v_add_f64_e64 v[10:11], v[10:11], -v[20:21]
	v_div_scale_f64 v[34:35], vcc_lo, v[16:17], v[24:25], v[16:17]
	v_fma_f64 v[12:13], v[22:23], v[12:13], -v[26:27]
	s_delay_alu instid0(VALU_DEP_4) | instskip(NEXT) | instid1(VALU_DEP_1)
	v_rcp_f64_e32 v[20:21], v[28:29]
	v_fma_f64 v[10:11], v[22:23], v[10:11], v[12:13]
	s_delay_alu instid0(TRANS32_DEP_1) | instskip(NEXT) | instid1(VALU_DEP_2)
	v_fma_f64 v[12:13], -v[28:29], v[20:21], 1.0
	v_add_f64_e32 v[30:31], v[26:27], v[10:11]
	s_delay_alu instid0(VALU_DEP_2) | instskip(NEXT) | instid1(VALU_DEP_2)
	v_fma_f64 v[12:13], v[20:21], v[12:13], v[20:21]
	v_add_f64_e64 v[20:21], v[18:19], -v[30:31]
	v_add_f64_e64 v[26:27], v[30:31], -v[26:27]
	s_delay_alu instid0(VALU_DEP_3) | instskip(NEXT) | instid1(VALU_DEP_3)
	v_fma_f64 v[32:33], -v[28:29], v[12:13], 1.0
	v_add_f64_e64 v[18:19], v[18:19], -v[20:21]
	s_delay_alu instid0(VALU_DEP_3) | instskip(NEXT) | instid1(VALU_DEP_3)
	v_add_f64_e64 v[10:11], v[26:27], -v[10:11]
	v_fma_f64 v[12:13], v[12:13], v[32:33], v[12:13]
	s_delay_alu instid0(VALU_DEP_3) | instskip(NEXT) | instid1(VALU_DEP_2)
	v_add_f64_e64 v[18:19], v[18:19], -v[30:31]
	v_mul_f64_e32 v[26:27], v[34:35], v[12:13]
	s_delay_alu instid0(VALU_DEP_2) | instskip(NEXT) | instid1(VALU_DEP_2)
	v_add_f64_e32 v[10:11], v[10:11], v[18:19]
	v_fma_f64 v[18:19], -v[28:29], v[26:27], v[34:35]
	v_frexp_exp_i32_f64_e32 v28, v[8:9]
	s_delay_alu instid0(VALU_DEP_3) | instskip(SKIP_1) | instid1(VALU_DEP_3)
	v_add_f64_e32 v[10:11], v[20:21], v[10:11]
	s_wait_alu 0xfffd
	v_div_fmas_f64 v[12:13], v[18:19], v[12:13], v[26:27]
	v_cmp_gt_i32_e32 vcc_lo, 0, v1
	s_delay_alu instid0(VALU_DEP_3) | instskip(NEXT) | instid1(VALU_DEP_3)
	v_mul_f64_e32 v[10:11], v[14:15], v[10:11]
	v_div_fixup_f64 v[12:13], v[12:13], v[24:25], v[16:17]
	s_delay_alu instid0(VALU_DEP_2) | instskip(NEXT) | instid1(VALU_DEP_2)
	v_add_f64_e32 v[14:15], v[22:23], v[10:11]
	v_mul_f64_e32 v[16:17], v[12:13], v[12:13]
	s_delay_alu instid0(VALU_DEP_2) | instskip(NEXT) | instid1(VALU_DEP_2)
	v_mul_f64_e32 v[18:19], v[14:15], v[14:15]
	v_fma_f64 v[20:21], v[16:17], s[8:9], s[6:7]
	s_mov_b32 s6, 0x6b47b09a
	s_mov_b32 s8, 0xbf559e2b
	;; [unrolled: 1-line block ×4, first 2 shown]
	s_wait_alu 0xfffe
	s_delay_alu instid0(VALU_DEP_2) | instskip(SKIP_4) | instid1(VALU_DEP_3)
	v_fma_f64 v[24:25], v[18:19], s[8:9], s[6:7]
	s_mov_b32 s6, 0x69efb384
	s_mov_b32 s7, 0x3f4b2bb0
	v_mul_f64_e32 v[26:27], v[14:15], v[18:19]
	s_wait_alu 0xfffe
	v_fma_f64 v[20:21], v[16:17], v[20:21], s[6:7]
	s_mov_b32 s6, 0xd7f4df2e
	s_mov_b32 s7, 0x3fc7474d
	s_wait_alu 0xfffe
	s_delay_alu instid0(VALU_DEP_3) | instskip(SKIP_3) | instid1(VALU_DEP_2)
	v_fma_f64 v[24:25], v[18:19], v[24:25], s[6:7]
	s_mov_b32 s6, 0xaf56de9b
	s_mov_b32 s7, 0xbf67952d
	s_wait_alu 0xfffe
	v_fma_f64 v[20:21], v[16:17], v[20:21], s[6:7]
	s_mov_b32 s6, 0x16291751
	s_mov_b32 s7, 0x3fcc71c0
	s_wait_alu 0xfffe
	s_delay_alu instid0(VALU_DEP_2) | instskip(SKIP_3) | instid1(VALU_DEP_2)
	v_fma_f64 v[24:25], v[18:19], v[24:25], s[6:7]
	s_mov_b32 s6, 0xa595c56f
	s_mov_b32 s7, 0x3f7d6d43
	s_wait_alu 0xfffe
	v_fma_f64 v[20:21], v[16:17], v[20:21], s[6:7]
	s_mov_b32 s6, 0x9b27acf1
	s_mov_b32 s7, 0x3fd24924
	s_wait_alu 0xfffe
	s_delay_alu instid0(VALU_DEP_2) | instskip(SKIP_3) | instid1(VALU_DEP_2)
	;; [unrolled: 9-line block ×3, first 2 shown]
	v_fma_f64 v[24:25], v[18:19], v[24:25], s[6:7]
	s_mov_b32 s6, 0x5f08b19f
	s_mov_b32 s7, 0x3f967e29
	s_wait_alu 0xfffe
	v_fma_f64 v[20:21], v[16:17], v[20:21], s[6:7]
	s_mov_b32 s6, 0x6ef28734
	s_mov_b32 s7, 0x3fa82d5d
	s_delay_alu instid0(VALU_DEP_2) | instskip(SKIP_4) | instid1(VALU_DEP_3)
	v_fma_f64 v[18:19], v[18:19], v[24:25], s[2:3]
	s_mov_b32 s2, 0xfc27006a
	s_mov_b32 s3, 0xbf9e9ae6
	v_ldexp_f64 v[24:25], v[14:15], 1
	s_wait_alu 0xfffe
	v_fma_f64 v[20:21], v[16:17], v[20:21], s[2:3]
	s_mov_b32 s2, 0x5711927a
	s_mov_b32 s3, 0x3fa2c15b
	v_add_f64_e64 v[14:15], v[14:15], -v[22:23]
	s_delay_alu instid0(VALU_DEP_4)
	v_mul_f64_e32 v[18:19], v[26:27], v[18:19]
	v_subrev_co_ci_u32_e64 v26, null, 0, v28, s1
	v_cmp_eq_f64_e64 s1, 0, v[2:3]
	s_wait_alu 0xfffe
	v_fma_f64 v[20:21], v[16:17], v[20:21], s[2:3]
	s_mov_b32 s2, 0xe82d3ff0
	v_cvt_f64_i32_e32 v[26:27], v26
	s_mov_b32 s3, 0xbfa59976
	v_add_f64_e64 v[10:11], v[10:11], -v[14:15]
	v_add_f64_e32 v[22:23], v[24:25], v[18:19]
	s_wait_alu 0xfffe
	s_delay_alu instid0(VALU_DEP_4) | instskip(SKIP_3) | instid1(VALU_DEP_4)
	v_fma_f64 v[20:21], v[16:17], v[20:21], s[2:3]
	s_mov_b32 s2, 0xfefa39ef
	s_mov_b32 s3, 0x3fe62e42
	s_wait_alu 0xfffe
	v_mul_f64_e32 v[28:29], s[2:3], v[26:27]
	s_delay_alu instid0(VALU_DEP_4) | instskip(NEXT) | instid1(VALU_DEP_4)
	v_ldexp_f64 v[10:11], v[10:11], 1
	v_add_f64_e64 v[14:15], v[22:23], -v[24:25]
	s_delay_alu instid0(VALU_DEP_4) | instskip(NEXT) | instid1(VALU_DEP_4)
	v_fma_f64 v[20:21], v[16:17], v[20:21], s[6:7]
	v_fma_f64 v[24:25], v[26:27], s[2:3], -v[28:29]
	s_mov_b32 s2, 0x6a214619
	s_mov_b32 s3, 0xbfaae5ce
	s_delay_alu instid0(VALU_DEP_3) | instskip(SKIP_1) | instid1(VALU_DEP_3)
	v_add_f64_e64 v[14:15], v[18:19], -v[14:15]
	s_wait_alu 0xfffe
	v_fma_f64 v[18:19], v[16:17], v[20:21], s[2:3]
	s_mov_b32 s2, 0x3b39803f
	s_mov_b32 s3, 0x3c7abc9e
	s_wait_alu 0xfffe
	s_delay_alu instid0(VALU_DEP_3) | instskip(SKIP_2) | instid1(VALU_DEP_3)
	v_fma_f64 v[20:21], v[26:27], s[2:3], v[24:25]
	s_mov_b32 s2, 0x8427b883
	s_mov_b32 s3, 0x3fae1bb4
	v_add_f64_e32 v[10:11], v[10:11], v[14:15]
	s_wait_alu 0xfffe
	s_delay_alu instid0(VALU_DEP_3) | instskip(SKIP_2) | instid1(VALU_DEP_3)
	v_fma_f64 v[14:15], v[16:17], v[18:19], s[2:3]
	s_mov_b32 s2, 0x8b207f05
	s_mov_b32 s3, 0xbfb110e4
	v_add_f64_e32 v[18:19], v[28:29], v[20:21]
	s_delay_alu instid0(VALU_DEP_3) | instskip(SKIP_1) | instid1(VALU_DEP_3)
	v_add_f64_e32 v[24:25], v[22:23], v[10:11]
	s_wait_alu 0xfffe
	v_fma_f64 v[14:15], v[16:17], v[14:15], s[2:3]
	s_mov_b32 s2, 0x57b87036
	s_mov_b32 s3, 0x3fb3b136
	s_delay_alu instid0(VALU_DEP_3) | instskip(NEXT) | instid1(VALU_DEP_3)
	v_add_f64_e64 v[28:29], v[18:19], -v[28:29]
	v_add_f64_e32 v[26:27], v[18:19], v[24:25]
	v_add_f64_e64 v[22:23], v[24:25], -v[22:23]
	s_wait_alu 0xfffe
	s_delay_alu instid0(VALU_DEP_4) | instskip(SKIP_2) | instid1(VALU_DEP_4)
	v_fma_f64 v[14:15], v[16:17], v[14:15], s[2:3]
	s_mov_b32 s2, 0x19378e4f
	s_mov_b32 s3, 0xbfb745d1
	v_add_f64_e64 v[20:21], v[20:21], -v[28:29]
	s_delay_alu instid0(VALU_DEP_4) | instskip(NEXT) | instid1(VALU_DEP_4)
	v_add_f64_e64 v[30:31], v[26:27], -v[18:19]
	v_add_f64_e64 v[10:11], v[10:11], -v[22:23]
	s_wait_alu 0xfffe
	s_delay_alu instid0(VALU_DEP_4) | instskip(SKIP_2) | instid1(VALU_DEP_3)
	v_fma_f64 v[14:15], v[16:17], v[14:15], s[2:3]
	s_mov_b32 s2, 0x17e1913c
	s_mov_b32 s3, 0x3fbc71c7
	v_add_f64_e64 v[32:33], v[26:27], -v[30:31]
	v_add_f64_e64 v[22:23], v[24:25], -v[30:31]
	s_delay_alu instid0(VALU_DEP_4) | instskip(SKIP_1) | instid1(VALU_DEP_4)
	v_add_f64_e32 v[24:25], v[20:21], v[10:11]
	s_wait_alu 0xfffe
	v_fma_f64 v[14:15], v[16:17], v[14:15], s[2:3]
	s_mov_b32 s2, 0x92376b7d
	s_mov_b32 s3, 0xbfc24924
	s_delay_alu instid0(VALU_DEP_4) | instskip(SKIP_1) | instid1(VALU_DEP_2)
	v_add_f64_e64 v[18:19], v[18:19], -v[32:33]
	s_wait_alu 0xfffe
	v_fma_f64 v[14:15], v[16:17], v[14:15], s[2:3]
	s_mov_b32 s2, 0x999952cc
	s_mov_b32 s3, 0x3fc99999
	s_delay_alu instid0(VALU_DEP_2) | instskip(SKIP_2) | instid1(VALU_DEP_3)
	v_add_f64_e32 v[18:19], v[22:23], v[18:19]
	v_add_f64_e64 v[22:23], v[24:25], -v[20:21]
	s_wait_alu 0xfffe
	v_fma_f64 v[14:15], v[16:17], v[14:15], s[2:3]
	s_mov_b32 s2, 0x55555523
	s_mov_b32 s3, 0xbfd55555
	s_delay_alu instid0(VALU_DEP_3) | instskip(NEXT) | instid1(VALU_DEP_3)
	v_add_f64_e32 v[18:19], v[24:25], v[18:19]
	v_add_f64_e64 v[24:25], v[24:25], -v[22:23]
	v_add_f64_e64 v[10:11], v[10:11], -v[22:23]
	s_wait_alu 0xfffe
	s_delay_alu instid0(VALU_DEP_4) | instskip(SKIP_2) | instid1(VALU_DEP_4)
	v_fma_f64 v[14:15], v[16:17], v[14:15], s[2:3]
	s_mov_b32 s2, 0x54442d18
	s_mov_b32 s3, 0x3ff921fb
	v_add_f64_e32 v[28:29], v[26:27], v[18:19]
	s_delay_alu instid0(VALU_DEP_2) | instskip(SKIP_1) | instid1(VALU_DEP_3)
	v_mul_f64_e32 v[14:15], v[16:17], v[14:15]
	v_add_f64_e64 v[16:17], v[20:21], -v[24:25]
	v_add_f64_e64 v[20:21], v[28:29], -v[26:27]
	s_delay_alu instid0(VALU_DEP_3) | instskip(NEXT) | instid1(VALU_DEP_3)
	v_fma_f64 v[12:13], v[12:13], v[14:15], v[12:13]
	v_add_f64_e32 v[10:11], v[10:11], v[16:17]
	s_delay_alu instid0(VALU_DEP_3) | instskip(SKIP_1) | instid1(VALU_DEP_3)
	v_add_f64_e64 v[14:15], v[18:19], -v[20:21]
	s_wait_alu 0xfffe
	v_add_f64_e64 v[16:17], -v[12:13], s[2:3]
	s_mov_b32 s3, 0x400921fb
	s_delay_alu instid0(VALU_DEP_2) | instskip(NEXT) | instid1(VALU_DEP_2)
	v_add_f64_e32 v[10:11], v[10:11], v[14:15]
	v_cndmask_b32_e64 v13, v13, v17, s0
	s_delay_alu instid0(VALU_DEP_3) | instskip(SKIP_2) | instid1(VALU_DEP_2)
	v_cndmask_b32_e64 v12, v12, v16, s0
	v_ashrrev_i32_e32 v17, 31, v1
	s_wait_alu 0xfffe
	v_add_f64_e64 v[14:15], -v[12:13], s[2:3]
	v_cmp_class_f64_e64 s3, v[2:3], 0x204
	v_cmp_neq_f64_e64 s2, 0, v[8:9]
	v_mov_b32_e32 v8, 0x4002d97c
	v_and_b32_e32 v18, 0x54442d18, v17
	v_and_b32_e32 v9, 0x400921fb, v17
	s_wait_alu 0xfffd
	s_delay_alu instid0(VALU_DEP_3) | instskip(NEXT) | instid1(VALU_DEP_1)
	v_cndmask_b32_e32 v8, 0x3fe921fb, v8, vcc_lo
	v_bfi_b32 v8, 0x7fffffff, v8, v3
	v_add_f64_e32 v[10:11], v[28:29], v[10:11]
	v_cndmask_b32_e32 v12, v12, v14, vcc_lo
	s_delay_alu instid0(VALU_DEP_2) | instskip(SKIP_2) | instid1(VALU_DEP_3)
	v_mul_f64_e32 v[0:1], 0.5, v[10:11]
	v_cndmask_b32_e32 v10, v13, v15, vcc_lo
	s_wait_alu 0xf1ff
	v_cndmask_b32_e64 v11, v12, v18, s1
	s_delay_alu instid0(VALU_DEP_2) | instskip(SKIP_1) | instid1(VALU_DEP_1)
	v_cndmask_b32_e64 v9, v10, v9, s1
	v_mov_b32_e32 v16, 0x7f3321d2
	v_cndmask_b32_e32 v16, 0x54442d18, v16, vcc_lo
	s_and_b32 vcc_lo, s5, s3
	s_wait_alu 0xfffe
	v_cndmask_b32_e32 v15, v9, v8, vcc_lo
	s_delay_alu instid0(VALU_DEP_2)
	v_cndmask_b32_e32 v14, v11, v16, vcc_lo
                                        ; implicit-def: $vgpr16_vgpr17
                                        ; implicit-def: $vgpr10_vgpr11
	v_cndmask_b32_e64 v13, 0xfff00000, v1, s2
	v_cndmask_b32_e64 v12, 0, v0, s2
                                        ; implicit-def: $vgpr0_vgpr1
.LBB55_9:
	s_wait_alu 0xfffe
	s_and_not1_saveexec_b32 s16, s4
	s_cbranch_execz .LBB55_13
; %bb.10:
	v_dual_mov_b32 v8, 0 :: v_dual_and_b32 v9, 0x7ffffff8, v17
	v_and_b32_e32 v13, 0x7ffffff8, v11
	s_mov_b32 s17, 0
	s_delay_alu instid0(VALU_DEP_2) | instskip(NEXT) | instid1(VALU_DEP_3)
	v_mov_b32_e32 v12, v8
	v_add_f64_e64 v[14:15], v[16:17], -v[8:9]
	v_mov_b32_e32 v18, v8
	v_add_f64_e32 v[26:27], v[8:9], v[8:9]
	s_delay_alu instid0(VALU_DEP_4)
	v_add_f64_e64 v[10:11], v[10:11], -v[12:13]
	v_mov_b32_e32 v24, v8
	v_add_f64_e32 v[30:31], v[12:13], v[12:13]
	v_mul_f64_e32 v[8:9], v[8:9], v[8:9]
	v_mul_f64_e32 v[16:17], v[12:13], v[12:13]
	v_and_b32_e32 v19, -8, v15
	v_and_b32_e32 v25, -8, v11
	s_delay_alu instid0(VALU_DEP_2)
	v_add_f64_e64 v[28:29], v[14:15], -v[18:19]
	v_add_f64_e32 v[32:33], v[18:19], v[18:19]
	v_mul_f64_e32 v[22:23], v[26:27], v[18:19]
	v_mul_f64_e32 v[14:15], v[18:19], v[18:19]
	v_add_f64_e64 v[34:35], v[10:11], -v[24:25]
	v_add_f64_e32 v[36:37], v[24:25], v[24:25]
	v_mul_f64_e32 v[20:21], v[30:31], v[24:25]
	v_mul_f64_e32 v[12:13], v[24:25], v[24:25]
	;; [unrolled: 1-line block ×8, first 2 shown]
.LBB55_11:                              ; =>This Inner Loop Header: Depth=1
	v_cmp_nlt_f64_e32 vcc_lo, v[8:9], v[16:17]
	s_wait_alu 0xfffd
	v_dual_cndmask_b32 v33, v9, v17 :: v_dual_cndmask_b32 v32, v8, v16
	v_dual_cndmask_b32 v9, v17, v9 :: v_dual_cndmask_b32 v8, v16, v8
	s_delay_alu instid0(VALU_DEP_2) | instskip(SKIP_1) | instid1(VALU_DEP_1)
	v_cmp_nlt_f64_e64 s1, v[32:33], v[22:23]
	s_wait_alu 0xf1ff
	v_cndmask_b32_e64 v35, v33, v23, s1
	v_cndmask_b32_e64 v34, v32, v22, s1
	;; [unrolled: 1-line block ×4, first 2 shown]
	s_and_b32 s1, vcc_lo, s1
	s_delay_alu instid0(VALU_DEP_3) | instskip(SKIP_1) | instid1(VALU_DEP_1)
	v_cmp_nlt_f64_e64 s2, v[34:35], v[20:21]
	s_wait_alu 0xf1ff
	v_cndmask_b32_e64 v37, v35, v21, s2
	v_cndmask_b32_e64 v36, v34, v20, s2
	;; [unrolled: 1-line block ×4, first 2 shown]
	s_delay_alu instid0(VALU_DEP_3) | instskip(SKIP_1) | instid1(VALU_DEP_1)
	v_cmp_nlt_f64_e64 s3, v[36:37], v[14:15]
	s_wait_alu 0xf1ff
	v_cndmask_b32_e64 v39, v37, v15, s3
	v_cndmask_b32_e64 v38, v36, v14, s3
	;; [unrolled: 1-line block ×4, first 2 shown]
	s_and_b32 s2, s2, s3
	s_delay_alu instid0(VALU_DEP_3) | instskip(SKIP_1) | instid1(VALU_DEP_1)
	v_cmp_nlt_f64_e64 s4, v[38:39], v[12:13]
	s_wait_alu 0xf1ff
	v_cndmask_b32_e64 v49, v39, v13, s4
	v_cndmask_b32_e64 v48, v38, v12, s4
	;; [unrolled: 1-line block ×4, first 2 shown]
	s_delay_alu instid0(VALU_DEP_3) | instskip(SKIP_1) | instid1(VALU_DEP_1)
	v_cmp_nlt_f64_e64 s5, v[48:49], v[18:19]
	s_wait_alu 0xf1ff
	v_cndmask_b32_e64 v51, v49, v19, s5
	v_cndmask_b32_e64 v50, v48, v18, s5
	s_and_b32 s3, s4, s5
	v_cndmask_b32_e64 v13, v19, v49, s5
	v_cndmask_b32_e64 v12, v18, v48, s5
	s_delay_alu instid0(VALU_DEP_3) | instskip(SKIP_1) | instid1(VALU_DEP_1)
	v_cmp_nlt_f64_e64 s6, v[50:51], v[26:27]
	s_wait_alu 0xf1ff
	v_cndmask_b32_e64 v53, v51, v27, s6
	v_cndmask_b32_e64 v52, v50, v26, s6
	s_wait_alu 0xfffe
	s_and_b32 s3, s3, s6
	v_cndmask_b32_e64 v19, v27, v51, s6
	v_cndmask_b32_e64 v18, v26, v50, s6
	v_cmp_nlt_f64_e64 s7, v[52:53], v[10:11]
	s_wait_alu 0xf1ff
	s_delay_alu instid0(VALU_DEP_1)
	v_cndmask_b32_e64 v55, v53, v11, s7
	v_cndmask_b32_e64 v54, v52, v10, s7
	s_wait_alu 0xfffe
	s_and_b32 s3, s3, s7
	v_cndmask_b32_e64 v27, v11, v53, s7
	v_cndmask_b32_e64 v26, v10, v52, s7
	v_cmp_nlt_f64_e64 s8, v[54:55], v[24:25]
	s_wait_alu 0xf1ff
	s_delay_alu instid0(VALU_DEP_1)
	;; [unrolled: 9-line block ×4, first 2 shown]
	v_cndmask_b32_e64 v33, v67, v31, s10
	v_cndmask_b32_e64 v32, v66, v30, s10
	s_wait_alu 0xfffe
	s_and_b32 s3, s3, s10
	v_cndmask_b32_e64 v29, v31, v67, s10
	s_wait_alu 0xfffe
	s_and_b32 s2, s3, s2
	;; [unrolled: 3-line block ×3, first 2 shown]
	v_dual_mov_b32 v30, v32 :: v_dual_mov_b32 v31, v33
	s_wait_alu 0xfffe
	s_and_b32 s1, exec_lo, s1
	s_wait_alu 0xfffe
	s_or_b32 s17, s1, s17
	s_wait_alu 0xfffe
	s_and_not1_b32 exec_lo, exec_lo, s17
	s_cbranch_execnz .LBB55_11
; %bb.12:
	s_or_b32 exec_lo, exec_lo, s17
	v_add_f64_e32 v[8:9], -1.0, v[8:9]
	s_mov_b32 s3, 0x3fe55555
	s_mov_b32 s2, 0x55555555
	;; [unrolled: 1-line block ×8, first 2 shown]
	v_cmp_eq_f64_e64 s1, 0, v[2:3]
	s_delay_alu instid0(VALU_DEP_2) | instskip(NEXT) | instid1(VALU_DEP_1)
	v_add_f64_e32 v[8:9], v[8:9], v[16:17]
	v_add_f64_e32 v[8:9], v[8:9], v[22:23]
	s_delay_alu instid0(VALU_DEP_1) | instskip(NEXT) | instid1(VALU_DEP_1)
	v_add_f64_e32 v[8:9], v[8:9], v[20:21]
	v_add_f64_e32 v[8:9], v[8:9], v[14:15]
	s_delay_alu instid0(VALU_DEP_1) | instskip(NEXT) | instid1(VALU_DEP_1)
	;; [unrolled: 3-line block ×5, first 2 shown]
	v_add_f64_e32 v[8:9], v[32:33], v[8:9]
	v_add_f64_e32 v[10:11], 1.0, v[8:9]
	s_delay_alu instid0(VALU_DEP_1) | instskip(SKIP_3) | instid1(VALU_DEP_3)
	v_frexp_mant_f64_e32 v[12:13], v[10:11]
	v_frexp_exp_i32_f64_e32 v16, v[10:11]
	v_add_f64_e32 v[14:15], -1.0, v[10:11]
	s_wait_alu 0xfffe
	v_cmp_gt_f64_e32 vcc_lo, s[2:3], v[12:13]
	s_mov_b32 s2, 0x55555780
	s_delay_alu instid0(VALU_DEP_2) | instskip(SKIP_3) | instid1(VALU_DEP_3)
	v_add_f64_e64 v[12:13], v[14:15], -v[10:11]
	v_add_f64_e64 v[14:15], v[8:9], -v[14:15]
	s_wait_alu 0xfffd
	v_subrev_co_ci_u32_e64 v48, null, 0, v16, vcc_lo
	v_add_f64_e32 v[12:13], 1.0, v[12:13]
	s_delay_alu instid0(VALU_DEP_2) | instskip(NEXT) | instid1(VALU_DEP_1)
	v_sub_nc_u32_e32 v18, 0, v48
	v_ldexp_f64 v[10:11], v[10:11], v18
	s_delay_alu instid0(VALU_DEP_3) | instskip(NEXT) | instid1(VALU_DEP_2)
	v_add_f64_e32 v[12:13], v[14:15], v[12:13]
	v_add_f64_e32 v[16:17], 1.0, v[10:11]
	v_add_f64_e32 v[22:23], -1.0, v[10:11]
	s_delay_alu instid0(VALU_DEP_3) | instskip(NEXT) | instid1(VALU_DEP_3)
	v_ldexp_f64 v[12:13], v[12:13], v18
	v_add_f64_e32 v[14:15], -1.0, v[16:17]
	s_delay_alu instid0(VALU_DEP_3) | instskip(NEXT) | instid1(VALU_DEP_2)
	v_add_f64_e32 v[24:25], 1.0, v[22:23]
	v_add_f64_e64 v[14:15], v[10:11], -v[14:15]
	s_delay_alu instid0(VALU_DEP_2) | instskip(NEXT) | instid1(VALU_DEP_2)
	v_add_f64_e64 v[10:11], v[10:11], -v[24:25]
	v_add_f64_e32 v[14:15], v[12:13], v[14:15]
	s_delay_alu instid0(VALU_DEP_2) | instskip(NEXT) | instid1(VALU_DEP_2)
	v_add_f64_e32 v[10:11], v[12:13], v[10:11]
	v_add_f64_e32 v[18:19], v[16:17], v[14:15]
	s_delay_alu instid0(VALU_DEP_2) | instskip(NEXT) | instid1(VALU_DEP_2)
	v_add_f64_e32 v[24:25], v[22:23], v[10:11]
	v_rcp_f64_e32 v[20:21], v[18:19]
	v_add_f64_e64 v[16:17], v[18:19], -v[16:17]
	s_delay_alu instid0(VALU_DEP_2) | instskip(NEXT) | instid1(VALU_DEP_2)
	v_add_f64_e64 v[22:23], v[24:25], -v[22:23]
	v_add_f64_e64 v[14:15], v[14:15], -v[16:17]
	s_delay_alu instid0(TRANS32_DEP_1) | instskip(NEXT) | instid1(VALU_DEP_3)
	v_fma_f64 v[26:27], -v[18:19], v[20:21], 1.0
	v_add_f64_e64 v[10:11], v[10:11], -v[22:23]
	s_delay_alu instid0(VALU_DEP_2) | instskip(NEXT) | instid1(VALU_DEP_1)
	v_fma_f64 v[20:21], v[26:27], v[20:21], v[20:21]
	v_fma_f64 v[12:13], -v[18:19], v[20:21], 1.0
	s_delay_alu instid0(VALU_DEP_1) | instskip(NEXT) | instid1(VALU_DEP_1)
	v_fma_f64 v[12:13], v[12:13], v[20:21], v[20:21]
	v_mul_f64_e32 v[20:21], v[24:25], v[12:13]
	s_delay_alu instid0(VALU_DEP_1) | instskip(NEXT) | instid1(VALU_DEP_1)
	v_mul_f64_e32 v[26:27], v[18:19], v[20:21]
	v_fma_f64 v[16:17], v[20:21], v[18:19], -v[26:27]
	s_delay_alu instid0(VALU_DEP_1) | instskip(NEXT) | instid1(VALU_DEP_1)
	v_fma_f64 v[16:17], v[20:21], v[14:15], v[16:17]
	v_add_f64_e32 v[28:29], v[26:27], v[16:17]
	s_delay_alu instid0(VALU_DEP_1) | instskip(SKIP_2) | instid1(VALU_DEP_3)
	v_add_f64_e64 v[30:31], v[24:25], -v[28:29]
	v_add_f64_e64 v[22:23], v[28:29], -v[26:27]
	v_max_num_f64_e64 v[26:27], |v[2:3]|, |v[2:3]|
	v_add_f64_e64 v[24:25], v[24:25], -v[30:31]
	s_delay_alu instid0(VALU_DEP_3) | instskip(NEXT) | instid1(VALU_DEP_2)
	v_add_f64_e64 v[16:17], v[22:23], -v[16:17]
	v_add_f64_e64 v[24:25], v[24:25], -v[28:29]
	v_max_num_f64_e64 v[28:29], |v[0:1]|, |v[0:1]|
	s_delay_alu instid0(VALU_DEP_2) | instskip(NEXT) | instid1(VALU_DEP_2)
	v_add_f64_e32 v[10:11], v[10:11], v[24:25]
	v_max_num_f64_e32 v[32:33], v[28:29], v[26:27]
	v_min_num_f64_e32 v[26:27], v[28:29], v[26:27]
	s_delay_alu instid0(VALU_DEP_3) | instskip(NEXT) | instid1(VALU_DEP_1)
	v_add_f64_e32 v[10:11], v[16:17], v[10:11]
	v_add_f64_e32 v[16:17], v[30:31], v[10:11]
	s_delay_alu instid0(VALU_DEP_1) | instskip(SKIP_1) | instid1(VALU_DEP_2)
	v_mul_f64_e32 v[22:23], v[12:13], v[16:17]
	v_add_f64_e64 v[30:31], v[30:31], -v[16:17]
	v_mul_f64_e32 v[24:25], v[18:19], v[22:23]
	s_delay_alu instid0(VALU_DEP_2) | instskip(NEXT) | instid1(VALU_DEP_2)
	v_add_f64_e32 v[10:11], v[10:11], v[30:31]
	v_fma_f64 v[18:19], v[22:23], v[18:19], -v[24:25]
	s_delay_alu instid0(VALU_DEP_1) | instskip(SKIP_1) | instid1(VALU_DEP_2)
	v_fma_f64 v[14:15], v[22:23], v[14:15], v[18:19]
	v_div_scale_f64 v[18:19], null, v[32:33], v[32:33], v[26:27]
	v_add_f64_e32 v[28:29], v[24:25], v[14:15]
	s_delay_alu instid0(VALU_DEP_2) | instskip(NEXT) | instid1(VALU_DEP_1)
	v_rcp_f64_e32 v[34:35], v[18:19]
	v_add_f64_e64 v[36:37], v[16:17], -v[28:29]
	v_add_f64_e64 v[24:25], v[28:29], -v[24:25]
	s_delay_alu instid0(TRANS32_DEP_1) | instskip(NEXT) | instid1(VALU_DEP_3)
	v_fma_f64 v[38:39], -v[18:19], v[34:35], 1.0
	v_add_f64_e64 v[16:17], v[16:17], -v[36:37]
	s_delay_alu instid0(VALU_DEP_3) | instskip(NEXT) | instid1(VALU_DEP_3)
	v_add_f64_e64 v[14:15], v[24:25], -v[14:15]
	v_fma_f64 v[34:35], v[34:35], v[38:39], v[34:35]
	s_delay_alu instid0(VALU_DEP_3) | instskip(NEXT) | instid1(VALU_DEP_2)
	v_add_f64_e64 v[16:17], v[16:17], -v[28:29]
	v_fma_f64 v[28:29], -v[18:19], v[34:35], 1.0
	s_delay_alu instid0(VALU_DEP_2) | instskip(SKIP_1) | instid1(VALU_DEP_3)
	v_add_f64_e32 v[10:11], v[10:11], v[16:17]
	v_div_scale_f64 v[16:17], vcc_lo, v[26:27], v[32:33], v[26:27]
	v_fma_f64 v[24:25], v[34:35], v[28:29], v[34:35]
	v_add_f64_e32 v[28:29], v[20:21], v[22:23]
	s_delay_alu instid0(VALU_DEP_4) | instskip(NEXT) | instid1(VALU_DEP_3)
	v_add_f64_e32 v[10:11], v[14:15], v[10:11]
	v_mul_f64_e32 v[14:15], v[16:17], v[24:25]
	s_delay_alu instid0(VALU_DEP_3) | instskip(NEXT) | instid1(VALU_DEP_3)
	v_add_f64_e64 v[20:21], v[28:29], -v[20:21]
	v_add_f64_e32 v[10:11], v[36:37], v[10:11]
	s_delay_alu instid0(VALU_DEP_3) | instskip(NEXT) | instid1(VALU_DEP_3)
	v_fma_f64 v[16:17], -v[18:19], v[14:15], v[16:17]
	v_add_f64_e64 v[18:19], v[22:23], -v[20:21]
	s_delay_alu instid0(VALU_DEP_3) | instskip(SKIP_1) | instid1(VALU_DEP_3)
	v_mul_f64_e32 v[10:11], v[12:13], v[10:11]
	s_wait_alu 0xfffd
	v_div_fmas_f64 v[12:13], v[16:17], v[24:25], v[14:15]
	v_cmp_gt_i32_e32 vcc_lo, 0, v1
	s_delay_alu instid0(VALU_DEP_3) | instskip(NEXT) | instid1(VALU_DEP_3)
	v_add_f64_e32 v[10:11], v[18:19], v[10:11]
	v_div_fixup_f64 v[12:13], v[12:13], v[32:33], v[26:27]
	s_delay_alu instid0(VALU_DEP_2) | instskip(NEXT) | instid1(VALU_DEP_2)
	v_add_f64_e32 v[14:15], v[28:29], v[10:11]
	v_mul_f64_e32 v[16:17], v[12:13], v[12:13]
	s_delay_alu instid0(VALU_DEP_2) | instskip(NEXT) | instid1(VALU_DEP_2)
	v_mul_f64_e32 v[18:19], v[14:15], v[14:15]
	v_fma_f64 v[20:21], v[16:17], s[6:7], s[4:5]
	s_mov_b32 s4, 0xbf559e2b
	s_mov_b32 s5, 0x3fc3ab76
	s_wait_alu 0xfffe
	s_delay_alu instid0(VALU_DEP_2) | instskip(SKIP_4) | instid1(VALU_DEP_3)
	v_fma_f64 v[22:23], v[18:19], s[4:5], s[8:9]
	s_mov_b32 s4, 0x69efb384
	s_mov_b32 s5, 0x3f4b2bb0
	v_mul_f64_e32 v[24:25], v[14:15], v[18:19]
	s_wait_alu 0xfffe
	v_fma_f64 v[20:21], v[16:17], v[20:21], s[4:5]
	s_mov_b32 s4, 0xd7f4df2e
	s_mov_b32 s5, 0x3fc7474d
	s_wait_alu 0xfffe
	s_delay_alu instid0(VALU_DEP_3) | instskip(SKIP_3) | instid1(VALU_DEP_2)
	v_fma_f64 v[22:23], v[18:19], v[22:23], s[4:5]
	s_mov_b32 s4, 0xaf56de9b
	s_mov_b32 s5, 0xbf67952d
	s_wait_alu 0xfffe
	v_fma_f64 v[20:21], v[16:17], v[20:21], s[4:5]
	s_mov_b32 s4, 0x16291751
	s_mov_b32 s5, 0x3fcc71c0
	s_wait_alu 0xfffe
	s_delay_alu instid0(VALU_DEP_2) | instskip(SKIP_3) | instid1(VALU_DEP_2)
	v_fma_f64 v[22:23], v[18:19], v[22:23], s[4:5]
	s_mov_b32 s4, 0xa595c56f
	s_mov_b32 s5, 0x3f7d6d43
	s_wait_alu 0xfffe
	v_fma_f64 v[20:21], v[16:17], v[20:21], s[4:5]
	s_mov_b32 s4, 0x9b27acf1
	s_mov_b32 s5, 0x3fd24924
	s_wait_alu 0xfffe
	s_delay_alu instid0(VALU_DEP_2) | instskip(SKIP_3) | instid1(VALU_DEP_2)
	v_fma_f64 v[22:23], v[18:19], v[22:23], s[4:5]
	s_mov_b32 s4, 0xa57d9582
	s_mov_b32 s5, 0xbf8c6ea4
	s_wait_alu 0xfffe
	v_fma_f64 v[20:21], v[16:17], v[20:21], s[4:5]
	s_mov_b32 s4, 0x998ef7b6
	s_mov_b32 s5, 0x3fd99999
	s_wait_alu 0xfffe
	s_delay_alu instid0(VALU_DEP_2) | instskip(SKIP_3) | instid1(VALU_DEP_2)
	v_fma_f64 v[22:23], v[18:19], v[22:23], s[4:5]
	s_mov_b32 s4, 0x5f08b19f
	s_mov_b32 s5, 0x3f967e29
	s_wait_alu 0xfffe
	v_fma_f64 v[20:21], v[16:17], v[20:21], s[4:5]
	s_mov_b32 s4, 0xfefa39ef
	s_mov_b32 s5, 0x3fe62e42
	s_delay_alu instid0(VALU_DEP_2) | instskip(SKIP_4) | instid1(VALU_DEP_3)
	v_fma_f64 v[18:19], v[18:19], v[22:23], s[2:3]
	s_mov_b32 s2, 0xfc27006a
	s_mov_b32 s3, 0xbf9e9ae6
	v_ldexp_f64 v[22:23], v[14:15], 1
	s_wait_alu 0xfffe
	v_fma_f64 v[20:21], v[16:17], v[20:21], s[2:3]
	s_mov_b32 s2, 0x5711927a
	s_mov_b32 s3, 0x3fa2c15b
	v_add_f64_e64 v[14:15], v[14:15], -v[28:29]
	s_delay_alu instid0(VALU_DEP_4) | instskip(SKIP_2) | instid1(VALU_DEP_4)
	v_mul_f64_e32 v[18:19], v[24:25], v[18:19]
	v_cvt_f64_i32_e32 v[24:25], v48
	s_wait_alu 0xfffe
	v_fma_f64 v[20:21], v[16:17], v[20:21], s[2:3]
	s_mov_b32 s2, 0xe82d3ff0
	s_mov_b32 s3, 0xbfa59976
	s_delay_alu instid0(VALU_DEP_4) | instskip(NEXT) | instid1(VALU_DEP_4)
	v_add_f64_e64 v[10:11], v[10:11], -v[14:15]
	v_add_f64_e32 v[26:27], v[22:23], v[18:19]
	s_delay_alu instid0(VALU_DEP_4) | instskip(SKIP_1) | instid1(VALU_DEP_4)
	v_mul_f64_e32 v[28:29], s[4:5], v[24:25]
	s_wait_alu 0xfffe
	v_fma_f64 v[20:21], v[16:17], v[20:21], s[2:3]
	s_mov_b32 s2, 0x6ef28734
	s_mov_b32 s3, 0x3fa82d5d
	s_delay_alu instid0(VALU_DEP_4) | instskip(NEXT) | instid1(VALU_DEP_4)
	v_ldexp_f64 v[10:11], v[10:11], 1
	v_add_f64_e64 v[14:15], v[26:27], -v[22:23]
	s_delay_alu instid0(VALU_DEP_4)
	v_fma_f64 v[22:23], v[24:25], s[4:5], -v[28:29]
	v_cmp_class_f64_e64 s5, v[0:1], 0x204
	v_mov_b32_e32 v0, 0x4002d97c
	s_wait_alu 0xfffe
	v_fma_f64 v[20:21], v[16:17], v[20:21], s[2:3]
	s_mov_b32 s2, 0x6a214619
	s_mov_b32 s3, 0xbfaae5ce
	v_cmp_class_f64_e64 s4, v[2:3], 0x204
	s_wait_alu 0xfffd
	v_cndmask_b32_e32 v0, 0x3fe921fb, v0, vcc_lo
	s_delay_alu instid0(VALU_DEP_1)
	v_bfi_b32 v0, 0x7fffffff, v0, v3
	v_add_f64_e64 v[14:15], v[18:19], -v[14:15]
	s_wait_alu 0xfffe
	v_fma_f64 v[18:19], v[16:17], v[20:21], s[2:3]
	s_mov_b32 s2, 0x3b39803f
	s_mov_b32 s3, 0x3c7abc9e
	s_wait_alu 0xfffe
	v_fma_f64 v[20:21], v[24:25], s[2:3], v[22:23]
	s_mov_b32 s2, 0x8427b883
	s_mov_b32 s3, 0x3fae1bb4
	s_delay_alu instid0(VALU_DEP_3) | instskip(SKIP_1) | instid1(VALU_DEP_3)
	v_add_f64_e32 v[10:11], v[10:11], v[14:15]
	s_wait_alu 0xfffe
	v_fma_f64 v[14:15], v[16:17], v[18:19], s[2:3]
	s_mov_b32 s2, 0x8b207f05
	s_mov_b32 s3, 0xbfb110e4
	s_delay_alu instid0(VALU_DEP_3) | instskip(NEXT) | instid1(VALU_DEP_3)
	v_add_f64_e32 v[18:19], v[28:29], v[20:21]
	v_add_f64_e32 v[22:23], v[26:27], v[10:11]
	s_wait_alu 0xfffe
	s_delay_alu instid0(VALU_DEP_3) | instskip(SKIP_2) | instid1(VALU_DEP_3)
	v_fma_f64 v[14:15], v[16:17], v[14:15], s[2:3]
	s_mov_b32 s2, 0x57b87036
	s_mov_b32 s3, 0x3fb3b136
	v_add_f64_e64 v[28:29], v[18:19], -v[28:29]
	s_delay_alu instid0(VALU_DEP_3) | instskip(SKIP_2) | instid1(VALU_DEP_4)
	v_add_f64_e32 v[24:25], v[18:19], v[22:23]
	v_add_f64_e64 v[26:27], v[22:23], -v[26:27]
	s_wait_alu 0xfffe
	v_fma_f64 v[14:15], v[16:17], v[14:15], s[2:3]
	s_mov_b32 s2, 0x19378e4f
	s_mov_b32 s3, 0xbfb745d1
	s_delay_alu instid0(VALU_DEP_4) | instskip(NEXT) | instid1(VALU_DEP_4)
	v_add_f64_e64 v[20:21], v[20:21], -v[28:29]
	v_add_f64_e64 v[30:31], v[24:25], -v[18:19]
	s_delay_alu instid0(VALU_DEP_4) | instskip(SKIP_1) | instid1(VALU_DEP_4)
	v_add_f64_e64 v[10:11], v[10:11], -v[26:27]
	s_wait_alu 0xfffe
	v_fma_f64 v[14:15], v[16:17], v[14:15], s[2:3]
	s_mov_b32 s2, 0x17e1913c
	s_mov_b32 s3, 0x3fbc71c7
	s_delay_alu instid0(VALU_DEP_3) | instskip(SKIP_1) | instid1(VALU_DEP_4)
	v_add_f64_e64 v[32:33], v[24:25], -v[30:31]
	v_add_f64_e64 v[22:23], v[22:23], -v[30:31]
	v_add_f64_e32 v[26:27], v[20:21], v[10:11]
	s_wait_alu 0xfffe
	s_delay_alu instid0(VALU_DEP_4) | instskip(SKIP_2) | instid1(VALU_DEP_4)
	v_fma_f64 v[14:15], v[16:17], v[14:15], s[2:3]
	s_mov_b32 s2, 0x92376b7d
	s_mov_b32 s3, 0xbfc24924
	v_add_f64_e64 v[18:19], v[18:19], -v[32:33]
	s_wait_alu 0xfffe
	s_delay_alu instid0(VALU_DEP_2) | instskip(SKIP_2) | instid1(VALU_DEP_2)
	v_fma_f64 v[14:15], v[16:17], v[14:15], s[2:3]
	s_mov_b32 s2, 0x999952cc
	s_mov_b32 s3, 0x3fc99999
	v_add_f64_e32 v[18:19], v[22:23], v[18:19]
	v_add_f64_e64 v[22:23], v[26:27], -v[20:21]
	s_wait_alu 0xfffe
	s_delay_alu instid0(VALU_DEP_3) | instskip(SKIP_2) | instid1(VALU_DEP_3)
	v_fma_f64 v[14:15], v[16:17], v[14:15], s[2:3]
	s_mov_b32 s2, 0x55555523
	s_mov_b32 s3, 0xbfd55555
	v_add_f64_e32 v[18:19], v[26:27], v[18:19]
	s_delay_alu instid0(VALU_DEP_3) | instskip(SKIP_2) | instid1(VALU_DEP_4)
	v_add_f64_e64 v[26:27], v[26:27], -v[22:23]
	v_add_f64_e64 v[10:11], v[10:11], -v[22:23]
	s_wait_alu 0xfffe
	v_fma_f64 v[14:15], v[16:17], v[14:15], s[2:3]
	s_mov_b32 s2, 0x54442d18
	s_mov_b32 s3, 0x3ff921fb
	s_delay_alu instid0(VALU_DEP_4) | instskip(NEXT) | instid1(VALU_DEP_2)
	v_add_f64_e32 v[28:29], v[24:25], v[18:19]
	v_mul_f64_e32 v[14:15], v[16:17], v[14:15]
	v_add_f64_e64 v[16:17], v[20:21], -v[26:27]
	s_delay_alu instid0(VALU_DEP_3) | instskip(NEXT) | instid1(VALU_DEP_3)
	v_add_f64_e64 v[20:21], v[28:29], -v[24:25]
	v_fma_f64 v[12:13], v[12:13], v[14:15], v[12:13]
	s_delay_alu instid0(VALU_DEP_3) | instskip(NEXT) | instid1(VALU_DEP_3)
	v_add_f64_e32 v[10:11], v[10:11], v[16:17]
	v_add_f64_e64 v[14:15], v[18:19], -v[20:21]
	s_wait_alu 0xfffe
	s_delay_alu instid0(VALU_DEP_3) | instskip(SKIP_1) | instid1(VALU_DEP_2)
	v_add_f64_e64 v[16:17], -v[12:13], s[2:3]
	s_mov_b32 s3, 0x400921fb
	v_add_f64_e32 v[10:11], v[10:11], v[14:15]
	s_delay_alu instid0(VALU_DEP_2) | instskip(NEXT) | instid1(VALU_DEP_3)
	v_cndmask_b32_e64 v13, v13, v17, s0
	v_cndmask_b32_e64 v12, v12, v16, s0
	v_ashrrev_i32_e32 v17, 31, v1
	s_wait_alu 0xfffe
	s_delay_alu instid0(VALU_DEP_2)
	v_add_f64_e64 v[14:15], -v[12:13], s[2:3]
	v_mov_b32_e32 v16, 0x7f3321d2
	v_cmp_neq_f64_e64 s3, 0x7ff00000, v[8:9]
	v_cmp_nge_f64_e64 s2, -1.0, v[8:9]
	v_and_b32_e32 v1, 0x400921fb, v17
	v_add_f64_e32 v[10:11], v[28:29], v[10:11]
	v_dual_cndmask_b32 v12, v12, v14 :: v_dual_cndmask_b32 v13, v13, v15
	v_cndmask_b32_e32 v16, 0x54442d18, v16, vcc_lo
	v_cmp_ngt_f64_e32 vcc_lo, -1.0, v[8:9]
	s_wait_alu 0xf1ff
	s_delay_alu instid0(VALU_DEP_3) | instskip(SKIP_1) | instid1(VALU_DEP_1)
	v_cndmask_b32_e64 v1, v13, v1, s1
	v_mul_f64_e32 v[10:11], 0.5, v[10:11]
	v_cndmask_b32_e64 v11, 0x7ff00000, v11, s3
	s_wait_alu 0xfffd
	s_delay_alu instid0(VALU_DEP_1) | instskip(SKIP_3) | instid1(VALU_DEP_1)
	v_cndmask_b32_e32 v11, 0x7ff80000, v11, vcc_lo
	s_and_b32 vcc_lo, s5, s4
	s_wait_alu 0xfffe
	v_dual_cndmask_b32 v15, v1, v0 :: v_dual_and_b32 v18, 0x54442d18, v17
	v_cndmask_b32_e64 v14, v12, v18, s1
	s_and_b32 s1, s2, s3
	s_wait_alu 0xfffe
	v_cndmask_b32_e64 v12, 0, v10, s1
	v_cmp_neq_f64_e64 s1, -1.0, v[8:9]
	v_cndmask_b32_e32 v14, v14, v16, vcc_lo
	s_wait_alu 0xf1ff
	s_delay_alu instid0(VALU_DEP_2)
	v_cndmask_b32_e64 v13, 0xfff00000, v11, s1
.LBB55_13:
	s_wait_alu 0xfffe
	s_or_b32 exec_lo, exec_lo, s16
.LBB55_14:
	s_wait_alu 0xfffe
	s_or_b32 exec_lo, exec_lo, s15
                                        ; implicit-def: $vgpr0_vgpr1
.LBB55_15:
	s_wait_alu 0xfffe
	s_and_not1_saveexec_b32 s4, s14
	s_cbranch_execz .LBB55_17
; %bb.16:
	v_max_num_f64_e64 v[8:9], |v[2:3]|, |v[2:3]|
	v_max_num_f64_e64 v[10:11], |v[0:1]|, |v[0:1]|
	v_cmp_class_f64_e64 s5, v[0:1], 0x204
	v_cmp_class_f64_e64 s6, v[2:3], 0x204
	s_mov_b32 s3, 0x3fe55555
	s_mov_b32 s2, 0x55555555
	;; [unrolled: 1-line block ×6, first 2 shown]
	v_max_num_f64_e32 v[12:13], v[10:11], v[8:9]
	v_min_num_f64_e32 v[8:9], v[10:11], v[8:9]
	s_or_b32 s1, s5, s6
	s_delay_alu instid0(VALU_DEP_2) | instskip(NEXT) | instid1(VALU_DEP_1)
	v_frexp_exp_i32_f64_e32 v22, v[12:13]
	v_sub_nc_u32_e32 v16, 0, v22
	s_delay_alu instid0(VALU_DEP_1) | instskip(SKIP_1) | instid1(VALU_DEP_2)
	v_ldexp_f64 v[14:15], |v[2:3]|, v16
	v_ldexp_f64 v[16:17], |v[0:1]|, v16
	v_mul_f64_e32 v[14:15], v[14:15], v[14:15]
	s_delay_alu instid0(VALU_DEP_1) | instskip(NEXT) | instid1(VALU_DEP_1)
	v_fma_f64 v[14:15], v[16:17], v[16:17], v[14:15]
	v_rsq_f64_e32 v[16:17], v[14:15]
	v_cmp_eq_f64_e32 vcc_lo, 0, v[14:15]
	s_delay_alu instid0(TRANS32_DEP_1) | instskip(SKIP_1) | instid1(VALU_DEP_1)
	v_mul_f64_e32 v[18:19], v[14:15], v[16:17]
	v_mul_f64_e32 v[16:17], 0.5, v[16:17]
	v_fma_f64 v[20:21], -v[16:17], v[18:19], 0.5
	s_delay_alu instid0(VALU_DEP_1) | instskip(SKIP_1) | instid1(VALU_DEP_2)
	v_fma_f64 v[18:19], v[18:19], v[20:21], v[18:19]
	v_fma_f64 v[16:17], v[16:17], v[20:21], v[16:17]
	v_fma_f64 v[20:21], -v[18:19], v[18:19], v[14:15]
	s_delay_alu instid0(VALU_DEP_1) | instskip(SKIP_1) | instid1(VALU_DEP_1)
	v_fma_f64 v[16:17], v[20:21], v[16:17], v[18:19]
	s_wait_alu 0xfffd
	v_dual_cndmask_b32 v15, v17, v15 :: v_dual_cndmask_b32 v14, v16, v14
	v_div_scale_f64 v[34:35], vcc_lo, v[8:9], v[12:13], v[8:9]
	s_delay_alu instid0(VALU_DEP_2) | instskip(SKIP_1) | instid1(VALU_DEP_1)
	v_ldexp_f64 v[14:15], v[14:15], v22
	s_wait_alu 0xfffe
	v_cndmask_b32_e64 v17, v15, 0x7ff00000, s1
	s_delay_alu instid0(VALU_DEP_2) | instskip(NEXT) | instid1(VALU_DEP_1)
	v_cndmask_b32_e64 v16, v14, 0, s1
	v_frexp_mant_f64_e32 v[14:15], v[16:17]
	s_delay_alu instid0(VALU_DEP_1) | instskip(SKIP_3) | instid1(VALU_DEP_1)
	v_cmp_gt_f64_e64 s1, s[2:3], v[14:15]
	s_mov_b32 s2, 0x55555780
	s_wait_alu 0xf1ff
	v_cndmask_b32_e64 v0, 0, 1, s1
	v_ldexp_f64 v[14:15], v[14:15], v0
	v_frexp_exp_i32_f64_e32 v0, v[16:17]
	s_delay_alu instid0(VALU_DEP_2) | instskip(SKIP_1) | instid1(VALU_DEP_3)
	v_add_f64_e32 v[18:19], 1.0, v[14:15]
	v_add_f64_e32 v[24:25], -1.0, v[14:15]
	v_subrev_co_ci_u32_e64 v0, null, 0, v0, s1
	v_cmp_class_f64_e64 s1, v[16:17], 0x204
	s_delay_alu instid0(VALU_DEP_4) | instskip(SKIP_1) | instid1(VALU_DEP_1)
	v_rcp_f64_e32 v[20:21], v[18:19]
	v_add_f64_e32 v[26:27], -1.0, v[18:19]
	v_add_f64_e64 v[14:15], v[14:15], -v[26:27]
	s_delay_alu instid0(TRANS32_DEP_1) | instskip(NEXT) | instid1(VALU_DEP_1)
	v_fma_f64 v[22:23], -v[18:19], v[20:21], 1.0
	v_fma_f64 v[20:21], v[22:23], v[20:21], v[20:21]
	s_delay_alu instid0(VALU_DEP_1) | instskip(NEXT) | instid1(VALU_DEP_1)
	v_fma_f64 v[22:23], -v[18:19], v[20:21], 1.0
	v_fma_f64 v[20:21], v[22:23], v[20:21], v[20:21]
	v_div_scale_f64 v[22:23], null, v[12:13], v[12:13], v[8:9]
	s_delay_alu instid0(VALU_DEP_2) | instskip(NEXT) | instid1(VALU_DEP_2)
	v_mul_f64_e32 v[10:11], v[24:25], v[20:21]
	v_rcp_f64_e32 v[30:31], v[22:23]
	s_delay_alu instid0(VALU_DEP_1) | instskip(NEXT) | instid1(TRANS32_DEP_1)
	v_mul_f64_e32 v[28:29], v[18:19], v[10:11]
	v_fma_f64 v[26:27], -v[22:23], v[30:31], 1.0
	s_delay_alu instid0(VALU_DEP_2) | instskip(NEXT) | instid1(VALU_DEP_1)
	v_fma_f64 v[18:19], v[10:11], v[18:19], -v[28:29]
	v_fma_f64 v[14:15], v[10:11], v[14:15], v[18:19]
	s_delay_alu instid0(VALU_DEP_3) | instskip(NEXT) | instid1(VALU_DEP_2)
	v_fma_f64 v[18:19], v[30:31], v[26:27], v[30:31]
	v_add_f64_e32 v[26:27], v[28:29], v[14:15]
	s_delay_alu instid0(VALU_DEP_2) | instskip(NEXT) | instid1(VALU_DEP_2)
	v_fma_f64 v[30:31], -v[22:23], v[18:19], 1.0
	v_add_f64_e64 v[32:33], v[24:25], -v[26:27]
	s_delay_alu instid0(VALU_DEP_2) | instskip(SKIP_1) | instid1(VALU_DEP_3)
	v_fma_f64 v[18:19], v[18:19], v[30:31], v[18:19]
	v_add_f64_e64 v[28:29], v[26:27], -v[28:29]
	v_add_f64_e64 v[24:25], v[24:25], -v[32:33]
	s_delay_alu instid0(VALU_DEP_3) | instskip(NEXT) | instid1(VALU_DEP_3)
	v_mul_f64_e32 v[30:31], v[34:35], v[18:19]
	v_add_f64_e64 v[14:15], v[28:29], -v[14:15]
	s_delay_alu instid0(VALU_DEP_3) | instskip(NEXT) | instid1(VALU_DEP_3)
	v_add_f64_e64 v[24:25], v[24:25], -v[26:27]
	v_fma_f64 v[22:23], -v[22:23], v[30:31], v[34:35]
	s_delay_alu instid0(VALU_DEP_2) | instskip(SKIP_1) | instid1(VALU_DEP_2)
	v_add_f64_e32 v[14:15], v[14:15], v[24:25]
	s_wait_alu 0xfffd
	v_div_fmas_f64 v[18:19], v[22:23], v[18:19], v[30:31]
	v_cmp_gt_i32_e32 vcc_lo, 0, v1
	s_delay_alu instid0(VALU_DEP_3) | instskip(NEXT) | instid1(VALU_DEP_3)
	v_add_f64_e32 v[14:15], v[32:33], v[14:15]
	v_div_fixup_f64 v[8:9], v[18:19], v[12:13], v[8:9]
	s_delay_alu instid0(VALU_DEP_2) | instskip(NEXT) | instid1(VALU_DEP_2)
	v_mul_f64_e32 v[12:13], v[20:21], v[14:15]
	v_mul_f64_e32 v[14:15], v[8:9], v[8:9]
	s_delay_alu instid0(VALU_DEP_2) | instskip(NEXT) | instid1(VALU_DEP_2)
	v_add_f64_e32 v[18:19], v[10:11], v[12:13]
	v_fma_f64 v[20:21], v[14:15], s[14:15], s[8:9]
	s_mov_b32 s14, 0x69efb384
	s_mov_b32 s15, 0x3f4b2bb0
	;; [unrolled: 1-line block ×4, first 2 shown]
	s_delay_alu instid0(VALU_DEP_2) | instskip(SKIP_1) | instid1(VALU_DEP_2)
	v_mul_f64_e32 v[22:23], v[18:19], v[18:19]
	s_wait_alu 0xfffe
	v_fma_f64 v[20:21], v[14:15], v[20:21], s[14:15]
	s_mov_b32 s14, 0xbf559e2b
	s_mov_b32 s15, 0x3fc3ab76
	v_add_f64_e64 v[10:11], v[18:19], -v[10:11]
	s_wait_alu 0xfffe
	s_delay_alu instid0(VALU_DEP_3) | instskip(SKIP_4) | instid1(VALU_DEP_4)
	v_fma_f64 v[24:25], v[22:23], s[14:15], s[8:9]
	s_mov_b32 s8, 0xaf56de9b
	s_mov_b32 s9, 0xbf67952d
	v_mul_f64_e32 v[26:27], v[18:19], v[22:23]
	s_wait_alu 0xfffe
	v_fma_f64 v[20:21], v[14:15], v[20:21], s[8:9]
	s_mov_b32 s8, 0xd7f4df2e
	s_mov_b32 s9, 0x3fc7474d
	s_delay_alu instid0(VALU_DEP_4) | instskip(SKIP_1) | instid1(VALU_DEP_4)
	v_add_f64_e64 v[10:11], v[12:13], -v[10:11]
	s_wait_alu 0xfffe
	v_fma_f64 v[24:25], v[22:23], v[24:25], s[8:9]
	s_mov_b32 s8, 0xa595c56f
	s_mov_b32 s9, 0x3f7d6d43
	s_wait_alu 0xfffe
	s_delay_alu instid0(VALU_DEP_3) | instskip(SKIP_2) | instid1(VALU_DEP_3)
	v_fma_f64 v[20:21], v[14:15], v[20:21], s[8:9]
	s_mov_b32 s8, 0x16291751
	s_mov_b32 s9, 0x3fcc71c0
	v_ldexp_f64 v[10:11], v[10:11], 1
	s_wait_alu 0xfffe
	s_delay_alu instid0(VALU_DEP_3) | instskip(SKIP_3) | instid1(VALU_DEP_3)
	v_fma_f64 v[24:25], v[22:23], v[24:25], s[8:9]
	s_mov_b32 s8, 0xa57d9582
	s_mov_b32 s9, 0xbf8c6ea4
	s_wait_alu 0xfffe
	v_fma_f64 v[20:21], v[14:15], v[20:21], s[8:9]
	s_mov_b32 s8, 0x9b27acf1
	s_mov_b32 s9, 0x3fd24924
	s_wait_alu 0xfffe
	s_delay_alu instid0(VALU_DEP_2) | instskip(SKIP_3) | instid1(VALU_DEP_2)
	v_fma_f64 v[24:25], v[22:23], v[24:25], s[8:9]
	s_mov_b32 s8, 0x5f08b19f
	s_mov_b32 s9, 0x3f967e29
	s_wait_alu 0xfffe
	v_fma_f64 v[20:21], v[14:15], v[20:21], s[8:9]
	s_mov_b32 s8, 0x998ef7b6
	s_mov_b32 s9, 0x3fd99999
	s_wait_alu 0xfffe
	s_delay_alu instid0(VALU_DEP_2) | instskip(SKIP_3) | instid1(VALU_DEP_2)
	v_fma_f64 v[24:25], v[22:23], v[24:25], s[8:9]
	s_mov_b32 s8, 0xfc27006a
	s_mov_b32 s9, 0xbf9e9ae6
	s_wait_alu 0xfffe
	v_fma_f64 v[20:21], v[14:15], v[20:21], s[8:9]
	s_mov_b32 s8, 0x6ef28734
	s_mov_b32 s9, 0x3fa82d5d
	s_delay_alu instid0(VALU_DEP_2) | instskip(SKIP_4) | instid1(VALU_DEP_3)
	v_fma_f64 v[22:23], v[22:23], v[24:25], s[2:3]
	s_mov_b32 s2, 0x5711927a
	s_mov_b32 s3, 0x3fa2c15b
	v_ldexp_f64 v[24:25], v[18:19], 1
	s_wait_alu 0xfffe
	v_fma_f64 v[20:21], v[14:15], v[20:21], s[2:3]
	s_mov_b32 s2, 0xe82d3ff0
	s_mov_b32 s3, 0xbfa59976
	s_delay_alu instid0(VALU_DEP_3) | instskip(SKIP_2) | instid1(VALU_DEP_3)
	v_mul_f64_e32 v[22:23], v[26:27], v[22:23]
	v_cvt_f64_i32_e32 v[26:27], v0
	s_wait_alu 0xfffe
	v_fma_f64 v[20:21], v[14:15], v[20:21], s[2:3]
	s_mov_b32 s2, 0xfefa39ef
	s_mov_b32 s3, 0x3fe62e42
	s_delay_alu instid0(VALU_DEP_3) | instskip(SKIP_1) | instid1(VALU_DEP_3)
	v_add_f64_e32 v[18:19], v[24:25], v[22:23]
	s_wait_alu 0xfffe
	v_mul_f64_e32 v[28:29], s[2:3], v[26:27]
	s_delay_alu instid0(VALU_DEP_3) | instskip(SKIP_2) | instid1(VALU_DEP_3)
	v_fma_f64 v[20:21], v[14:15], v[20:21], s[8:9]
	s_mov_b32 s8, 0x6a214619
	s_mov_b32 s9, 0xbfaae5ce
	v_add_f64_e64 v[12:13], v[18:19], -v[24:25]
	s_delay_alu instid0(VALU_DEP_3) | instskip(SKIP_3) | instid1(VALU_DEP_3)
	v_fma_f64 v[24:25], v[26:27], s[2:3], -v[28:29]
	s_mov_b32 s2, 0x8427b883
	s_mov_b32 s3, 0x3fae1bb4
	s_wait_alu 0xfffe
	v_fma_f64 v[20:21], v[14:15], v[20:21], s[8:9]
	s_mov_b32 s8, 0x3b39803f
	s_mov_b32 s9, 0x3c7abc9e
	s_delay_alu instid0(VALU_DEP_3) | instskip(SKIP_1) | instid1(VALU_DEP_3)
	v_add_f64_e64 v[12:13], v[22:23], -v[12:13]
	s_wait_alu 0xfffe
	v_fma_f64 v[22:23], v[26:27], s[8:9], v[24:25]
	s_delay_alu instid0(VALU_DEP_3) | instskip(SKIP_2) | instid1(VALU_DEP_3)
	v_fma_f64 v[20:21], v[14:15], v[20:21], s[2:3]
	s_mov_b32 s2, 0x8b207f05
	s_mov_b32 s3, 0xbfb110e4
	v_add_f64_e32 v[10:11], v[10:11], v[12:13]
	s_wait_alu 0xfffe
	s_delay_alu instid0(VALU_DEP_2) | instskip(NEXT) | instid1(VALU_DEP_4)
	v_fma_f64 v[12:13], v[14:15], v[20:21], s[2:3]
	v_add_f64_e32 v[20:21], v[28:29], v[22:23]
	s_mov_b32 s2, 0x57b87036
	s_mov_b32 s3, 0x3fb3b136
	s_delay_alu instid0(VALU_DEP_3) | instskip(SKIP_1) | instid1(VALU_DEP_3)
	v_add_f64_e32 v[24:25], v[18:19], v[10:11]
	s_wait_alu 0xfffe
	v_fma_f64 v[12:13], v[14:15], v[12:13], s[2:3]
	s_mov_b32 s2, 0x19378e4f
	s_mov_b32 s3, 0xbfb745d1
	s_delay_alu instid0(VALU_DEP_3) | instskip(NEXT) | instid1(VALU_DEP_3)
	v_add_f64_e64 v[28:29], v[20:21], -v[28:29]
	v_add_f64_e32 v[26:27], v[20:21], v[24:25]
	v_add_f64_e64 v[18:19], v[24:25], -v[18:19]
	s_wait_alu 0xfffe
	s_delay_alu instid0(VALU_DEP_4) | instskip(SKIP_2) | instid1(VALU_DEP_4)
	v_fma_f64 v[12:13], v[14:15], v[12:13], s[2:3]
	s_mov_b32 s2, 0x17e1913c
	s_mov_b32 s3, 0x3fbc71c7
	v_add_f64_e64 v[22:23], v[22:23], -v[28:29]
	s_delay_alu instid0(VALU_DEP_4) | instskip(NEXT) | instid1(VALU_DEP_4)
	v_add_f64_e64 v[30:31], v[26:27], -v[20:21]
	v_add_f64_e64 v[10:11], v[10:11], -v[18:19]
	s_wait_alu 0xfffe
	s_delay_alu instid0(VALU_DEP_4) | instskip(SKIP_2) | instid1(VALU_DEP_3)
	v_fma_f64 v[12:13], v[14:15], v[12:13], s[2:3]
	s_mov_b32 s2, 0x92376b7d
	s_mov_b32 s3, 0xbfc24924
	v_add_f64_e64 v[32:33], v[26:27], -v[30:31]
	v_add_f64_e64 v[18:19], v[24:25], -v[30:31]
	s_delay_alu instid0(VALU_DEP_4) | instskip(SKIP_1) | instid1(VALU_DEP_4)
	v_add_f64_e32 v[24:25], v[22:23], v[10:11]
	s_wait_alu 0xfffe
	v_fma_f64 v[12:13], v[14:15], v[12:13], s[2:3]
	s_mov_b32 s2, 0x999952cc
	s_mov_b32 s3, 0x3fc99999
	s_delay_alu instid0(VALU_DEP_4) | instskip(SKIP_1) | instid1(VALU_DEP_2)
	v_add_f64_e64 v[20:21], v[20:21], -v[32:33]
	s_wait_alu 0xfffe
	v_fma_f64 v[12:13], v[14:15], v[12:13], s[2:3]
	s_mov_b32 s2, 0x55555523
	s_mov_b32 s3, 0xbfd55555
	s_delay_alu instid0(VALU_DEP_2) | instskip(SKIP_2) | instid1(VALU_DEP_3)
	v_add_f64_e32 v[18:19], v[18:19], v[20:21]
	v_add_f64_e64 v[20:21], v[24:25], -v[22:23]
	s_wait_alu 0xfffe
	v_fma_f64 v[12:13], v[14:15], v[12:13], s[2:3]
	s_mov_b32 s2, 0x54442d18
	s_mov_b32 s3, 0x3ff921fb
	s_delay_alu instid0(VALU_DEP_3) | instskip(NEXT) | instid1(VALU_DEP_3)
	v_add_f64_e32 v[18:19], v[24:25], v[18:19]
	v_add_f64_e64 v[10:11], v[10:11], -v[20:21]
	s_delay_alu instid0(VALU_DEP_3) | instskip(SKIP_1) | instid1(VALU_DEP_4)
	v_mul_f64_e32 v[12:13], v[14:15], v[12:13]
	v_add_f64_e64 v[14:15], v[24:25], -v[20:21]
	v_add_f64_e32 v[24:25], v[26:27], v[18:19]
	s_delay_alu instid0(VALU_DEP_3) | instskip(NEXT) | instid1(VALU_DEP_3)
	v_fma_f64 v[8:9], v[8:9], v[12:13], v[8:9]
	v_add_f64_e64 v[12:13], v[22:23], -v[14:15]
	s_delay_alu instid0(VALU_DEP_3) | instskip(SKIP_1) | instid1(VALU_DEP_3)
	v_add_f64_e64 v[14:15], v[24:25], -v[26:27]
	s_wait_alu 0xfffe
	v_add_f64_e64 v[20:21], -v[8:9], s[2:3]
	s_delay_alu instid0(VALU_DEP_3) | instskip(SKIP_1) | instid1(VALU_DEP_3)
	v_add_f64_e32 v[10:11], v[10:11], v[12:13]
	s_mov_b32 s3, 0x400921fb
	v_add_f64_e64 v[12:13], v[18:19], -v[14:15]
	v_ashrrev_i32_e32 v14, 31, v1
	s_delay_alu instid0(VALU_DEP_4) | instskip(SKIP_1) | instid1(VALU_DEP_3)
	v_cndmask_b32_e64 v9, v9, v21, s0
	v_cndmask_b32_e64 v8, v8, v20, s0
	v_and_b32_e32 v15, 0x54442d18, v14
	v_add_f64_e32 v[10:11], v[10:11], v[12:13]
	s_wait_alu 0xfffe
	s_delay_alu instid0(VALU_DEP_3) | instskip(SKIP_3) | instid1(VALU_DEP_3)
	v_add_f64_e64 v[12:13], -v[8:9], s[2:3]
	v_mov_b32_e32 v0, 0x7f3321d2
	v_cmp_eq_f64_e64 s2, 0, v[2:3]
	s_wait_alu 0xfffd
	v_cndmask_b32_e32 v9, v9, v13, vcc_lo
	s_delay_alu instid0(VALU_DEP_3) | instskip(SKIP_3) | instid1(VALU_DEP_2)
	v_cndmask_b32_e32 v18, 0x54442d18, v0, vcc_lo
	v_add_f64_e32 v[0:1], v[24:25], v[10:11]
	v_mov_b32_e32 v10, 0x4002d97c
	v_dual_cndmask_b32 v8, v8, v12 :: v_dual_and_b32 v11, 0x400921fb, v14
	v_cndmask_b32_e32 v10, 0x3fe921fb, v10, vcc_lo
	v_cmp_ngt_f64_e32 vcc_lo, 0, v[16:17]
	s_wait_alu 0xf1ff
	s_delay_alu instid0(VALU_DEP_3)
	v_cndmask_b32_e64 v8, v8, v15, s2
	v_cndmask_b32_e64 v9, v9, v11, s2
	v_bfi_b32 v10, 0x7fffffff, v10, v3
	v_cndmask_b32_e64 v0, v0, v16, s1
	v_cndmask_b32_e64 v1, v1, v17, s1
	v_cmp_nge_f64_e64 s1, 0, v[16:17]
	s_wait_alu 0xfffd
	s_delay_alu instid0(VALU_DEP_2)
	v_cndmask_b32_e32 v1, 0x7ff80000, v1, vcc_lo
	s_and_b32 vcc_lo, s5, s6
	s_wait_alu 0xfffe
	v_cndmask_b32_e32 v15, v9, v10, vcc_lo
	v_cndmask_b32_e32 v14, v8, v18, vcc_lo
	v_cndmask_b32_e64 v12, 0, v0, s1
	v_cmp_neq_f64_e64 s1, 0, v[16:17]
	s_wait_alu 0xf1ff
	s_delay_alu instid0(VALU_DEP_1)
	v_cndmask_b32_e64 v13, 0xfff00000, v1, s1
.LBB55_17:
	s_wait_alu 0xfffe
	s_or_b32 exec_lo, exec_lo, s4
                                        ; implicit-def: $vgpr10_vgpr11
                                        ; implicit-def: $vgpr0_vgpr1
.LBB55_18:
	s_wait_alu 0xfffe
	s_and_not1_saveexec_b32 s4, s13
	s_cbranch_execz .LBB55_24
; %bb.19:
	s_mov_b32 s2, 0x6a3f9475
	s_mov_b32 s3, 0x20ca2fe7
                                        ; implicit-def: $vgpr12_vgpr13
                                        ; implicit-def: $vgpr14_vgpr15
	s_mov_b32 s1, exec_lo
	s_wait_alu 0xfffe
	v_cmpx_ngt_f64_e32 s[2:3], v[10:11]
	s_xor_b32 s5, exec_lo, s1
	s_cbranch_execz .LBB55_21
; %bb.20:
	v_mul_f64_e32 v[8:9], v[10:11], v[10:11]
	s_mov_b32 s3, 0x3fe55555
	s_mov_b32 s2, 0x55555555
	;; [unrolled: 1-line block ×6, first 2 shown]
	v_cmp_eq_f64_e64 s1, 0, v[2:3]
	s_delay_alu instid0(VALU_DEP_2) | instskip(NEXT) | instid1(VALU_DEP_1)
	v_add_f64_e32 v[10:11], 1.0, v[8:9]
	v_frexp_mant_f64_e32 v[12:13], v[10:11]
	v_frexp_exp_i32_f64_e32 v16, v[10:11]
	v_add_f64_e32 v[14:15], -1.0, v[10:11]
	s_wait_alu 0xfffe
	s_delay_alu instid0(VALU_DEP_3) | instskip(SKIP_1) | instid1(VALU_DEP_2)
	v_cmp_gt_f64_e32 vcc_lo, s[2:3], v[12:13]
	s_mov_b32 s2, 0x55555780
	v_add_f64_e64 v[12:13], v[14:15], -v[10:11]
	v_add_f64_e64 v[14:15], v[8:9], -v[14:15]
	s_wait_alu 0xfffd
	v_subrev_co_ci_u32_e64 v48, null, 0, v16, vcc_lo
	s_delay_alu instid0(VALU_DEP_3) | instskip(NEXT) | instid1(VALU_DEP_2)
	v_add_f64_e32 v[12:13], 1.0, v[12:13]
	v_sub_nc_u32_e32 v18, 0, v48
	s_delay_alu instid0(VALU_DEP_1) | instskip(NEXT) | instid1(VALU_DEP_3)
	v_ldexp_f64 v[10:11], v[10:11], v18
	v_add_f64_e32 v[12:13], v[14:15], v[12:13]
	s_delay_alu instid0(VALU_DEP_2) | instskip(SKIP_1) | instid1(VALU_DEP_3)
	v_add_f64_e32 v[16:17], 1.0, v[10:11]
	v_add_f64_e32 v[22:23], -1.0, v[10:11]
	v_ldexp_f64 v[12:13], v[12:13], v18
	s_delay_alu instid0(VALU_DEP_3) | instskip(NEXT) | instid1(VALU_DEP_3)
	v_add_f64_e32 v[14:15], -1.0, v[16:17]
	v_add_f64_e32 v[24:25], 1.0, v[22:23]
	s_delay_alu instid0(VALU_DEP_2) | instskip(NEXT) | instid1(VALU_DEP_2)
	v_add_f64_e64 v[14:15], v[10:11], -v[14:15]
	v_add_f64_e64 v[10:11], v[10:11], -v[24:25]
	s_delay_alu instid0(VALU_DEP_2) | instskip(NEXT) | instid1(VALU_DEP_2)
	v_add_f64_e32 v[14:15], v[12:13], v[14:15]
	v_add_f64_e32 v[10:11], v[12:13], v[10:11]
	s_delay_alu instid0(VALU_DEP_2) | instskip(NEXT) | instid1(VALU_DEP_2)
	v_add_f64_e32 v[18:19], v[16:17], v[14:15]
	v_add_f64_e32 v[24:25], v[22:23], v[10:11]
	s_delay_alu instid0(VALU_DEP_2) | instskip(SKIP_1) | instid1(VALU_DEP_2)
	v_rcp_f64_e32 v[20:21], v[18:19]
	v_add_f64_e64 v[16:17], v[16:17], -v[18:19]
	v_add_f64_e64 v[22:23], v[22:23], -v[24:25]
	s_delay_alu instid0(VALU_DEP_2) | instskip(NEXT) | instid1(TRANS32_DEP_1)
	v_add_f64_e32 v[14:15], v[14:15], v[16:17]
	v_fma_f64 v[26:27], -v[18:19], v[20:21], 1.0
	s_delay_alu instid0(VALU_DEP_3) | instskip(NEXT) | instid1(VALU_DEP_2)
	v_add_f64_e32 v[10:11], v[10:11], v[22:23]
	v_fma_f64 v[20:21], v[26:27], v[20:21], v[20:21]
	s_delay_alu instid0(VALU_DEP_1) | instskip(NEXT) | instid1(VALU_DEP_1)
	v_fma_f64 v[12:13], -v[18:19], v[20:21], 1.0
	v_fma_f64 v[12:13], v[12:13], v[20:21], v[20:21]
	s_delay_alu instid0(VALU_DEP_1) | instskip(NEXT) | instid1(VALU_DEP_1)
	v_mul_f64_e32 v[20:21], v[24:25], v[12:13]
	v_mul_f64_e32 v[26:27], v[18:19], v[20:21]
	s_delay_alu instid0(VALU_DEP_1) | instskip(NEXT) | instid1(VALU_DEP_1)
	v_fma_f64 v[16:17], v[20:21], v[18:19], -v[26:27]
	v_fma_f64 v[16:17], v[20:21], v[14:15], v[16:17]
	s_delay_alu instid0(VALU_DEP_1) | instskip(NEXT) | instid1(VALU_DEP_1)
	v_add_f64_e32 v[28:29], v[26:27], v[16:17]
	v_add_f64_e64 v[30:31], v[24:25], -v[28:29]
	v_add_f64_e64 v[22:23], v[28:29], -v[26:27]
	v_max_num_f64_e64 v[26:27], |v[2:3]|, |v[2:3]|
	s_delay_alu instid0(VALU_DEP_3) | instskip(NEXT) | instid1(VALU_DEP_3)
	v_add_f64_e64 v[24:25], v[24:25], -v[30:31]
	v_add_f64_e64 v[16:17], v[22:23], -v[16:17]
	s_delay_alu instid0(VALU_DEP_2) | instskip(SKIP_1) | instid1(VALU_DEP_2)
	v_add_f64_e64 v[24:25], v[24:25], -v[28:29]
	v_max_num_f64_e64 v[28:29], |v[0:1]|, |v[0:1]|
	v_add_f64_e32 v[10:11], v[10:11], v[24:25]
	s_delay_alu instid0(VALU_DEP_2) | instskip(SKIP_1) | instid1(VALU_DEP_3)
	v_max_num_f64_e32 v[32:33], v[28:29], v[26:27]
	v_min_num_f64_e32 v[26:27], v[28:29], v[26:27]
	v_add_f64_e32 v[10:11], v[16:17], v[10:11]
	s_delay_alu instid0(VALU_DEP_1) | instskip(NEXT) | instid1(VALU_DEP_1)
	v_add_f64_e32 v[16:17], v[30:31], v[10:11]
	v_mul_f64_e32 v[22:23], v[12:13], v[16:17]
	v_add_f64_e64 v[30:31], v[30:31], -v[16:17]
	s_delay_alu instid0(VALU_DEP_2) | instskip(NEXT) | instid1(VALU_DEP_2)
	v_mul_f64_e32 v[24:25], v[18:19], v[22:23]
	v_add_f64_e32 v[10:11], v[10:11], v[30:31]
	s_delay_alu instid0(VALU_DEP_2) | instskip(NEXT) | instid1(VALU_DEP_1)
	v_fma_f64 v[18:19], v[22:23], v[18:19], -v[24:25]
	v_fma_f64 v[14:15], v[22:23], v[14:15], v[18:19]
	v_div_scale_f64 v[18:19], null, v[32:33], v[32:33], v[26:27]
	s_delay_alu instid0(VALU_DEP_2) | instskip(NEXT) | instid1(VALU_DEP_2)
	v_add_f64_e32 v[28:29], v[24:25], v[14:15]
	v_rcp_f64_e32 v[34:35], v[18:19]
	s_delay_alu instid0(VALU_DEP_1) | instskip(SKIP_1) | instid1(TRANS32_DEP_1)
	v_add_f64_e64 v[36:37], v[16:17], -v[28:29]
	v_add_f64_e64 v[24:25], v[28:29], -v[24:25]
	v_fma_f64 v[38:39], -v[18:19], v[34:35], 1.0
	s_delay_alu instid0(VALU_DEP_3) | instskip(NEXT) | instid1(VALU_DEP_3)
	v_add_f64_e64 v[16:17], v[16:17], -v[36:37]
	v_add_f64_e64 v[14:15], v[24:25], -v[14:15]
	s_delay_alu instid0(VALU_DEP_3) | instskip(NEXT) | instid1(VALU_DEP_3)
	v_fma_f64 v[34:35], v[34:35], v[38:39], v[34:35]
	v_add_f64_e64 v[16:17], v[16:17], -v[28:29]
	s_delay_alu instid0(VALU_DEP_2) | instskip(NEXT) | instid1(VALU_DEP_2)
	v_fma_f64 v[28:29], -v[18:19], v[34:35], 1.0
	v_add_f64_e32 v[10:11], v[10:11], v[16:17]
	v_div_scale_f64 v[16:17], vcc_lo, v[26:27], v[32:33], v[26:27]
	s_delay_alu instid0(VALU_DEP_3) | instskip(SKIP_1) | instid1(VALU_DEP_4)
	v_fma_f64 v[24:25], v[34:35], v[28:29], v[34:35]
	v_add_f64_e32 v[28:29], v[20:21], v[22:23]
	v_add_f64_e32 v[10:11], v[14:15], v[10:11]
	s_delay_alu instid0(VALU_DEP_3) | instskip(NEXT) | instid1(VALU_DEP_3)
	v_mul_f64_e32 v[14:15], v[16:17], v[24:25]
	v_add_f64_e64 v[20:21], v[28:29], -v[20:21]
	s_delay_alu instid0(VALU_DEP_3) | instskip(NEXT) | instid1(VALU_DEP_3)
	v_add_f64_e32 v[10:11], v[36:37], v[10:11]
	v_fma_f64 v[16:17], -v[18:19], v[14:15], v[16:17]
	s_delay_alu instid0(VALU_DEP_3) | instskip(NEXT) | instid1(VALU_DEP_3)
	v_add_f64_e64 v[18:19], v[22:23], -v[20:21]
	v_mul_f64_e32 v[10:11], v[12:13], v[10:11]
	s_wait_alu 0xfffd
	s_delay_alu instid0(VALU_DEP_3) | instskip(SKIP_1) | instid1(VALU_DEP_3)
	v_div_fmas_f64 v[12:13], v[16:17], v[24:25], v[14:15]
	v_cmp_gt_i32_e32 vcc_lo, 0, v1
	v_add_f64_e32 v[10:11], v[18:19], v[10:11]
	s_delay_alu instid0(VALU_DEP_3) | instskip(NEXT) | instid1(VALU_DEP_2)
	v_div_fixup_f64 v[12:13], v[12:13], v[32:33], v[26:27]
	v_add_f64_e32 v[14:15], v[28:29], v[10:11]
	s_delay_alu instid0(VALU_DEP_2) | instskip(NEXT) | instid1(VALU_DEP_2)
	v_mul_f64_e32 v[16:17], v[12:13], v[12:13]
	v_mul_f64_e32 v[18:19], v[14:15], v[14:15]
	s_delay_alu instid0(VALU_DEP_2)
	v_fma_f64 v[20:21], v[16:17], s[8:9], s[6:7]
	s_mov_b32 s6, 0x6b47b09a
	s_mov_b32 s8, 0xbf559e2b
	;; [unrolled: 1-line block ×4, first 2 shown]
	s_wait_alu 0xfffe
	s_delay_alu instid0(VALU_DEP_2) | instskip(SKIP_4) | instid1(VALU_DEP_3)
	v_fma_f64 v[22:23], v[18:19], s[8:9], s[6:7]
	s_mov_b32 s6, 0x69efb384
	s_mov_b32 s7, 0x3f4b2bb0
	v_mul_f64_e32 v[24:25], v[14:15], v[18:19]
	s_wait_alu 0xfffe
	v_fma_f64 v[20:21], v[16:17], v[20:21], s[6:7]
	s_mov_b32 s6, 0xd7f4df2e
	s_mov_b32 s7, 0x3fc7474d
	s_wait_alu 0xfffe
	s_delay_alu instid0(VALU_DEP_3) | instskip(SKIP_3) | instid1(VALU_DEP_2)
	v_fma_f64 v[22:23], v[18:19], v[22:23], s[6:7]
	s_mov_b32 s6, 0xaf56de9b
	s_mov_b32 s7, 0xbf67952d
	s_wait_alu 0xfffe
	v_fma_f64 v[20:21], v[16:17], v[20:21], s[6:7]
	s_mov_b32 s6, 0x16291751
	s_mov_b32 s7, 0x3fcc71c0
	s_wait_alu 0xfffe
	s_delay_alu instid0(VALU_DEP_2) | instskip(SKIP_3) | instid1(VALU_DEP_2)
	v_fma_f64 v[22:23], v[18:19], v[22:23], s[6:7]
	s_mov_b32 s6, 0xa595c56f
	s_mov_b32 s7, 0x3f7d6d43
	s_wait_alu 0xfffe
	v_fma_f64 v[20:21], v[16:17], v[20:21], s[6:7]
	s_mov_b32 s6, 0x9b27acf1
	s_mov_b32 s7, 0x3fd24924
	s_wait_alu 0xfffe
	s_delay_alu instid0(VALU_DEP_2) | instskip(SKIP_3) | instid1(VALU_DEP_2)
	;; [unrolled: 9-line block ×3, first 2 shown]
	v_fma_f64 v[22:23], v[18:19], v[22:23], s[6:7]
	s_mov_b32 s6, 0x5f08b19f
	s_mov_b32 s7, 0x3f967e29
	s_wait_alu 0xfffe
	v_fma_f64 v[20:21], v[16:17], v[20:21], s[6:7]
	s_mov_b32 s6, 0x6ef28734
	s_mov_b32 s7, 0x3fa82d5d
	s_delay_alu instid0(VALU_DEP_2) | instskip(SKIP_4) | instid1(VALU_DEP_3)
	v_fma_f64 v[18:19], v[18:19], v[22:23], s[2:3]
	s_mov_b32 s2, 0xfc27006a
	s_mov_b32 s3, 0xbf9e9ae6
	v_ldexp_f64 v[22:23], v[14:15], 1
	s_wait_alu 0xfffe
	v_fma_f64 v[20:21], v[16:17], v[20:21], s[2:3]
	s_mov_b32 s2, 0x5711927a
	s_mov_b32 s3, 0x3fa2c15b
	v_add_f64_e64 v[14:15], v[14:15], -v[28:29]
	s_delay_alu instid0(VALU_DEP_4) | instskip(SKIP_2) | instid1(VALU_DEP_4)
	v_mul_f64_e32 v[18:19], v[24:25], v[18:19]
	v_cvt_f64_i32_e32 v[24:25], v48
	s_wait_alu 0xfffe
	v_fma_f64 v[20:21], v[16:17], v[20:21], s[2:3]
	s_mov_b32 s2, 0xe82d3ff0
	s_mov_b32 s3, 0xbfa59976
	s_delay_alu instid0(VALU_DEP_4) | instskip(NEXT) | instid1(VALU_DEP_4)
	v_add_f64_e64 v[10:11], v[10:11], -v[14:15]
	v_add_f64_e32 v[26:27], v[22:23], v[18:19]
	s_wait_alu 0xfffe
	s_delay_alu instid0(VALU_DEP_3) | instskip(SKIP_2) | instid1(VALU_DEP_3)
	v_fma_f64 v[20:21], v[16:17], v[20:21], s[2:3]
	s_mov_b32 s2, 0xfefa39ef
	s_mov_b32 s3, 0x3fe62e42
	v_ldexp_f64 v[10:11], v[10:11], 1
	s_wait_alu 0xfffe
	v_mul_f64_e32 v[28:29], s[2:3], v[24:25]
	s_delay_alu instid0(VALU_DEP_4) | instskip(NEXT) | instid1(VALU_DEP_4)
	v_add_f64_e64 v[14:15], v[26:27], -v[22:23]
	v_fma_f64 v[20:21], v[16:17], v[20:21], s[6:7]
	v_cmp_class_f64_e64 s6, v[0:1], 0x204
	s_delay_alu instid0(VALU_DEP_4)
	v_fma_f64 v[22:23], v[24:25], s[2:3], -v[28:29]
	s_mov_b32 s2, 0x6a214619
	s_mov_b32 s3, 0xbfaae5ce
	v_add_f64_e64 v[14:15], v[18:19], -v[14:15]
	s_wait_alu 0xfffe
	v_fma_f64 v[18:19], v[16:17], v[20:21], s[2:3]
	s_mov_b32 s2, 0x3b39803f
	s_mov_b32 s3, 0x3c7abc9e
	s_wait_alu 0xfffe
	s_delay_alu instid0(VALU_DEP_3) | instskip(SKIP_2) | instid1(VALU_DEP_3)
	v_fma_f64 v[20:21], v[24:25], s[2:3], v[22:23]
	s_mov_b32 s2, 0x8427b883
	s_mov_b32 s3, 0x3fae1bb4
	v_add_f64_e32 v[10:11], v[10:11], v[14:15]
	s_wait_alu 0xfffe
	s_delay_alu instid0(VALU_DEP_3) | instskip(SKIP_2) | instid1(VALU_DEP_3)
	v_fma_f64 v[14:15], v[16:17], v[18:19], s[2:3]
	s_mov_b32 s2, 0x8b207f05
	s_mov_b32 s3, 0xbfb110e4
	v_add_f64_e32 v[18:19], v[28:29], v[20:21]
	s_delay_alu instid0(VALU_DEP_3) | instskip(SKIP_1) | instid1(VALU_DEP_3)
	v_add_f64_e32 v[22:23], v[26:27], v[10:11]
	s_wait_alu 0xfffe
	v_fma_f64 v[14:15], v[16:17], v[14:15], s[2:3]
	s_mov_b32 s2, 0x57b87036
	s_mov_b32 s3, 0x3fb3b136
	s_delay_alu instid0(VALU_DEP_3) | instskip(NEXT) | instid1(VALU_DEP_3)
	v_add_f64_e64 v[28:29], v[18:19], -v[28:29]
	v_add_f64_e32 v[24:25], v[18:19], v[22:23]
	v_add_f64_e64 v[26:27], v[22:23], -v[26:27]
	s_wait_alu 0xfffe
	s_delay_alu instid0(VALU_DEP_4) | instskip(SKIP_2) | instid1(VALU_DEP_4)
	v_fma_f64 v[14:15], v[16:17], v[14:15], s[2:3]
	s_mov_b32 s2, 0x19378e4f
	s_mov_b32 s3, 0xbfb745d1
	v_add_f64_e64 v[20:21], v[20:21], -v[28:29]
	s_delay_alu instid0(VALU_DEP_4) | instskip(NEXT) | instid1(VALU_DEP_4)
	v_add_f64_e64 v[30:31], v[24:25], -v[18:19]
	v_add_f64_e64 v[10:11], v[10:11], -v[26:27]
	s_wait_alu 0xfffe
	s_delay_alu instid0(VALU_DEP_4) | instskip(SKIP_2) | instid1(VALU_DEP_3)
	v_fma_f64 v[14:15], v[16:17], v[14:15], s[2:3]
	s_mov_b32 s2, 0x17e1913c
	s_mov_b32 s3, 0x3fbc71c7
	v_add_f64_e64 v[32:33], v[24:25], -v[30:31]
	v_add_f64_e64 v[22:23], v[22:23], -v[30:31]
	s_delay_alu instid0(VALU_DEP_4) | instskip(SKIP_1) | instid1(VALU_DEP_4)
	v_add_f64_e32 v[26:27], v[20:21], v[10:11]
	s_wait_alu 0xfffe
	v_fma_f64 v[14:15], v[16:17], v[14:15], s[2:3]
	s_mov_b32 s2, 0x92376b7d
	s_mov_b32 s3, 0xbfc24924
	s_delay_alu instid0(VALU_DEP_4) | instskip(SKIP_1) | instid1(VALU_DEP_2)
	v_add_f64_e64 v[18:19], v[18:19], -v[32:33]
	s_wait_alu 0xfffe
	v_fma_f64 v[14:15], v[16:17], v[14:15], s[2:3]
	s_mov_b32 s2, 0x999952cc
	s_mov_b32 s3, 0x3fc99999
	s_delay_alu instid0(VALU_DEP_2) | instskip(SKIP_2) | instid1(VALU_DEP_3)
	v_add_f64_e32 v[18:19], v[22:23], v[18:19]
	v_add_f64_e64 v[22:23], v[26:27], -v[20:21]
	s_wait_alu 0xfffe
	v_fma_f64 v[14:15], v[16:17], v[14:15], s[2:3]
	s_mov_b32 s2, 0x55555523
	s_mov_b32 s3, 0xbfd55555
	s_delay_alu instid0(VALU_DEP_3) | instskip(NEXT) | instid1(VALU_DEP_3)
	v_add_f64_e32 v[18:19], v[26:27], v[18:19]
	v_add_f64_e64 v[26:27], v[26:27], -v[22:23]
	v_add_f64_e64 v[10:11], v[10:11], -v[22:23]
	s_wait_alu 0xfffe
	s_delay_alu instid0(VALU_DEP_4) | instskip(SKIP_2) | instid1(VALU_DEP_4)
	v_fma_f64 v[14:15], v[16:17], v[14:15], s[2:3]
	s_mov_b32 s2, 0x54442d18
	s_mov_b32 s3, 0x3ff921fb
	v_add_f64_e32 v[28:29], v[24:25], v[18:19]
	s_delay_alu instid0(VALU_DEP_2) | instskip(SKIP_1) | instid1(VALU_DEP_3)
	v_mul_f64_e32 v[14:15], v[16:17], v[14:15]
	v_add_f64_e64 v[16:17], v[20:21], -v[26:27]
	v_add_f64_e64 v[20:21], v[28:29], -v[24:25]
	s_delay_alu instid0(VALU_DEP_3) | instskip(NEXT) | instid1(VALU_DEP_3)
	v_fma_f64 v[12:13], v[12:13], v[14:15], v[12:13]
	v_add_f64_e32 v[10:11], v[10:11], v[16:17]
	s_delay_alu instid0(VALU_DEP_3) | instskip(SKIP_1) | instid1(VALU_DEP_3)
	v_add_f64_e64 v[14:15], v[18:19], -v[20:21]
	s_wait_alu 0xfffe
	v_add_f64_e64 v[16:17], -v[12:13], s[2:3]
	s_mov_b32 s3, 0x400921fb
	s_delay_alu instid0(VALU_DEP_2) | instskip(NEXT) | instid1(VALU_DEP_2)
	v_add_f64_e32 v[10:11], v[10:11], v[14:15]
	v_cndmask_b32_e64 v13, v13, v17, s0
	s_delay_alu instid0(VALU_DEP_3) | instskip(SKIP_2) | instid1(VALU_DEP_2)
	v_cndmask_b32_e64 v12, v12, v16, s0
	v_ashrrev_i32_e32 v17, 31, v1
	s_wait_alu 0xfffe
	v_add_f64_e64 v[14:15], -v[12:13], s[2:3]
	v_cmp_class_f64_e64 s3, v[2:3], 0x204
	v_cmp_neq_f64_e64 s2, 0x7ff00000, v[8:9]
	v_mov_b32_e32 v8, 0x4002d97c
	v_and_b32_e32 v18, 0x54442d18, v17
	v_and_b32_e32 v9, 0x400921fb, v17
	s_wait_alu 0xfffd
	s_delay_alu instid0(VALU_DEP_3) | instskip(NEXT) | instid1(VALU_DEP_1)
	v_cndmask_b32_e32 v8, 0x3fe921fb, v8, vcc_lo
	v_bfi_b32 v8, 0x7fffffff, v8, v3
	v_add_f64_e32 v[10:11], v[28:29], v[10:11]
	v_cndmask_b32_e32 v12, v12, v14, vcc_lo
	s_delay_alu instid0(VALU_DEP_2) | instskip(SKIP_2) | instid1(VALU_DEP_3)
	v_mul_f64_e32 v[0:1], 0.5, v[10:11]
	v_cndmask_b32_e32 v10, v13, v15, vcc_lo
	s_wait_alu 0xf1ff
	v_cndmask_b32_e64 v11, v12, v18, s1
	s_delay_alu instid0(VALU_DEP_2) | instskip(SKIP_1) | instid1(VALU_DEP_1)
	v_cndmask_b32_e64 v9, v10, v9, s1
	v_mov_b32_e32 v16, 0x7f3321d2
	v_cndmask_b32_e32 v16, 0x54442d18, v16, vcc_lo
	s_and_b32 vcc_lo, s6, s3
	s_wait_alu 0xfffe
	v_cndmask_b32_e32 v15, v9, v8, vcc_lo
	s_delay_alu instid0(VALU_DEP_2)
	v_cndmask_b32_e32 v14, v11, v16, vcc_lo
                                        ; implicit-def: $vgpr10_vgpr11
	v_cndmask_b32_e64 v13, 0x7ff00000, v1, s2
	v_cndmask_b32_e64 v12, 0, v0, s2
                                        ; implicit-def: $vgpr0_vgpr1
.LBB55_21:
	s_wait_alu 0xfffe
	s_and_not1_saveexec_b32 s2, s5
	s_cbranch_execz .LBB55_23
; %bb.22:
	v_max_num_f64_e64 v[8:9], |v[2:3]|, |v[2:3]|
	v_max_num_f64_e64 v[12:13], |v[0:1]|, |v[0:1]|
	s_mov_b32 s6, 0xbd3237f4
	s_mov_b32 s8, 0xb5e68a13
	s_mov_b32 s7, 0xbf23e260
	s_mov_b32 s9, 0x3eeba404
	v_cmp_eq_f64_e64 s1, 0, v[2:3]
	v_cmp_class_f64_e64 s3, v[2:3], 0x204
	v_cmp_class_f64_e64 s5, v[0:1], 0x204
	v_mov_b32_e32 v0, 0x4002d97c
	v_max_num_f64_e32 v[14:15], v[12:13], v[8:9]
	v_min_num_f64_e32 v[8:9], v[12:13], v[8:9]
	s_delay_alu instid0(VALU_DEP_1) | instskip(SKIP_1) | instid1(VALU_DEP_2)
	v_div_scale_f64 v[12:13], null, v[14:15], v[14:15], v[8:9]
	v_div_scale_f64 v[20:21], vcc_lo, v[8:9], v[14:15], v[8:9]
	v_rcp_f64_e32 v[16:17], v[12:13]
	s_delay_alu instid0(TRANS32_DEP_1) | instskip(NEXT) | instid1(VALU_DEP_1)
	v_fma_f64 v[18:19], -v[12:13], v[16:17], 1.0
	v_fma_f64 v[16:17], v[16:17], v[18:19], v[16:17]
	s_delay_alu instid0(VALU_DEP_1) | instskip(NEXT) | instid1(VALU_DEP_1)
	v_fma_f64 v[18:19], -v[12:13], v[16:17], 1.0
	v_fma_f64 v[16:17], v[16:17], v[18:19], v[16:17]
	s_delay_alu instid0(VALU_DEP_1) | instskip(NEXT) | instid1(VALU_DEP_1)
	v_mul_f64_e32 v[18:19], v[20:21], v[16:17]
	v_fma_f64 v[12:13], -v[12:13], v[18:19], v[20:21]
	s_wait_alu 0xfffd
	s_delay_alu instid0(VALU_DEP_1) | instskip(SKIP_2) | instid1(VALU_DEP_2)
	v_div_fmas_f64 v[12:13], v[12:13], v[16:17], v[18:19]
	v_ashrrev_i32_e32 v17, 31, v1
	v_cmp_gt_i32_e32 vcc_lo, 0, v1
	v_and_b32_e32 v19, 0x54442d18, v17
	s_wait_alu 0xfffd
	v_cndmask_b32_e32 v0, 0x3fe921fb, v0, vcc_lo
	s_delay_alu instid0(VALU_DEP_1) | instskip(SKIP_1) | instid1(VALU_DEP_1)
	v_bfi_b32 v0, 0x7fffffff, v0, v3
	v_div_fixup_f64 v[8:9], v[12:13], v[14:15], v[8:9]
	v_mul_f64_e32 v[12:13], v[8:9], v[8:9]
	s_wait_alu 0xfffe
	s_delay_alu instid0(VALU_DEP_1) | instskip(SKIP_3) | instid1(VALU_DEP_1)
	v_fma_f64 v[14:15], v[12:13], s[8:9], s[6:7]
	s_mov_b32 s6, 0x69efb384
	s_mov_b32 s7, 0x3f4b2bb0
	s_wait_alu 0xfffe
	v_fma_f64 v[14:15], v[12:13], v[14:15], s[6:7]
	s_mov_b32 s6, 0xaf56de9b
	s_mov_b32 s7, 0xbf67952d
	s_wait_alu 0xfffe
	s_delay_alu instid0(VALU_DEP_1) | instskip(SKIP_3) | instid1(VALU_DEP_1)
	v_fma_f64 v[14:15], v[12:13], v[14:15], s[6:7]
	s_mov_b32 s6, 0xa595c56f
	s_mov_b32 s7, 0x3f7d6d43
	s_wait_alu 0xfffe
	v_fma_f64 v[14:15], v[12:13], v[14:15], s[6:7]
	s_mov_b32 s6, 0xa57d9582
	s_mov_b32 s7, 0xbf8c6ea4
	;; [unrolled: 9-line block ×9, first 2 shown]
	s_wait_alu 0xfffe
	s_delay_alu instid0(VALU_DEP_1) | instskip(SKIP_2) | instid1(VALU_DEP_1)
	v_fma_f64 v[14:15], v[12:13], v[14:15], s[6:7]
	s_mov_b32 s6, 0x54442d18
	s_mov_b32 s7, 0x3ff921fb
	v_mul_f64_e32 v[12:13], v[12:13], v[14:15]
	v_mul_f64_e32 v[15:16], 0.5, v[10:11]
	s_delay_alu instid0(VALU_DEP_2) | instskip(SKIP_1) | instid1(VALU_DEP_1)
	v_fma_f64 v[8:9], v[8:9], v[12:13], v[8:9]
	s_wait_alu 0xfffe
	v_add_f64_e64 v[12:13], -v[8:9], s[6:7]
	s_mov_b32 s7, 0x400921fb
	s_delay_alu instid0(VALU_DEP_1) | instskip(NEXT) | instid1(VALU_DEP_2)
	v_cndmask_b32_e64 v9, v9, v13, s0
	v_cndmask_b32_e64 v8, v8, v12, s0
	s_wait_alu 0xfffe
	s_delay_alu instid0(VALU_DEP_1) | instskip(NEXT) | instid1(VALU_DEP_1)
	v_add_f64_e64 v[13:14], -v[8:9], s[6:7]
	v_dual_mov_b32 v12, 0x7f3321d2 :: v_dual_cndmask_b32 v9, v9, v14
	s_delay_alu instid0(VALU_DEP_1) | instskip(SKIP_2) | instid1(VALU_DEP_1)
	v_cndmask_b32_e32 v18, 0x54442d18, v12, vcc_lo
	v_and_b32_e32 v1, 0x400921fb, v17
	s_wait_alu 0xf1ff
	v_cndmask_b32_e64 v1, v9, v1, s1
	v_cndmask_b32_e32 v8, v8, v13, vcc_lo
	v_mul_f64_e32 v[12:13], v[10:11], v[15:16]
	s_and_b32 vcc_lo, s5, s3
	s_wait_alu 0xfffe
	v_cndmask_b32_e32 v15, v1, v0, vcc_lo
	v_cndmask_b32_e64 v8, v8, v19, s1
	s_delay_alu instid0(VALU_DEP_1)
	v_cndmask_b32_e32 v14, v8, v18, vcc_lo
.LBB55_23:
	s_wait_alu 0xfffe
	s_or_b32 exec_lo, exec_lo, s2
.LBB55_24:
	s_wait_alu 0xfffe
	s_or_b32 exec_lo, exec_lo, s4
                                        ; implicit-def: $vgpr0_vgpr1
.LBB55_25:
	s_wait_alu 0xfffe
	s_and_not1_saveexec_b32 s4, s12
	s_cbranch_execz .LBB55_27
; %bb.26:
	s_mov_b32 s2, 0x8b145769
	s_mov_b32 s3, 0x4005bf0a
	;; [unrolled: 1-line block ×3, first 2 shown]
	s_wait_alu 0xfffe
	v_div_scale_f64 v[8:9], null, s[2:3], s[2:3], v[0:1]
	v_div_scale_f64 v[10:11], null, s[2:3], s[2:3], v[2:3]
	v_div_scale_f64 v[20:21], vcc_lo, v[0:1], s[2:3], v[0:1]
	s_mov_b32 s12, 0xb5e68a13
	s_mov_b32 s9, 0xbf23e260
	;; [unrolled: 1-line block ×5, first 2 shown]
	v_rcp_f64_e32 v[12:13], v[8:9]
	v_rcp_f64_e32 v[14:15], v[10:11]
	s_delay_alu instid0(TRANS32_DEP_2) | instskip(NEXT) | instid1(TRANS32_DEP_1)
	v_fma_f64 v[16:17], -v[8:9], v[12:13], 1.0
	v_fma_f64 v[18:19], -v[10:11], v[14:15], 1.0
	s_delay_alu instid0(VALU_DEP_2) | instskip(NEXT) | instid1(VALU_DEP_2)
	v_fma_f64 v[12:13], v[12:13], v[16:17], v[12:13]
	v_fma_f64 v[14:15], v[14:15], v[18:19], v[14:15]
	s_delay_alu instid0(VALU_DEP_2) | instskip(NEXT) | instid1(VALU_DEP_2)
	v_fma_f64 v[16:17], -v[8:9], v[12:13], 1.0
	v_fma_f64 v[18:19], -v[10:11], v[14:15], 1.0
	s_delay_alu instid0(VALU_DEP_2) | instskip(SKIP_1) | instid1(VALU_DEP_3)
	v_fma_f64 v[12:13], v[12:13], v[16:17], v[12:13]
	v_div_scale_f64 v[16:17], s1, v[2:3], s[2:3], v[2:3]
	v_fma_f64 v[14:15], v[14:15], v[18:19], v[14:15]
	s_delay_alu instid0(VALU_DEP_3) | instskip(NEXT) | instid1(VALU_DEP_2)
	v_mul_f64_e32 v[18:19], v[20:21], v[12:13]
	v_mul_f64_e32 v[22:23], v[16:17], v[14:15]
	s_delay_alu instid0(VALU_DEP_2) | instskip(NEXT) | instid1(VALU_DEP_2)
	v_fma_f64 v[8:9], -v[8:9], v[18:19], v[20:21]
	v_fma_f64 v[10:11], -v[10:11], v[22:23], v[16:17]
	s_wait_alu 0xfffd
	s_delay_alu instid0(VALU_DEP_2) | instskip(SKIP_2) | instid1(VALU_DEP_2)
	v_div_fmas_f64 v[8:9], v[8:9], v[12:13], v[18:19]
	s_mov_b32 vcc_lo, s1
	s_wait_alu 0xfffe
	v_div_fmas_f64 v[10:11], v[10:11], v[14:15], v[22:23]
	s_delay_alu instid0(VALU_DEP_2) | instskip(NEXT) | instid1(VALU_DEP_2)
	v_div_fixup_f64 v[8:9], v[8:9], s[2:3], v[0:1]
	v_div_fixup_f64 v[10:11], v[10:11], s[2:3], v[2:3]
	s_mov_b32 s3, 0x3fe55555
	s_delay_alu instid0(VALU_DEP_2) | instskip(NEXT) | instid1(VALU_DEP_2)
	v_cmp_class_f64_e64 s1, v[8:9], 0x204
	v_max_num_f64_e64 v[12:13], |v[8:9]|, |v[10:11]|
	v_cmp_class_f64_e64 s2, v[10:11], 0x204
	s_delay_alu instid0(VALU_DEP_2) | instskip(SKIP_2) | instid1(VALU_DEP_1)
	v_frexp_exp_i32_f64_e32 v20, v[12:13]
	s_or_b32 s1, s1, s2
	s_mov_b32 s2, 0x55555555
	v_sub_nc_u32_e32 v14, 0, v20
	s_delay_alu instid0(VALU_DEP_1) | instskip(SKIP_1) | instid1(VALU_DEP_2)
	v_ldexp_f64 v[12:13], |v[10:11]|, v14
	v_ldexp_f64 v[14:15], |v[8:9]|, v14
	v_mul_f64_e32 v[12:13], v[12:13], v[12:13]
	s_delay_alu instid0(VALU_DEP_1) | instskip(NEXT) | instid1(VALU_DEP_1)
	v_fma_f64 v[12:13], v[14:15], v[14:15], v[12:13]
	v_rsq_f64_e32 v[14:15], v[12:13]
	v_cmp_eq_f64_e32 vcc_lo, 0, v[12:13]
	s_delay_alu instid0(TRANS32_DEP_1) | instskip(SKIP_1) | instid1(VALU_DEP_1)
	v_mul_f64_e32 v[16:17], v[12:13], v[14:15]
	v_mul_f64_e32 v[14:15], 0.5, v[14:15]
	v_fma_f64 v[18:19], -v[14:15], v[16:17], 0.5
	s_delay_alu instid0(VALU_DEP_1) | instskip(SKIP_1) | instid1(VALU_DEP_2)
	v_fma_f64 v[16:17], v[16:17], v[18:19], v[16:17]
	v_fma_f64 v[14:15], v[14:15], v[18:19], v[14:15]
	v_fma_f64 v[18:19], -v[16:17], v[16:17], v[12:13]
	s_delay_alu instid0(VALU_DEP_1) | instskip(SKIP_1) | instid1(VALU_DEP_1)
	v_fma_f64 v[14:15], v[18:19], v[14:15], v[16:17]
	s_wait_alu 0xfffd
	v_dual_cndmask_b32 v13, v15, v13 :: v_dual_cndmask_b32 v12, v14, v12
	v_cmp_o_f64_e32 vcc_lo, v[8:9], v[10:11]
	s_delay_alu instid0(VALU_DEP_2) | instskip(SKIP_2) | instid1(VALU_DEP_2)
	v_ldexp_f64 v[12:13], v[12:13], v20
	v_max_num_f64_e64 v[20:21], |v[0:1]|, |v[0:1]|
	s_wait_alu 0xfffd
	v_cndmask_b32_e32 v9, 0x7ff80000, v13, vcc_lo
	s_wait_alu 0xfffe
	s_delay_alu instid0(VALU_DEP_1) | instskip(NEXT) | instid1(VALU_DEP_4)
	v_cndmask_b32_e64 v9, v9, 0x7ff00000, s1
	v_cndmask_b32_e32 v8, 0, v12, vcc_lo
	s_delay_alu instid0(VALU_DEP_1) | instskip(NEXT) | instid1(VALU_DEP_1)
	v_cndmask_b32_e64 v8, v8, 0, s1
	v_frexp_mant_f64_e32 v[10:11], v[8:9]
	s_delay_alu instid0(VALU_DEP_1) | instskip(SKIP_3) | instid1(VALU_DEP_1)
	v_cmp_gt_f64_e64 s1, s[2:3], v[10:11]
	s_mov_b32 s2, 0x55555780
	s_wait_alu 0xf1ff
	v_cndmask_b32_e64 v12, 0, 1, s1
	v_ldexp_f64 v[10:11], v[10:11], v12
	s_delay_alu instid0(VALU_DEP_1) | instskip(SKIP_1) | instid1(VALU_DEP_2)
	v_add_f64_e32 v[12:13], 1.0, v[10:11]
	v_add_f64_e32 v[18:19], -1.0, v[10:11]
	v_rcp_f64_e32 v[14:15], v[12:13]
	s_delay_alu instid0(TRANS32_DEP_1) | instskip(NEXT) | instid1(VALU_DEP_1)
	v_fma_f64 v[16:17], -v[12:13], v[14:15], 1.0
	v_fma_f64 v[14:15], v[16:17], v[14:15], v[14:15]
	s_delay_alu instid0(VALU_DEP_1) | instskip(NEXT) | instid1(VALU_DEP_1)
	v_fma_f64 v[16:17], -v[12:13], v[14:15], 1.0
	v_fma_f64 v[14:15], v[16:17], v[14:15], v[14:15]
	v_max_num_f64_e64 v[16:17], |v[2:3]|, |v[2:3]|
	s_delay_alu instid0(VALU_DEP_2) | instskip(NEXT) | instid1(VALU_DEP_2)
	v_mul_f64_e32 v[22:23], v[18:19], v[14:15]
	v_max_num_f64_e32 v[24:25], v[20:21], v[16:17]
	v_min_num_f64_e32 v[16:17], v[20:21], v[16:17]
	v_add_f64_e32 v[20:21], -1.0, v[12:13]
	s_delay_alu instid0(VALU_DEP_4) | instskip(NEXT) | instid1(VALU_DEP_3)
	v_mul_f64_e32 v[26:27], v[12:13], v[22:23]
	v_div_scale_f64 v[28:29], null, v[24:25], v[24:25], v[16:17]
	s_delay_alu instid0(VALU_DEP_3) | instskip(SKIP_1) | instid1(VALU_DEP_4)
	v_add_f64_e64 v[10:11], v[10:11], -v[20:21]
	v_div_scale_f64 v[34:35], vcc_lo, v[16:17], v[24:25], v[16:17]
	v_fma_f64 v[12:13], v[22:23], v[12:13], -v[26:27]
	s_delay_alu instid0(VALU_DEP_4) | instskip(NEXT) | instid1(VALU_DEP_1)
	v_rcp_f64_e32 v[20:21], v[28:29]
	v_fma_f64 v[10:11], v[22:23], v[10:11], v[12:13]
	s_delay_alu instid0(TRANS32_DEP_1) | instskip(NEXT) | instid1(VALU_DEP_2)
	v_fma_f64 v[12:13], -v[28:29], v[20:21], 1.0
	v_add_f64_e32 v[30:31], v[26:27], v[10:11]
	s_delay_alu instid0(VALU_DEP_2) | instskip(NEXT) | instid1(VALU_DEP_2)
	v_fma_f64 v[12:13], v[20:21], v[12:13], v[20:21]
	v_add_f64_e64 v[20:21], v[18:19], -v[30:31]
	v_add_f64_e64 v[26:27], v[30:31], -v[26:27]
	s_delay_alu instid0(VALU_DEP_3) | instskip(NEXT) | instid1(VALU_DEP_3)
	v_fma_f64 v[32:33], -v[28:29], v[12:13], 1.0
	v_add_f64_e64 v[18:19], v[18:19], -v[20:21]
	s_delay_alu instid0(VALU_DEP_3) | instskip(NEXT) | instid1(VALU_DEP_3)
	v_add_f64_e64 v[10:11], v[26:27], -v[10:11]
	v_fma_f64 v[12:13], v[12:13], v[32:33], v[12:13]
	s_delay_alu instid0(VALU_DEP_3) | instskip(NEXT) | instid1(VALU_DEP_2)
	v_add_f64_e64 v[18:19], v[18:19], -v[30:31]
	v_mul_f64_e32 v[26:27], v[34:35], v[12:13]
	s_delay_alu instid0(VALU_DEP_2) | instskip(NEXT) | instid1(VALU_DEP_2)
	v_add_f64_e32 v[10:11], v[10:11], v[18:19]
	v_fma_f64 v[18:19], -v[28:29], v[26:27], v[34:35]
	v_frexp_exp_i32_f64_e32 v28, v[8:9]
	s_delay_alu instid0(VALU_DEP_3) | instskip(SKIP_1) | instid1(VALU_DEP_3)
	v_add_f64_e32 v[10:11], v[20:21], v[10:11]
	s_wait_alu 0xfffd
	v_div_fmas_f64 v[12:13], v[18:19], v[12:13], v[26:27]
	v_cmp_class_f64_e64 vcc_lo, v[8:9], 0x204
	s_delay_alu instid0(VALU_DEP_3) | instskip(NEXT) | instid1(VALU_DEP_3)
	v_mul_f64_e32 v[10:11], v[14:15], v[10:11]
	v_div_fixup_f64 v[12:13], v[12:13], v[24:25], v[16:17]
	s_delay_alu instid0(VALU_DEP_2) | instskip(NEXT) | instid1(VALU_DEP_2)
	v_add_f64_e32 v[14:15], v[22:23], v[10:11]
	v_mul_f64_e32 v[16:17], v[12:13], v[12:13]
	s_delay_alu instid0(VALU_DEP_2) | instskip(NEXT) | instid1(VALU_DEP_2)
	v_mul_f64_e32 v[18:19], v[14:15], v[14:15]
	v_fma_f64 v[20:21], v[16:17], s[12:13], s[8:9]
	s_mov_b32 s8, 0xbf559e2b
	s_mov_b32 s9, 0x3fc3ab76
	s_wait_alu 0xfffe
	s_delay_alu instid0(VALU_DEP_2) | instskip(SKIP_4) | instid1(VALU_DEP_3)
	v_fma_f64 v[24:25], v[18:19], s[8:9], s[6:7]
	s_mov_b32 s6, 0x69efb384
	s_mov_b32 s7, 0x3f4b2bb0
	v_mul_f64_e32 v[26:27], v[14:15], v[18:19]
	s_wait_alu 0xfffe
	v_fma_f64 v[20:21], v[16:17], v[20:21], s[6:7]
	s_mov_b32 s6, 0xd7f4df2e
	s_mov_b32 s7, 0x3fc7474d
	s_wait_alu 0xfffe
	s_delay_alu instid0(VALU_DEP_3) | instskip(SKIP_3) | instid1(VALU_DEP_2)
	v_fma_f64 v[24:25], v[18:19], v[24:25], s[6:7]
	s_mov_b32 s6, 0xaf56de9b
	s_mov_b32 s7, 0xbf67952d
	s_wait_alu 0xfffe
	v_fma_f64 v[20:21], v[16:17], v[20:21], s[6:7]
	s_mov_b32 s6, 0x16291751
	s_mov_b32 s7, 0x3fcc71c0
	s_wait_alu 0xfffe
	s_delay_alu instid0(VALU_DEP_2) | instskip(SKIP_3) | instid1(VALU_DEP_2)
	v_fma_f64 v[24:25], v[18:19], v[24:25], s[6:7]
	s_mov_b32 s6, 0xa595c56f
	s_mov_b32 s7, 0x3f7d6d43
	s_wait_alu 0xfffe
	v_fma_f64 v[20:21], v[16:17], v[20:21], s[6:7]
	s_mov_b32 s6, 0x9b27acf1
	s_mov_b32 s7, 0x3fd24924
	s_wait_alu 0xfffe
	s_delay_alu instid0(VALU_DEP_2) | instskip(SKIP_3) | instid1(VALU_DEP_2)
	;; [unrolled: 9-line block ×3, first 2 shown]
	v_fma_f64 v[24:25], v[18:19], v[24:25], s[6:7]
	s_mov_b32 s6, 0x5f08b19f
	s_mov_b32 s7, 0x3f967e29
	s_wait_alu 0xfffe
	v_fma_f64 v[20:21], v[16:17], v[20:21], s[6:7]
	s_mov_b32 s6, 0xe82d3ff0
	s_mov_b32 s7, 0xbfa59976
	s_delay_alu instid0(VALU_DEP_2) | instskip(SKIP_4) | instid1(VALU_DEP_3)
	v_fma_f64 v[18:19], v[18:19], v[24:25], s[2:3]
	s_mov_b32 s2, 0xfc27006a
	s_mov_b32 s3, 0xbf9e9ae6
	v_ldexp_f64 v[24:25], v[14:15], 1
	s_wait_alu 0xfffe
	v_fma_f64 v[20:21], v[16:17], v[20:21], s[2:3]
	s_mov_b32 s2, 0x5711927a
	s_mov_b32 s3, 0x3fa2c15b
	v_add_f64_e64 v[14:15], v[14:15], -v[22:23]
	s_delay_alu instid0(VALU_DEP_4)
	v_mul_f64_e32 v[18:19], v[26:27], v[18:19]
	v_subrev_co_ci_u32_e64 v26, null, 0, v28, s1
	v_cmp_class_f64_e64 s1, v[2:3], 0x204
	s_wait_alu 0xfffe
	v_fma_f64 v[20:21], v[16:17], v[20:21], s[2:3]
	s_mov_b32 s2, 0xfefa39ef
	v_cvt_f64_i32_e32 v[26:27], v26
	s_mov_b32 s3, 0x3fe62e42
	v_add_f64_e64 v[10:11], v[10:11], -v[14:15]
	v_add_f64_e32 v[22:23], v[24:25], v[18:19]
	s_delay_alu instid0(VALU_DEP_4) | instskip(SKIP_2) | instid1(VALU_DEP_4)
	v_fma_f64 v[20:21], v[16:17], v[20:21], s[6:7]
	s_mov_b32 s6, 0x6ef28734
	s_wait_alu 0xfffe
	v_mul_f64_e32 v[28:29], s[2:3], v[26:27]
	s_mov_b32 s7, 0x3fa82d5d
	s_delay_alu instid0(VALU_DEP_4) | instskip(NEXT) | instid1(VALU_DEP_4)
	v_ldexp_f64 v[10:11], v[10:11], 1
	v_add_f64_e64 v[14:15], v[22:23], -v[24:25]
	s_wait_alu 0xfffe
	s_delay_alu instid0(VALU_DEP_4) | instskip(SKIP_1) | instid1(VALU_DEP_4)
	v_fma_f64 v[20:21], v[16:17], v[20:21], s[6:7]
	s_mov_b32 s6, 0x3b39803f
	v_fma_f64 v[24:25], v[26:27], s[2:3], -v[28:29]
	s_mov_b32 s2, 0x6a214619
	s_mov_b32 s3, 0xbfaae5ce
	;; [unrolled: 1-line block ×3, first 2 shown]
	s_delay_alu instid0(VALU_DEP_3) | instskip(SKIP_1) | instid1(VALU_DEP_3)
	v_add_f64_e64 v[14:15], v[18:19], -v[14:15]
	s_wait_alu 0xfffe
	v_fma_f64 v[18:19], v[16:17], v[20:21], s[2:3]
	s_mov_b32 s2, 0x8427b883
	s_delay_alu instid0(VALU_DEP_3) | instskip(SKIP_1) | instid1(VALU_DEP_3)
	v_fma_f64 v[20:21], v[26:27], s[6:7], v[24:25]
	s_mov_b32 s3, 0x3fae1bb4
	v_add_f64_e32 v[10:11], v[10:11], v[14:15]
	s_wait_alu 0xfffe
	s_delay_alu instid0(VALU_DEP_3) | instskip(SKIP_1) | instid1(VALU_DEP_3)
	v_fma_f64 v[14:15], v[16:17], v[18:19], s[2:3]
	s_mov_b32 s2, 0x8b207f05
	v_add_f64_e32 v[18:19], v[28:29], v[20:21]
	s_mov_b32 s3, 0xbfb110e4
	s_delay_alu instid0(VALU_DEP_3) | instskip(SKIP_1) | instid1(VALU_DEP_3)
	v_add_f64_e32 v[24:25], v[22:23], v[10:11]
	s_wait_alu 0xfffe
	v_fma_f64 v[14:15], v[16:17], v[14:15], s[2:3]
	s_mov_b32 s2, 0x57b87036
	s_mov_b32 s3, 0x3fb3b136
	s_delay_alu instid0(VALU_DEP_3) | instskip(NEXT) | instid1(VALU_DEP_3)
	v_add_f64_e64 v[28:29], v[18:19], -v[28:29]
	v_add_f64_e32 v[26:27], v[18:19], v[24:25]
	v_add_f64_e64 v[22:23], v[24:25], -v[22:23]
	s_wait_alu 0xfffe
	s_delay_alu instid0(VALU_DEP_4) | instskip(SKIP_2) | instid1(VALU_DEP_4)
	v_fma_f64 v[14:15], v[16:17], v[14:15], s[2:3]
	s_mov_b32 s2, 0x19378e4f
	s_mov_b32 s3, 0xbfb745d1
	v_add_f64_e64 v[20:21], v[20:21], -v[28:29]
	s_delay_alu instid0(VALU_DEP_4) | instskip(NEXT) | instid1(VALU_DEP_4)
	v_add_f64_e64 v[30:31], v[26:27], -v[18:19]
	v_add_f64_e64 v[10:11], v[10:11], -v[22:23]
	s_wait_alu 0xfffe
	s_delay_alu instid0(VALU_DEP_4) | instskip(SKIP_2) | instid1(VALU_DEP_3)
	v_fma_f64 v[14:15], v[16:17], v[14:15], s[2:3]
	s_mov_b32 s2, 0x17e1913c
	s_mov_b32 s3, 0x3fbc71c7
	v_add_f64_e64 v[32:33], v[26:27], -v[30:31]
	v_add_f64_e64 v[22:23], v[24:25], -v[30:31]
	s_delay_alu instid0(VALU_DEP_4) | instskip(SKIP_1) | instid1(VALU_DEP_4)
	v_add_f64_e32 v[24:25], v[20:21], v[10:11]
	s_wait_alu 0xfffe
	v_fma_f64 v[14:15], v[16:17], v[14:15], s[2:3]
	s_mov_b32 s2, 0x92376b7d
	s_mov_b32 s3, 0xbfc24924
	s_delay_alu instid0(VALU_DEP_4) | instskip(SKIP_1) | instid1(VALU_DEP_2)
	v_add_f64_e64 v[18:19], v[18:19], -v[32:33]
	s_wait_alu 0xfffe
	v_fma_f64 v[14:15], v[16:17], v[14:15], s[2:3]
	s_mov_b32 s2, 0x999952cc
	s_mov_b32 s3, 0x3fc99999
	s_delay_alu instid0(VALU_DEP_2) | instskip(SKIP_2) | instid1(VALU_DEP_3)
	v_add_f64_e32 v[18:19], v[22:23], v[18:19]
	v_add_f64_e64 v[22:23], v[24:25], -v[20:21]
	s_wait_alu 0xfffe
	v_fma_f64 v[14:15], v[16:17], v[14:15], s[2:3]
	s_mov_b32 s2, 0x55555523
	s_mov_b32 s3, 0xbfd55555
	s_delay_alu instid0(VALU_DEP_3) | instskip(NEXT) | instid1(VALU_DEP_3)
	v_add_f64_e32 v[18:19], v[24:25], v[18:19]
	v_add_f64_e64 v[24:25], v[24:25], -v[22:23]
	v_add_f64_e64 v[10:11], v[10:11], -v[22:23]
	s_wait_alu 0xfffe
	s_delay_alu instid0(VALU_DEP_4) | instskip(SKIP_2) | instid1(VALU_DEP_4)
	v_fma_f64 v[14:15], v[16:17], v[14:15], s[2:3]
	s_mov_b32 s2, 0x54442d18
	s_mov_b32 s3, 0x3ff921fb
	v_add_f64_e32 v[28:29], v[26:27], v[18:19]
	s_delay_alu instid0(VALU_DEP_2) | instskip(SKIP_1) | instid1(VALU_DEP_3)
	v_mul_f64_e32 v[14:15], v[16:17], v[14:15]
	v_add_f64_e64 v[16:17], v[20:21], -v[24:25]
	v_add_f64_e64 v[20:21], v[28:29], -v[26:27]
	s_delay_alu instid0(VALU_DEP_3) | instskip(NEXT) | instid1(VALU_DEP_3)
	v_fma_f64 v[12:13], v[12:13], v[14:15], v[12:13]
	v_add_f64_e32 v[10:11], v[10:11], v[16:17]
	s_delay_alu instid0(VALU_DEP_3) | instskip(SKIP_1) | instid1(VALU_DEP_3)
	v_add_f64_e64 v[14:15], v[18:19], -v[20:21]
	s_wait_alu 0xfffe
	v_add_f64_e64 v[16:17], -v[12:13], s[2:3]
	s_mov_b32 s3, 0x400921fb
	s_delay_alu instid0(VALU_DEP_2) | instskip(NEXT) | instid1(VALU_DEP_2)
	v_add_f64_e32 v[10:11], v[10:11], v[14:15]
	v_cndmask_b32_e64 v13, v13, v17, s0
	s_delay_alu instid0(VALU_DEP_3) | instskip(SKIP_3) | instid1(VALU_DEP_3)
	v_cndmask_b32_e64 v12, v12, v16, s0
	v_ashrrev_i32_e32 v17, 31, v1
	v_cmp_gt_i32_e64 s0, 0, v1
	s_wait_alu 0xfffe
	v_add_f64_e64 v[14:15], -v[12:13], s[2:3]
	v_cmp_class_f64_e64 s2, v[0:1], 0x204
	v_mov_b32_e32 v0, 0x4002d97c
	v_and_b32_e32 v1, 0x400921fb, v17
	s_wait_alu 0xf1ff
	s_delay_alu instid0(VALU_DEP_2) | instskip(NEXT) | instid1(VALU_DEP_1)
	v_cndmask_b32_e64 v0, 0x3fe921fb, v0, s0
	v_bfi_b32 v0, 0x7fffffff, v0, v3
	v_add_f64_e32 v[10:11], v[28:29], v[10:11]
	v_cndmask_b32_e64 v13, v13, v15, s0
	v_cndmask_b32_e64 v12, v12, v14, s0
	s_wait_alu 0xfffd
	s_delay_alu instid0(VALU_DEP_3) | instskip(SKIP_2) | instid1(VALU_DEP_3)
	v_dual_cndmask_b32 v11, v11, v9 :: v_dual_cndmask_b32 v10, v10, v8
	v_cmp_eq_f64_e32 vcc_lo, 0, v[2:3]
	v_mov_b32_e32 v16, 0x7f3321d2
	v_add_f64_e32 v[10:11], 1.0, v[10:11]
	s_wait_alu 0xfffd
	v_cndmask_b32_e32 v1, v13, v1, vcc_lo
	s_delay_alu instid0(VALU_DEP_3) | instskip(SKIP_2) | instid1(VALU_DEP_1)
	v_cndmask_b32_e64 v16, 0x54442d18, v16, s0
	v_cmp_nge_f64_e64 s0, 0, v[8:9]
	v_and_b32_e32 v18, 0x54442d18, v17
	v_cndmask_b32_e32 v14, v12, v18, vcc_lo
	v_cmp_ngt_f64_e32 vcc_lo, 0, v[8:9]
	s_wait_alu 0xf1ff
	s_delay_alu instid0(VALU_DEP_4)
	v_cndmask_b32_e64 v12, 0, v10, s0
	v_cmp_neq_f64_e64 s0, 0, v[8:9]
	s_wait_alu 0xfffd
	v_cndmask_b32_e32 v11, 0x7ff80000, v11, vcc_lo
	s_and_b32 vcc_lo, s2, s1
	s_wait_alu 0xfffe
	v_cndmask_b32_e32 v15, v1, v0, vcc_lo
	v_cndmask_b32_e32 v14, v14, v16, vcc_lo
	v_cndmask_b32_e64 v13, 0xfff00000, v11, s0
.LBB55_27:
	s_wait_alu 0xfffe
	s_or_b32 exec_lo, exec_lo, s4
                                        ; implicit-def: $vgpr0_vgpr1
.LBB55_28:
	s_wait_alu 0xfffe
	s_and_not1_saveexec_b32 s0, s11
	s_cbranch_execz .LBB55_34
; %bb.29:
	v_cmp_ngt_f64_e64 s1, 0x20000000, |v[0:1]|
	v_cmp_ngt_f64_e64 s2, 0x20000000, |v[2:3]|
                                        ; implicit-def: $vgpr8_vgpr9
	s_or_b32 s1, s1, s2
	s_wait_alu 0xfffe
	s_and_saveexec_b32 s2, s1
	s_wait_alu 0xfffe
	s_xor_b32 s1, exec_lo, s2
	s_cbranch_execz .LBB55_31
; %bb.30:
	v_mul_f64_e32 v[8:9], v[2:3], v[2:3]
	s_delay_alu instid0(VALU_DEP_1)
	v_fma_f64 v[8:9], v[0:1], v[0:1], v[8:9]
                                        ; implicit-def: $vgpr0_vgpr1
.LBB55_31:
	s_wait_alu 0xfffe
	s_and_not1_saveexec_b32 s1, s1
	s_cbranch_execz .LBB55_33
; %bb.32:
	v_mul_f64_e32 v[8:9], 4.0, v[2:3]
	v_mul_f64_e32 v[0:1], 4.0, v[0:1]
	s_delay_alu instid0(VALU_DEP_2) | instskip(NEXT) | instid1(VALU_DEP_1)
	v_mul_f64_e32 v[8:9], v[8:9], v[8:9]
	v_fma_f64 v[0:1], v[0:1], v[0:1], v[8:9]
	s_delay_alu instid0(VALU_DEP_1)
	v_ldexp_f64 v[8:9], v[0:1], -4
.LBB55_33:
	s_wait_alu 0xfffe
	s_or_b32 exec_lo, exec_lo, s1
	s_delay_alu instid0(VALU_DEP_1)
	v_frexp_mant_f64_e32 v[0:1], v[8:9]
	s_mov_b32 s3, 0x3fe55555
	s_mov_b32 s2, 0x55555555
	;; [unrolled: 1-line block ×6, first 2 shown]
	s_wait_alu 0xfffe
	s_delay_alu instid0(VALU_DEP_1) | instskip(SKIP_3) | instid1(VALU_DEP_1)
	v_cmp_gt_f64_e32 vcc_lo, s[2:3], v[0:1]
	s_mov_b32 s2, 0x55555780
	s_wait_alu 0xfffd
	v_cndmask_b32_e64 v2, 0, 1, vcc_lo
	v_ldexp_f64 v[0:1], v[0:1], v2
	v_frexp_exp_i32_f64_e32 v2, v[8:9]
	s_delay_alu instid0(VALU_DEP_2) | instskip(SKIP_1) | instid1(VALU_DEP_3)
	v_add_f64_e32 v[10:11], 1.0, v[0:1]
	v_add_f64_e32 v[16:17], -1.0, v[0:1]
	v_subrev_co_ci_u32_e64 v2, null, 0, v2, vcc_lo
	v_cmp_class_f64_e64 vcc_lo, v[8:9], 0x204
	s_delay_alu instid0(VALU_DEP_4) | instskip(SKIP_1) | instid1(VALU_DEP_1)
	v_rcp_f64_e32 v[12:13], v[10:11]
	v_add_f64_e32 v[18:19], -1.0, v[10:11]
	v_add_f64_e64 v[0:1], v[0:1], -v[18:19]
	s_delay_alu instid0(TRANS32_DEP_1) | instskip(NEXT) | instid1(VALU_DEP_1)
	v_fma_f64 v[14:15], -v[10:11], v[12:13], 1.0
	v_fma_f64 v[12:13], v[14:15], v[12:13], v[12:13]
	s_delay_alu instid0(VALU_DEP_1) | instskip(NEXT) | instid1(VALU_DEP_1)
	v_fma_f64 v[14:15], -v[10:11], v[12:13], 1.0
	v_fma_f64 v[12:13], v[14:15], v[12:13], v[12:13]
	s_delay_alu instid0(VALU_DEP_1) | instskip(NEXT) | instid1(VALU_DEP_1)
	v_mul_f64_e32 v[14:15], v[16:17], v[12:13]
	v_mul_f64_e32 v[20:21], v[10:11], v[14:15]
	s_delay_alu instid0(VALU_DEP_1) | instskip(NEXT) | instid1(VALU_DEP_1)
	v_fma_f64 v[10:11], v[14:15], v[10:11], -v[20:21]
	v_fma_f64 v[0:1], v[14:15], v[0:1], v[10:11]
	s_delay_alu instid0(VALU_DEP_1) | instskip(NEXT) | instid1(VALU_DEP_1)
	v_add_f64_e32 v[10:11], v[20:21], v[0:1]
	v_add_f64_e64 v[18:19], v[16:17], -v[10:11]
	v_add_f64_e64 v[20:21], v[10:11], -v[20:21]
	s_delay_alu instid0(VALU_DEP_2) | instskip(NEXT) | instid1(VALU_DEP_2)
	v_add_f64_e64 v[16:17], v[16:17], -v[18:19]
	v_add_f64_e64 v[0:1], v[20:21], -v[0:1]
	s_delay_alu instid0(VALU_DEP_2) | instskip(NEXT) | instid1(VALU_DEP_1)
	v_add_f64_e64 v[10:11], v[16:17], -v[10:11]
	v_add_f64_e32 v[0:1], v[0:1], v[10:11]
	s_delay_alu instid0(VALU_DEP_1) | instskip(NEXT) | instid1(VALU_DEP_1)
	v_add_f64_e32 v[0:1], v[18:19], v[0:1]
	v_mul_f64_e32 v[0:1], v[12:13], v[0:1]
	s_delay_alu instid0(VALU_DEP_1) | instskip(NEXT) | instid1(VALU_DEP_1)
	v_add_f64_e32 v[10:11], v[14:15], v[0:1]
	v_mul_f64_e32 v[12:13], v[10:11], v[10:11]
	s_delay_alu instid0(VALU_DEP_1) | instskip(SKIP_4) | instid1(VALU_DEP_2)
	v_fma_f64 v[16:17], v[12:13], s[6:7], s[4:5]
	s_mov_b32 s4, 0xd7f4df2e
	s_mov_b32 s5, 0x3fc7474d
	v_mul_f64_e32 v[18:19], v[10:11], v[12:13]
	s_wait_alu 0xfffe
	v_fma_f64 v[16:17], v[12:13], v[16:17], s[4:5]
	s_mov_b32 s4, 0x16291751
	s_mov_b32 s5, 0x3fcc71c0
	s_wait_alu 0xfffe
	s_delay_alu instid0(VALU_DEP_1) | instskip(SKIP_3) | instid1(VALU_DEP_1)
	v_fma_f64 v[16:17], v[12:13], v[16:17], s[4:5]
	s_mov_b32 s4, 0x9b27acf1
	s_mov_b32 s5, 0x3fd24924
	s_wait_alu 0xfffe
	v_fma_f64 v[16:17], v[12:13], v[16:17], s[4:5]
	s_mov_b32 s4, 0x998ef7b6
	s_mov_b32 s5, 0x3fd99999
	s_wait_alu 0xfffe
	s_delay_alu instid0(VALU_DEP_1) | instskip(NEXT) | instid1(VALU_DEP_1)
	v_fma_f64 v[16:17], v[12:13], v[16:17], s[4:5]
	v_fma_f64 v[12:13], v[12:13], v[16:17], s[2:3]
	v_ldexp_f64 v[16:17], v[10:11], 1
	v_add_f64_e64 v[10:11], v[10:11], -v[14:15]
	s_mov_b32 s2, 0xfefa39ef
	s_mov_b32 s3, 0x3fe62e42
	s_delay_alu instid0(VALU_DEP_3) | instskip(SKIP_1) | instid1(VALU_DEP_3)
	v_mul_f64_e32 v[12:13], v[18:19], v[12:13]
	v_cvt_f64_i32_e32 v[18:19], v2
	v_add_f64_e64 v[0:1], v[0:1], -v[10:11]
	s_delay_alu instid0(VALU_DEP_3) | instskip(SKIP_1) | instid1(VALU_DEP_3)
	v_add_f64_e32 v[14:15], v[16:17], v[12:13]
	s_wait_alu 0xfffe
	v_mul_f64_e32 v[20:21], s[2:3], v[18:19]
	s_delay_alu instid0(VALU_DEP_3) | instskip(NEXT) | instid1(VALU_DEP_3)
	v_ldexp_f64 v[0:1], v[0:1], 1
	v_add_f64_e64 v[10:11], v[14:15], -v[16:17]
	s_delay_alu instid0(VALU_DEP_3) | instskip(SKIP_2) | instid1(VALU_DEP_2)
	v_fma_f64 v[16:17], v[18:19], s[2:3], -v[20:21]
	s_mov_b32 s2, 0x3b39803f
	s_mov_b32 s3, 0x3c7abc9e
	v_add_f64_e64 v[10:11], v[12:13], -v[10:11]
	s_wait_alu 0xfffe
	s_delay_alu instid0(VALU_DEP_2) | instskip(NEXT) | instid1(VALU_DEP_2)
	v_fma_f64 v[12:13], v[18:19], s[2:3], v[16:17]
	v_add_f64_e32 v[0:1], v[0:1], v[10:11]
	s_delay_alu instid0(VALU_DEP_2) | instskip(NEXT) | instid1(VALU_DEP_2)
	v_add_f64_e32 v[10:11], v[20:21], v[12:13]
	v_add_f64_e32 v[16:17], v[14:15], v[0:1]
	s_delay_alu instid0(VALU_DEP_2) | instskip(NEXT) | instid1(VALU_DEP_2)
	v_add_f64_e64 v[20:21], v[10:11], -v[20:21]
	v_add_f64_e32 v[18:19], v[10:11], v[16:17]
	v_add_f64_e64 v[14:15], v[16:17], -v[14:15]
	s_delay_alu instid0(VALU_DEP_3) | instskip(NEXT) | instid1(VALU_DEP_3)
	v_add_f64_e64 v[12:13], v[12:13], -v[20:21]
	v_add_f64_e64 v[22:23], v[18:19], -v[10:11]
	s_delay_alu instid0(VALU_DEP_3) | instskip(NEXT) | instid1(VALU_DEP_2)
	v_add_f64_e64 v[0:1], v[0:1], -v[14:15]
	v_add_f64_e64 v[24:25], v[18:19], -v[22:23]
	;; [unrolled: 1-line block ×3, first 2 shown]
	s_delay_alu instid0(VALU_DEP_3) | instskip(NEXT) | instid1(VALU_DEP_3)
	v_add_f64_e32 v[16:17], v[12:13], v[0:1]
	v_add_f64_e64 v[10:11], v[10:11], -v[24:25]
	s_delay_alu instid0(VALU_DEP_1) | instskip(NEXT) | instid1(VALU_DEP_3)
	v_add_f64_e32 v[10:11], v[14:15], v[10:11]
	v_add_f64_e64 v[14:15], v[16:17], -v[12:13]
	s_delay_alu instid0(VALU_DEP_2) | instskip(NEXT) | instid1(VALU_DEP_2)
	v_add_f64_e32 v[10:11], v[16:17], v[10:11]
	v_add_f64_e64 v[16:17], v[16:17], -v[14:15]
	v_add_f64_e64 v[0:1], v[0:1], -v[14:15]
	s_delay_alu instid0(VALU_DEP_3) | instskip(NEXT) | instid1(VALU_DEP_3)
	v_add_f64_e32 v[20:21], v[18:19], v[10:11]
	v_add_f64_e64 v[12:13], v[12:13], -v[16:17]
	s_delay_alu instid0(VALU_DEP_2) | instskip(NEXT) | instid1(VALU_DEP_2)
	v_add_f64_e64 v[14:15], v[20:21], -v[18:19]
	v_add_f64_e32 v[0:1], v[0:1], v[12:13]
	s_delay_alu instid0(VALU_DEP_2) | instskip(SKIP_2) | instid1(VALU_DEP_3)
	v_add_f64_e64 v[10:11], v[10:11], -v[14:15]
	v_mov_b32_e32 v14, 0
	v_mov_b32_e32 v15, 0x7ff80000
	v_add_f64_e32 v[0:1], v[0:1], v[10:11]
	s_delay_alu instid0(VALU_DEP_1) | instskip(SKIP_1) | instid1(VALU_DEP_1)
	v_add_f64_e32 v[0:1], v[20:21], v[0:1]
	s_wait_alu 0xfffd
	v_dual_cndmask_b32 v0, v0, v8 :: v_dual_cndmask_b32 v1, v1, v9
	v_cmp_ngt_f64_e32 vcc_lo, 0, v[8:9]
	s_wait_alu 0xfffd
	s_delay_alu instid0(VALU_DEP_2)
	v_cndmask_b32_e32 v1, 0x7ff80000, v1, vcc_lo
	v_cmp_nge_f64_e32 vcc_lo, 0, v[8:9]
	s_wait_alu 0xfffd
	v_cndmask_b32_e32 v12, 0, v0, vcc_lo
	v_cmp_neq_f64_e32 vcc_lo, 0, v[8:9]
	s_wait_alu 0xfffd
	v_cndmask_b32_e32 v13, 0xfff00000, v1, vcc_lo
.LBB55_34:
	s_wait_alu 0xfffe
	s_or_b32 exec_lo, exec_lo, s0
	s_delay_alu instid0(VALU_DEP_1) | instskip(SKIP_1) | instid1(VALU_DEP_1)
	v_mul_f64_e32 v[0:1], v[6:7], v[12:13]
	v_bfi_b32 v15, 0x7fffffff, v15, v3
	v_mul_f64_e32 v[6:7], v[6:7], v[14:15]
	s_delay_alu instid0(VALU_DEP_3) | instskip(NEXT) | instid1(VALU_DEP_2)
	v_fma_f64 v[2:3], v[4:5], v[14:15], v[0:1]
	v_fma_f64 v[4:5], v[4:5], v[12:13], -v[6:7]
	s_delay_alu instid0(VALU_DEP_2) | instskip(NEXT) | instid1(VALU_DEP_1)
	v_and_b32_e32 v18, 0x7fffffff, v3
	v_or_b32_e32 v0, v18, v2
	s_delay_alu instid0(VALU_DEP_1)
	v_cmp_ne_u32_e32 vcc_lo, 0, v0
                                        ; implicit-def: $vgpr0_vgpr1
	s_and_saveexec_b32 s0, vcc_lo
	s_wait_alu 0xfffe
	s_xor_b32 s4, exec_lo, s0
	s_cbranch_execz .LBB55_40
; %bb.35:
	s_delay_alu instid0(VALU_DEP_4) | instskip(NEXT) | instid1(VALU_DEP_1)
	v_and_b32_e32 v6, 0x7fffffff, v5
	v_or_b32_e32 v0, v6, v4
	s_delay_alu instid0(VALU_DEP_1)
	v_cmp_ne_u32_e32 vcc_lo, 0, v0
                                        ; implicit-def: $vgpr0_vgpr1
	s_and_saveexec_b32 s0, vcc_lo
	s_wait_alu 0xfffe
	s_xor_b32 s5, exec_lo, s0
	s_cbranch_execz .LBB55_67
; %bb.36:
                                        ; implicit-def: $vgpr0_vgpr1
	s_mov_b32 s0, exec_lo
	v_cmpx_gt_u32_e32 0x7ff00000, v18
	s_wait_alu 0xfffe
	s_xor_b32 s6, exec_lo, s0
	s_cbranch_execz .LBB55_60
; %bb.37:
	v_add_nc_u32_e32 v0, 0xbf79d1be, v5
	s_delay_alu instid0(VALU_DEP_1)
	v_cmp_lt_u32_e32 vcc_lo, 0x108aa2, v0
                                        ; implicit-def: $vgpr0_vgpr1
	s_and_saveexec_b32 s0, vcc_lo
	s_wait_alu 0xfffe
	s_xor_b32 s7, exec_lo, s0
	s_cbranch_execz .LBB55_49
; %bb.38:
	v_cmp_ngt_f64_e64 s0, 0x41d00000, |v[2:3]|
                                        ; implicit-def: $vgpr12
                                        ; implicit-def: $vgpr0_vgpr1
                                        ; implicit-def: $vgpr6_vgpr7
	s_and_saveexec_b32 s1, s0
	s_wait_alu 0xfffe
	s_xor_b32 s1, exec_lo, s1
	s_cbranch_execz .LBB55_42
; %bb.39:
	v_ldexp_f64 v[0:1], |v[2:3]|, 0xffffff80
	v_cmp_le_f64_e64 vcc_lo, 0x7b000000, |v[2:3]|
	v_trig_preop_f64 v[6:7], |v[2:3]|, 0
	v_trig_preop_f64 v[8:9], |v[2:3]|, 1
	;; [unrolled: 1-line block ×3, first 2 shown]
	v_mov_b32_e32 v27, 0
	s_mov_b32 s2, 0x54442d18
	s_mov_b32 s3, 0x3ff921fb
	;; [unrolled: 1-line block ×4, first 2 shown]
	s_wait_alu 0xfffd
	v_cndmask_b32_e32 v1, v18, v1, vcc_lo
	v_cndmask_b32_e32 v0, v2, v0, vcc_lo
	s_delay_alu instid0(VALU_DEP_1) | instskip(SKIP_1) | instid1(VALU_DEP_2)
	v_mul_f64_e32 v[10:11], v[6:7], v[0:1]
	v_mul_f64_e32 v[12:13], v[8:9], v[0:1]
	v_fma_f64 v[6:7], v[6:7], v[0:1], -v[10:11]
	s_delay_alu instid0(VALU_DEP_2) | instskip(NEXT) | instid1(VALU_DEP_2)
	v_fma_f64 v[8:9], v[8:9], v[0:1], -v[12:13]
	v_add_f64_e32 v[14:15], v[12:13], v[6:7]
	s_delay_alu instid0(VALU_DEP_1) | instskip(SKIP_1) | instid1(VALU_DEP_2)
	v_add_f64_e64 v[16:17], v[14:15], -v[12:13]
	v_add_f64_e32 v[23:24], v[10:11], v[14:15]
	v_add_f64_e64 v[21:22], v[14:15], -v[16:17]
	v_add_f64_e64 v[6:7], v[6:7], -v[16:17]
	s_delay_alu instid0(VALU_DEP_3) | instskip(SKIP_1) | instid1(VALU_DEP_4)
	v_ldexp_f64 v[16:17], v[23:24], -2
	v_add_f64_e64 v[10:11], v[23:24], -v[10:11]
	v_add_f64_e64 v[12:13], v[12:13], -v[21:22]
	s_delay_alu instid0(VALU_DEP_3) | instskip(NEXT) | instid1(VALU_DEP_3)
	v_cmp_neq_f64_e64 vcc_lo, 0x7ff00000, |v[16:17]|
	v_add_f64_e64 v[10:11], v[14:15], -v[10:11]
	s_delay_alu instid0(VALU_DEP_3) | instskip(SKIP_1) | instid1(VALU_DEP_1)
	v_add_f64_e32 v[6:7], v[6:7], v[12:13]
	v_fract_f64_e32 v[12:13], v[16:17]
	v_ldexp_f64 v[12:13], v[12:13], 2
	s_wait_alu 0xfffd
	s_delay_alu instid0(VALU_DEP_1) | instskip(SKIP_1) | instid1(VALU_DEP_1)
	v_dual_cndmask_b32 v13, 0, v13 :: v_dual_cndmask_b32 v12, 0, v12
	v_mul_f64_e32 v[25:26], v[19:20], v[0:1]
	v_add_f64_e32 v[21:22], v[25:26], v[8:9]
	v_fma_f64 v[0:1], v[19:20], v[0:1], -v[25:26]
	s_delay_alu instid0(VALU_DEP_2) | instskip(NEXT) | instid1(VALU_DEP_1)
	v_add_f64_e32 v[14:15], v[21:22], v[6:7]
	v_add_f64_e32 v[16:17], v[10:11], v[14:15]
	s_delay_alu instid0(VALU_DEP_1) | instskip(SKIP_1) | instid1(VALU_DEP_2)
	v_add_f64_e32 v[23:24], v[16:17], v[12:13]
	v_add_f64_e64 v[10:11], v[16:17], -v[10:11]
	v_cmp_gt_f64_e32 vcc_lo, 0, v[23:24]
	v_add_f64_e64 v[23:24], v[21:22], -v[25:26]
	s_delay_alu instid0(VALU_DEP_3) | instskip(SKIP_2) | instid1(VALU_DEP_3)
	v_add_f64_e64 v[10:11], v[14:15], -v[10:11]
	s_wait_alu 0xfffd
	v_cndmask_b32_e64 v28, 0, 0x40100000, vcc_lo
	v_add_f64_e64 v[32:33], v[21:22], -v[23:24]
	v_add_f64_e64 v[8:9], v[8:9], -v[23:24]
	s_delay_alu instid0(VALU_DEP_3) | instskip(SKIP_1) | instid1(VALU_DEP_4)
	v_add_f64_e32 v[12:13], v[12:13], v[27:28]
	v_add_f64_e64 v[28:29], v[14:15], -v[21:22]
	v_add_f64_e64 v[23:24], v[25:26], -v[32:33]
	s_delay_alu instid0(VALU_DEP_3) | instskip(NEXT) | instid1(VALU_DEP_3)
	v_add_f64_e32 v[30:31], v[16:17], v[12:13]
	v_add_f64_e64 v[34:35], v[14:15], -v[28:29]
	v_add_f64_e64 v[6:7], v[6:7], -v[28:29]
	s_delay_alu instid0(VALU_DEP_4) | instskip(NEXT) | instid1(VALU_DEP_4)
	v_add_f64_e32 v[8:9], v[8:9], v[23:24]
	v_cvt_i32_f64_e32 v30, v[30:31]
	s_delay_alu instid0(VALU_DEP_4) | instskip(NEXT) | instid1(VALU_DEP_2)
	v_add_f64_e64 v[21:22], v[21:22], -v[34:35]
	v_cvt_f64_i32_e32 v[28:29], v30
	s_delay_alu instid0(VALU_DEP_2) | instskip(NEXT) | instid1(VALU_DEP_2)
	v_add_f64_e32 v[6:7], v[6:7], v[21:22]
	v_add_f64_e64 v[12:13], v[12:13], -v[28:29]
	s_delay_alu instid0(VALU_DEP_2) | instskip(NEXT) | instid1(VALU_DEP_2)
	v_add_f64_e32 v[6:7], v[8:9], v[6:7]
	v_add_f64_e32 v[8:9], v[16:17], v[12:13]
	s_delay_alu instid0(VALU_DEP_2) | instskip(NEXT) | instid1(VALU_DEP_2)
	v_add_f64_e32 v[0:1], v[0:1], v[6:7]
	v_add_f64_e64 v[6:7], v[8:9], -v[12:13]
	v_cmp_le_f64_e32 vcc_lo, 0.5, v[8:9]
	s_delay_alu instid0(VALU_DEP_3) | instskip(NEXT) | instid1(VALU_DEP_3)
	v_add_f64_e32 v[0:1], v[10:11], v[0:1]
	v_add_f64_e64 v[6:7], v[16:17], -v[6:7]
	s_wait_alu 0xfffd
	v_cndmask_b32_e64 v28, 0, 0x3ff00000, vcc_lo
	v_add_co_ci_u32_e64 v12, null, 0, v30, vcc_lo
	s_delay_alu instid0(VALU_DEP_3) | instskip(NEXT) | instid1(VALU_DEP_3)
	v_add_f64_e32 v[0:1], v[0:1], v[6:7]
	v_add_f64_e64 v[6:7], v[8:9], -v[27:28]
	s_delay_alu instid0(VALU_DEP_1) | instskip(SKIP_1) | instid1(VALU_DEP_1)
	v_add_f64_e32 v[8:9], v[6:7], v[0:1]
	s_wait_alu 0xfffe
	v_mul_f64_e32 v[10:11], s[2:3], v[8:9]
	v_add_f64_e64 v[6:7], v[8:9], -v[6:7]
	s_delay_alu instid0(VALU_DEP_2) | instskip(NEXT) | instid1(VALU_DEP_2)
	v_fma_f64 v[13:14], v[8:9], s[2:3], -v[10:11]
	v_add_f64_e64 v[0:1], v[0:1], -v[6:7]
	s_delay_alu instid0(VALU_DEP_2) | instskip(NEXT) | instid1(VALU_DEP_1)
	v_fma_f64 v[6:7], v[8:9], s[8:9], v[13:14]
	v_fma_f64 v[6:7], v[0:1], s[2:3], v[6:7]
	s_delay_alu instid0(VALU_DEP_1) | instskip(NEXT) | instid1(VALU_DEP_1)
	v_add_f64_e32 v[0:1], v[10:11], v[6:7]
	v_add_f64_e64 v[8:9], v[0:1], -v[10:11]
	s_delay_alu instid0(VALU_DEP_1)
	v_add_f64_e64 v[6:7], v[6:7], -v[8:9]
	s_and_not1_saveexec_b32 s1, s1
	s_cbranch_execz .LBB55_44
	s_branch .LBB55_43
.LBB55_40:
	s_wait_alu 0xfffe
	s_and_not1_saveexec_b32 s1, s4
	s_cbranch_execz .LBB55_78
.LBB55_41:
	s_mov_b32 s2, 0x652b82fe
	s_mov_b32 s3, 0x3ff71547
	;; [unrolled: 1-line block ×3, first 2 shown]
	s_wait_alu 0xfffe
	s_delay_alu instid0(VALU_DEP_4)
	v_mul_f64_e32 v[0:1], s[2:3], v[4:5]
	s_mov_b32 s2, 0xfefa39ef
	s_mov_b32 s3, 0xbfe62e42
	;; [unrolled: 1-line block ×3, first 2 shown]
	v_cmp_nlt_f64_e32 vcc_lo, 0x40900000, v[4:5]
	v_cmp_ngt_f64_e64 s0, 0xc090cc00, v[4:5]
	s_delay_alu instid0(VALU_DEP_3) | instskip(SKIP_1) | instid1(VALU_DEP_1)
	v_rndne_f64_e32 v[0:1], v[0:1]
	s_wait_alu 0xfffe
	v_fma_f64 v[6:7], v[0:1], s[2:3], v[4:5]
	s_mov_b32 s2, 0x3b39803f
	s_mov_b32 s3, 0xbc7abc9e
	v_cvt_i32_f64_e32 v10, v[0:1]
	s_wait_alu 0xfffe
	s_delay_alu instid0(VALU_DEP_2) | instskip(SKIP_3) | instid1(VALU_DEP_1)
	v_fma_f64 v[6:7], v[0:1], s[2:3], v[6:7]
	s_mov_b32 s2, 0xfca7ab0c
	s_mov_b32 s3, 0x3e928af3
	s_wait_alu 0xfffe
	v_fma_f64 v[8:9], v[6:7], s[4:5], s[2:3]
	s_mov_b32 s2, 0x623fde64
	s_mov_b32 s3, 0x3ec71dee
	s_wait_alu 0xfffe
	s_delay_alu instid0(VALU_DEP_1) | instskip(SKIP_3) | instid1(VALU_DEP_1)
	v_fma_f64 v[8:9], v[6:7], v[8:9], s[2:3]
	s_mov_b32 s2, 0x7c89e6b0
	s_mov_b32 s3, 0x3efa0199
	s_wait_alu 0xfffe
	v_fma_f64 v[8:9], v[6:7], v[8:9], s[2:3]
	s_mov_b32 s2, 0x14761f6e
	s_mov_b32 s3, 0x3f2a01a0
	s_wait_alu 0xfffe
	s_delay_alu instid0(VALU_DEP_1) | instskip(SKIP_3) | instid1(VALU_DEP_1)
	;; [unrolled: 9-line block ×4, first 2 shown]
	v_fma_f64 v[8:9], v[6:7], v[8:9], s[2:3]
	s_mov_b32 s2, 11
	s_mov_b32 s3, 0x3fe00000
	s_wait_alu 0xfffe
	v_fma_f64 v[8:9], v[6:7], v[8:9], s[2:3]
	s_delay_alu instid0(VALU_DEP_1) | instskip(NEXT) | instid1(VALU_DEP_1)
	v_fma_f64 v[8:9], v[6:7], v[8:9], 1.0
	v_fma_f64 v[0:1], v[6:7], v[8:9], 1.0
	s_delay_alu instid0(VALU_DEP_1) | instskip(SKIP_1) | instid1(VALU_DEP_1)
	v_ldexp_f64 v[0:1], v[0:1], v10
	s_wait_alu 0xfffd
	v_cndmask_b32_e32 v1, 0x7ff00000, v1, vcc_lo
	s_and_b32 vcc_lo, s0, vcc_lo
	s_wait_alu 0xfffe
	s_delay_alu instid0(VALU_DEP_2) | instskip(NEXT) | instid1(VALU_DEP_2)
	v_cndmask_b32_e32 v0, 0, v0, vcc_lo
	v_cndmask_b32_e64 v1, 0, v1, s0
	s_or_b32 exec_lo, exec_lo, s1
	s_setpc_b64 s[30:31]
.LBB55_42:
	s_wait_alu 0xfffe
	s_and_not1_saveexec_b32 s1, s1
	s_cbranch_execz .LBB55_44
.LBB55_43:
	s_mov_b32 s2, 0x6dc9c883
	s_mov_b32 s3, 0x3fe45f30
	;; [unrolled: 1-line block ×3, first 2 shown]
	s_wait_alu 0xfffe
	v_mul_f64_e64 v[0:1], |v[2:3]|, s[2:3]
	s_mov_b32 s2, 0x54442d18
	s_mov_b32 s3, 0xbff921fb
	;; [unrolled: 1-line block ×3, first 2 shown]
	s_delay_alu instid0(VALU_DEP_1) | instskip(SKIP_1) | instid1(VALU_DEP_1)
	v_rndne_f64_e32 v[8:9], v[0:1]
	s_wait_alu 0xfffe
	v_fma_f64 v[0:1], v[8:9], s[2:3], |v[2:3]|
	v_mul_f64_e32 v[6:7], s[8:9], v[8:9]
	s_mov_b32 s2, 0x252049c0
	s_mov_b32 s3, 0xb97b839a
	s_delay_alu instid0(VALU_DEP_2) | instskip(NEXT) | instid1(VALU_DEP_2)
	v_fma_f64 v[12:13], v[8:9], s[8:9], v[0:1]
	v_add_f64_e32 v[10:11], v[0:1], v[6:7]
	s_mov_b32 s9, 0x3c91a626
	s_delay_alu instid0(VALU_DEP_1) | instskip(NEXT) | instid1(VALU_DEP_3)
	v_add_f64_e64 v[0:1], v[0:1], -v[10:11]
	v_add_f64_e64 v[10:11], v[10:11], -v[12:13]
	s_delay_alu instid0(VALU_DEP_2) | instskip(SKIP_2) | instid1(VALU_DEP_2)
	v_add_f64_e32 v[0:1], v[0:1], v[6:7]
	s_wait_alu 0xfffe
	v_fma_f64 v[6:7], v[8:9], s[8:9], v[6:7]
	v_add_f64_e32 v[0:1], v[10:11], v[0:1]
	s_delay_alu instid0(VALU_DEP_1) | instskip(NEXT) | instid1(VALU_DEP_1)
	v_add_f64_e64 v[0:1], v[0:1], -v[6:7]
	v_fma_f64 v[6:7], v[8:9], s[2:3], v[0:1]
	s_delay_alu instid0(VALU_DEP_1) | instskip(NEXT) | instid1(VALU_DEP_1)
	v_add_f64_e32 v[0:1], v[12:13], v[6:7]
	v_add_f64_e64 v[10:11], v[0:1], -v[12:13]
	v_cvt_i32_f64_e32 v12, v[8:9]
	s_delay_alu instid0(VALU_DEP_2)
	v_add_f64_e64 v[6:7], v[6:7], -v[10:11]
.LBB55_44:
	s_wait_alu 0xfffe
	s_or_b32 exec_lo, exec_lo, s1
                                        ; implicit-def: $vgpr13
                                        ; implicit-def: $vgpr8_vgpr9
                                        ; implicit-def: $vgpr10_vgpr11
	s_and_saveexec_b32 s1, s0
	s_wait_alu 0xfffe
	s_xor_b32 s0, exec_lo, s1
	s_cbranch_execz .LBB55_46
; %bb.45:
	v_ldexp_f64 v[8:9], |v[2:3]|, 0xffffff80
	v_cmp_le_f64_e64 vcc_lo, 0x7b000000, |v[2:3]|
	v_trig_preop_f64 v[10:11], |v[2:3]|, 0
	v_trig_preop_f64 v[13:14], |v[2:3]|, 1
	;; [unrolled: 1-line block ×3, first 2 shown]
	v_mov_b32_e32 v31, 0
	s_mov_b32 s2, 0x54442d18
	s_mov_b32 s3, 0x3ff921fb
	;; [unrolled: 1-line block ×4, first 2 shown]
	s_wait_alu 0xfffd
	v_cndmask_b32_e32 v9, v18, v9, vcc_lo
	v_cndmask_b32_e32 v8, v2, v8, vcc_lo
	s_delay_alu instid0(VALU_DEP_1) | instskip(SKIP_1) | instid1(VALU_DEP_2)
	v_mul_f64_e32 v[15:16], v[10:11], v[8:9]
	v_mul_f64_e32 v[17:18], v[13:14], v[8:9]
	v_fma_f64 v[10:11], v[10:11], v[8:9], -v[15:16]
	s_delay_alu instid0(VALU_DEP_2) | instskip(NEXT) | instid1(VALU_DEP_2)
	v_fma_f64 v[13:14], v[13:14], v[8:9], -v[17:18]
	v_add_f64_e32 v[19:20], v[17:18], v[10:11]
	s_delay_alu instid0(VALU_DEP_1) | instskip(SKIP_1) | instid1(VALU_DEP_2)
	v_add_f64_e64 v[21:22], v[19:20], -v[17:18]
	v_add_f64_e32 v[27:28], v[15:16], v[19:20]
	v_add_f64_e64 v[25:26], v[19:20], -v[21:22]
	v_add_f64_e64 v[10:11], v[10:11], -v[21:22]
	s_delay_alu instid0(VALU_DEP_3) | instskip(SKIP_1) | instid1(VALU_DEP_4)
	v_ldexp_f64 v[21:22], v[27:28], -2
	v_add_f64_e64 v[15:16], v[27:28], -v[15:16]
	v_add_f64_e64 v[17:18], v[17:18], -v[25:26]
	s_delay_alu instid0(VALU_DEP_3) | instskip(NEXT) | instid1(VALU_DEP_3)
	v_cmp_neq_f64_e64 vcc_lo, 0x7ff00000, |v[21:22]|
	v_add_f64_e64 v[15:16], v[19:20], -v[15:16]
	s_delay_alu instid0(VALU_DEP_3) | instskip(SKIP_1) | instid1(VALU_DEP_1)
	v_add_f64_e32 v[10:11], v[10:11], v[17:18]
	v_fract_f64_e32 v[17:18], v[21:22]
	v_ldexp_f64 v[17:18], v[17:18], 2
	s_wait_alu 0xfffd
	s_delay_alu instid0(VALU_DEP_1) | instskip(SKIP_1) | instid1(VALU_DEP_1)
	v_dual_cndmask_b32 v18, 0, v18 :: v_dual_cndmask_b32 v17, 0, v17
	v_mul_f64_e32 v[29:30], v[23:24], v[8:9]
	v_add_f64_e32 v[25:26], v[29:30], v[13:14]
	v_fma_f64 v[8:9], v[23:24], v[8:9], -v[29:30]
	s_delay_alu instid0(VALU_DEP_2) | instskip(NEXT) | instid1(VALU_DEP_1)
	v_add_f64_e32 v[19:20], v[25:26], v[10:11]
	v_add_f64_e32 v[21:22], v[15:16], v[19:20]
	s_delay_alu instid0(VALU_DEP_1) | instskip(SKIP_1) | instid1(VALU_DEP_2)
	v_add_f64_e32 v[27:28], v[21:22], v[17:18]
	v_add_f64_e64 v[15:16], v[21:22], -v[15:16]
	v_cmp_gt_f64_e32 vcc_lo, 0, v[27:28]
	v_add_f64_e64 v[27:28], v[25:26], -v[29:30]
	s_wait_alu 0xfffd
	v_cndmask_b32_e64 v32, 0, 0x40100000, vcc_lo
	s_delay_alu instid0(VALU_DEP_2) | instskip(SKIP_1) | instid1(VALU_DEP_3)
	v_add_f64_e64 v[36:37], v[25:26], -v[27:28]
	v_add_f64_e64 v[13:14], v[13:14], -v[27:28]
	v_add_f64_e32 v[17:18], v[17:18], v[31:32]
	v_add_f64_e64 v[32:33], v[19:20], -v[25:26]
	s_delay_alu instid0(VALU_DEP_4) | instskip(NEXT) | instid1(VALU_DEP_3)
	v_add_f64_e64 v[27:28], v[29:30], -v[36:37]
	v_add_f64_e32 v[34:35], v[21:22], v[17:18]
	s_delay_alu instid0(VALU_DEP_3) | instskip(SKIP_1) | instid1(VALU_DEP_4)
	v_add_f64_e64 v[38:39], v[19:20], -v[32:33]
	v_add_f64_e64 v[10:11], v[10:11], -v[32:33]
	v_add_f64_e32 v[13:14], v[13:14], v[27:28]
	s_delay_alu instid0(VALU_DEP_4) | instskip(NEXT) | instid1(VALU_DEP_4)
	v_cvt_i32_f64_e32 v34, v[34:35]
	v_add_f64_e64 v[25:26], v[25:26], -v[38:39]
	s_delay_alu instid0(VALU_DEP_2) | instskip(NEXT) | instid1(VALU_DEP_2)
	v_cvt_f64_i32_e32 v[32:33], v34
	v_add_f64_e32 v[10:11], v[10:11], v[25:26]
	s_delay_alu instid0(VALU_DEP_2) | instskip(NEXT) | instid1(VALU_DEP_2)
	v_add_f64_e64 v[17:18], v[17:18], -v[32:33]
	v_add_f64_e32 v[10:11], v[13:14], v[10:11]
	v_add_f64_e64 v[13:14], v[19:20], -v[15:16]
	s_delay_alu instid0(VALU_DEP_3) | instskip(NEXT) | instid1(VALU_DEP_3)
	v_add_f64_e32 v[23:24], v[21:22], v[17:18]
	v_add_f64_e32 v[8:9], v[8:9], v[10:11]
	s_delay_alu instid0(VALU_DEP_2) | instskip(SKIP_1) | instid1(VALU_DEP_3)
	v_add_f64_e64 v[10:11], v[23:24], -v[17:18]
	v_cmp_le_f64_e32 vcc_lo, 0.5, v[23:24]
	v_add_f64_e32 v[8:9], v[13:14], v[8:9]
	s_delay_alu instid0(VALU_DEP_3) | instskip(SKIP_3) | instid1(VALU_DEP_3)
	v_add_f64_e64 v[10:11], v[21:22], -v[10:11]
	s_wait_alu 0xfffd
	v_cndmask_b32_e64 v32, 0, 0x3ff00000, vcc_lo
	v_add_co_ci_u32_e64 v13, null, 0, v34, vcc_lo
	v_add_f64_e32 v[8:9], v[8:9], v[10:11]
	s_delay_alu instid0(VALU_DEP_3) | instskip(NEXT) | instid1(VALU_DEP_1)
	v_add_f64_e64 v[10:11], v[23:24], -v[31:32]
	v_add_f64_e32 v[14:15], v[10:11], v[8:9]
	s_wait_alu 0xfffe
	s_delay_alu instid0(VALU_DEP_1) | instskip(SKIP_1) | instid1(VALU_DEP_2)
	v_mul_f64_e32 v[16:17], s[2:3], v[14:15]
	v_add_f64_e64 v[10:11], v[14:15], -v[10:11]
	v_fma_f64 v[18:19], v[14:15], s[2:3], -v[16:17]
	s_delay_alu instid0(VALU_DEP_2) | instskip(NEXT) | instid1(VALU_DEP_2)
	v_add_f64_e64 v[8:9], v[8:9], -v[10:11]
	v_fma_f64 v[10:11], v[14:15], s[8:9], v[18:19]
	s_delay_alu instid0(VALU_DEP_1) | instskip(NEXT) | instid1(VALU_DEP_1)
	v_fma_f64 v[10:11], v[8:9], s[2:3], v[10:11]
	v_add_f64_e32 v[8:9], v[16:17], v[10:11]
	s_delay_alu instid0(VALU_DEP_1) | instskip(NEXT) | instid1(VALU_DEP_1)
	v_add_f64_e64 v[14:15], v[8:9], -v[16:17]
	v_add_f64_e64 v[10:11], v[10:11], -v[14:15]
	s_and_not1_saveexec_b32 s0, s0
	s_cbranch_execnz .LBB55_47
	s_branch .LBB55_48
.LBB55_46:
	s_wait_alu 0xfffe
	s_and_not1_saveexec_b32 s0, s0
	s_cbranch_execz .LBB55_48
.LBB55_47:
	s_mov_b32 s2, 0x6dc9c883
	s_mov_b32 s3, 0x3fe45f30
	;; [unrolled: 1-line block ×3, first 2 shown]
	s_wait_alu 0xfffe
	v_mul_f64_e64 v[8:9], |v[2:3]|, s[2:3]
	s_mov_b32 s2, 0x54442d18
	s_mov_b32 s3, 0xbff921fb
	s_mov_b32 s8, 0x33145c00
	s_delay_alu instid0(VALU_DEP_1) | instskip(SKIP_1) | instid1(VALU_DEP_1)
	v_rndne_f64_e32 v[13:14], v[8:9]
	s_wait_alu 0xfffe
	v_fma_f64 v[8:9], v[13:14], s[2:3], |v[2:3]|
	v_mul_f64_e32 v[10:11], s[8:9], v[13:14]
	s_mov_b32 s2, 0x252049c0
	s_mov_b32 s3, 0xb97b839a
	s_delay_alu instid0(VALU_DEP_2) | instskip(NEXT) | instid1(VALU_DEP_2)
	v_fma_f64 v[17:18], v[13:14], s[8:9], v[8:9]
	v_add_f64_e32 v[15:16], v[8:9], v[10:11]
	s_mov_b32 s9, 0x3c91a626
	s_delay_alu instid0(VALU_DEP_1) | instskip(NEXT) | instid1(VALU_DEP_3)
	v_add_f64_e64 v[8:9], v[8:9], -v[15:16]
	v_add_f64_e64 v[15:16], v[15:16], -v[17:18]
	s_delay_alu instid0(VALU_DEP_2) | instskip(SKIP_2) | instid1(VALU_DEP_2)
	v_add_f64_e32 v[8:9], v[8:9], v[10:11]
	s_wait_alu 0xfffe
	v_fma_f64 v[10:11], v[13:14], s[8:9], v[10:11]
	v_add_f64_e32 v[8:9], v[15:16], v[8:9]
	s_delay_alu instid0(VALU_DEP_1) | instskip(NEXT) | instid1(VALU_DEP_1)
	v_add_f64_e64 v[8:9], v[8:9], -v[10:11]
	v_fma_f64 v[10:11], v[13:14], s[2:3], v[8:9]
	v_cvt_i32_f64_e32 v13, v[13:14]
	s_delay_alu instid0(VALU_DEP_2) | instskip(NEXT) | instid1(VALU_DEP_1)
	v_add_f64_e32 v[8:9], v[17:18], v[10:11]
	v_add_f64_e64 v[15:16], v[8:9], -v[17:18]
	s_delay_alu instid0(VALU_DEP_1)
	v_add_f64_e64 v[10:11], v[10:11], -v[15:16]
.LBB55_48:
	s_wait_alu 0xfffe
	s_or_b32 exec_lo, exec_lo, s0
	s_mov_b32 s0, 0x652b82fe
	s_mov_b32 s1, 0x3ff71547
	;; [unrolled: 1-line block ×3, first 2 shown]
	s_wait_alu 0xfffe
	v_mul_f64_e32 v[14:15], s[0:1], v[4:5]
	s_mov_b32 s0, 0xfefa39ef
	s_mov_b32 s1, 0xbfe62e42
	;; [unrolled: 1-line block ×3, first 2 shown]
	v_mul_f64_e32 v[20:21], v[0:1], v[0:1]
	v_mul_f64_e32 v[22:23], v[8:9], v[8:9]
	s_mov_b32 s8, 0x1852b7b0
	s_mov_b32 s9, 0x3f56c16c
	;; [unrolled: 1-line block ×6, first 2 shown]
	s_delay_alu instid0(VALU_DEP_4)
	v_mul_f64_e32 v[48:49], 0.5, v[6:7]
	s_mov_b32 s14, 0x19f4ec90
	s_mov_b32 s15, 0x3efa01a0
	v_mul_f64_e32 v[54:55], 0.5, v[10:11]
	v_rndne_f64_e32 v[14:15], v[14:15]
	v_mul_f64_e32 v[28:29], 0.5, v[20:21]
	v_mul_f64_e32 v[32:33], 0.5, v[22:23]
	v_mul_f64_e64 v[50:51], v[0:1], -v[20:21]
	v_mul_f64_e64 v[64:65], v[8:9], -v[22:23]
	s_wait_alu 0xfffe
	v_fma_f64 v[16:17], v[14:15], s[0:1], v[4:5]
	s_mov_b32 s0, 0x3b39803f
	s_mov_b32 s1, 0xbc7abc9e
	v_add_f64_e64 v[36:37], -v[28:29], 1.0
	v_add_f64_e64 v[38:39], -v[32:33], 1.0
	s_wait_alu 0xfffe
	s_delay_alu instid0(VALU_DEP_3) | instskip(SKIP_2) | instid1(VALU_DEP_3)
	v_fma_f64 v[16:17], v[14:15], s[0:1], v[16:17]
	s_mov_b32 s0, 0xfca7ab0c
	s_mov_b32 s1, 0x3e928af3
	v_add_f64_e64 v[52:53], -v[36:37], 1.0
	s_delay_alu instid0(VALU_DEP_3) | instskip(SKIP_1) | instid1(VALU_DEP_3)
	v_add_f64_e64 v[66:67], -v[38:39], 1.0
	s_wait_alu 0xfffe
	v_fma_f64 v[18:19], v[16:17], s[2:3], s[0:1]
	s_mov_b32 s0, 0x623fde64
	s_mov_b32 s1, 0x3ec71dee
	;; [unrolled: 1-line block ×4, first 2 shown]
	s_delay_alu instid0(VALU_DEP_3) | instskip(NEXT) | instid1(VALU_DEP_3)
	v_add_f64_e64 v[28:29], v[52:53], -v[28:29]
	v_add_f64_e64 v[32:33], v[66:67], -v[32:33]
	s_wait_alu 0xfffe
	s_delay_alu instid0(VALU_DEP_3) | instskip(SKIP_2) | instid1(VALU_DEP_3)
	v_fma_f64 v[18:19], v[16:17], v[18:19], s[0:1]
	s_mov_b32 s0, 0x7c89e6b0
	s_mov_b32 s1, 0x3efa0199
	v_fma_f64 v[28:29], v[0:1], -v[6:7], v[28:29]
	s_wait_alu 0xfffe
	s_delay_alu instid0(VALU_DEP_2) | instskip(SKIP_3) | instid1(VALU_DEP_1)
	v_fma_f64 v[18:19], v[16:17], v[18:19], s[0:1]
	s_mov_b32 s0, 0x14761f6e
	s_mov_b32 s1, 0x3f2a01a0
	s_wait_alu 0xfffe
	v_fma_f64 v[18:19], v[16:17], v[18:19], s[0:1]
	s_mov_b32 s0, 0xb42fdfa7
	s_mov_b32 s1, 0xbe5ae600
	s_wait_alu 0xfffe
	v_fma_f64 v[24:25], v[20:21], s[2:3], s[0:1]
	v_fma_f64 v[26:27], v[22:23], s[2:3], s[0:1]
	s_mov_b32 s2, 0x796cde01
	s_mov_b32 s3, 0x3ec71de3
	;; [unrolled: 1-line block ×4, first 2 shown]
	s_wait_alu 0xfffe
	v_fma_f64 v[30:31], v[20:21], s[0:1], s[10:11]
	v_fma_f64 v[34:35], v[22:23], s[0:1], s[10:11]
	s_mov_b32 s0, 0xa17f65f6
	s_mov_b32 s1, 0xbe927e4f
	s_mov_b32 s10, 0x55555511
	s_mov_b32 s11, 0x3fc55555
	v_fma_f64 v[18:19], v[16:17], v[18:19], s[8:9]
	s_mov_b32 s9, 0x3f811111
	s_mov_b32 s8, 0x11122322
	v_fma_f64 v[24:25], v[20:21], v[24:25], s[2:3]
	v_fma_f64 v[26:27], v[22:23], v[26:27], s[2:3]
	s_mov_b32 s2, 0x19e83e5c
	s_mov_b32 s3, 0xbf2a01a0
	s_wait_alu 0xfffe
	v_fma_f64 v[30:31], v[20:21], v[30:31], s[0:1]
	v_fma_f64 v[34:35], v[22:23], v[34:35], s[0:1]
	s_mov_b32 s0, 11
	s_mov_b32 s1, 0x3fe00000
	v_fma_f64 v[18:19], v[16:17], v[18:19], s[8:9]
	s_mov_b32 s8, 0x11110bb3
	v_fma_f64 v[24:25], v[20:21], v[24:25], s[2:3]
	v_fma_f64 v[26:27], v[22:23], v[26:27], s[2:3]
	s_mov_b32 s2, 0x16c16967
	s_mov_b32 s3, 0xbf56c16c
	v_fma_f64 v[30:31], v[20:21], v[30:31], s[14:15]
	v_fma_f64 v[34:35], v[22:23], v[34:35], s[14:15]
	;; [unrolled: 1-line block ×3, first 2 shown]
	s_mov_b32 s12, 0x55555555
	s_wait_alu 0xfffe
	v_fma_f64 v[24:25], v[20:21], v[24:25], s[8:9]
	v_fma_f64 v[26:27], v[22:23], v[26:27], s[8:9]
	;; [unrolled: 1-line block ×4, first 2 shown]
	v_cmp_ngt_f64_e64 s2, 0xc090cc00, v[4:5]
	v_fma_f64 v[18:19], v[16:17], v[18:19], s[10:11]
	v_fma_f64 v[24:25], v[50:51], v[24:25], v[48:49]
	;; [unrolled: 1-line block ×3, first 2 shown]
	v_mul_f64_e32 v[48:49], v[20:21], v[20:21]
	v_fma_f64 v[30:31], v[20:21], v[30:31], s[12:13]
	v_fma_f64 v[18:19], v[16:17], v[18:19], s[0:1]
	v_cmp_nlt_f64_e64 s1, 0x40900000, v[4:5]
	v_cmp_class_f64_e64 s0, v[2:3], 0x1f8
	v_lshlrev_b32_e32 v2, 30, v13
	v_fma_f64 v[6:7], v[20:21], v[24:25], -v[6:7]
	v_mul_f64_e32 v[20:21], v[22:23], v[22:23]
	v_fma_f64 v[24:25], v[8:9], -v[10:11], v[32:33]
	v_fma_f64 v[32:33], v[22:23], v[34:35], s[12:13]
	v_fma_f64 v[10:11], v[22:23], v[26:27], -v[10:11]
	s_mov_b32 s13, 0xbfc55555
	v_cvt_i32_f64_e32 v26, v[14:15]
	v_fma_f64 v[22:23], v[48:49], v[30:31], v[28:29]
	v_lshlrev_b32_e32 v4, 30, v12
	v_xor_b32_e32 v2, v2, v3
	v_and_b32_e32 v5, 1, v13
	s_delay_alu instid0(VALU_DEP_2) | instskip(NEXT) | instid1(VALU_DEP_2)
	v_and_b32_e32 v2, 0x80000000, v2
	v_cmp_eq_u32_e64 s3, 0, v5
	v_fma_f64 v[18:19], v[16:17], v[18:19], 1.0
	s_wait_alu 0xfffe
	v_fma_f64 v[6:7], v[50:51], s[12:13], v[6:7]
	v_fma_f64 v[10:11], v[64:65], s[12:13], v[10:11]
	s_delay_alu instid0(VALU_DEP_3)
	v_fma_f64 v[14:15], v[16:17], v[18:19], 1.0
	v_fma_f64 v[16:17], v[20:21], v[32:33], v[24:25]
	v_add_f64_e32 v[18:19], v[36:37], v[22:23]
	v_add_f64_e64 v[0:1], v[0:1], -v[6:7]
	v_add_f64_e64 v[8:9], v[8:9], -v[10:11]
	v_ldexp_f64 v[6:7], v[14:15], v26
	v_add_f64_e32 v[14:15], v[38:39], v[16:17]
	s_delay_alu instid0(VALU_DEP_4) | instskip(SKIP_1) | instid1(VALU_DEP_1)
	v_xor_b32_e32 v1, 0x80000000, v1
	v_and_b32_e32 v10, 1, v12
	v_cmp_eq_u32_e32 vcc_lo, 0, v10
	s_wait_alu 0xfffd
	s_delay_alu instid0(VALU_DEP_3) | instskip(SKIP_2) | instid1(VALU_DEP_2)
	v_dual_cndmask_b32 v0, v0, v18 :: v_dual_cndmask_b32 v1, v1, v19
	s_and_b32 vcc_lo, s2, s1
	v_and_b32_e32 v3, 0x80000000, v4
                                        ; implicit-def: $vgpr18
	v_cndmask_b32_e64 v0, 0, v0, s0
	s_delay_alu instid0(VALU_DEP_2) | instskip(NEXT) | instid1(VALU_DEP_1)
	v_xor_b32_e32 v1, v1, v3
	v_cndmask_b32_e64 v1, 0x7ff80000, v1, s0
	v_cndmask_b32_e64 v7, 0x7ff00000, v7, s1
	;; [unrolled: 1-line block ×4, first 2 shown]
	s_delay_alu instid0(VALU_DEP_2) | instskip(NEXT) | instid1(VALU_DEP_2)
	v_xor_b32_e32 v3, v5, v2
	v_cndmask_b32_e64 v2, 0, v4, s0
	v_cndmask_b32_e64 v5, 0, v7, s2
	s_wait_alu 0xfffe
	v_cndmask_b32_e32 v4, 0, v6, vcc_lo
	v_cndmask_b32_e64 v3, 0x7ff80000, v3, s0
	s_delay_alu instid0(VALU_DEP_2) | instskip(NEXT) | instid1(VALU_DEP_2)
	v_mul_f64_e32 v[0:1], v[4:5], v[0:1]
	v_mul_f64_e32 v[2:3], v[4:5], v[2:3]
                                        ; implicit-def: $vgpr4_vgpr5
.LBB55_49:
	s_wait_alu 0xfffe
	s_and_not1_saveexec_b32 s7, s7
	s_cbranch_execz .LBB55_52
; %bb.50:
	s_delay_alu instid0(VALU_DEP_1)
	v_cmp_ngt_f64_e64 s0, 0x41d00000, |v[2:3]|
                                        ; implicit-def: $vgpr12
                                        ; implicit-def: $vgpr0_vgpr1
                                        ; implicit-def: $vgpr6_vgpr7
	s_and_saveexec_b32 s1, s0
	s_wait_alu 0xfffe
	s_xor_b32 s1, exec_lo, s1
	s_cbranch_execz .LBB55_53
; %bb.51:
	v_ldexp_f64 v[0:1], |v[2:3]|, 0xffffff80
	v_cmp_le_f64_e64 vcc_lo, 0x7b000000, |v[2:3]|
	v_trig_preop_f64 v[6:7], |v[2:3]|, 0
	v_trig_preop_f64 v[8:9], |v[2:3]|, 1
	;; [unrolled: 1-line block ×3, first 2 shown]
	v_mov_b32_e32 v27, 0
	s_mov_b32 s2, 0x54442d18
	s_mov_b32 s3, 0x3ff921fb
	;; [unrolled: 1-line block ×4, first 2 shown]
	s_wait_alu 0xfffd
	v_cndmask_b32_e32 v1, v18, v1, vcc_lo
	v_cndmask_b32_e32 v0, v2, v0, vcc_lo
	s_delay_alu instid0(VALU_DEP_1) | instskip(SKIP_1) | instid1(VALU_DEP_2)
	v_mul_f64_e32 v[10:11], v[6:7], v[0:1]
	v_mul_f64_e32 v[12:13], v[8:9], v[0:1]
	v_fma_f64 v[6:7], v[6:7], v[0:1], -v[10:11]
	s_delay_alu instid0(VALU_DEP_2) | instskip(NEXT) | instid1(VALU_DEP_2)
	v_fma_f64 v[8:9], v[8:9], v[0:1], -v[12:13]
	v_add_f64_e32 v[14:15], v[12:13], v[6:7]
	s_delay_alu instid0(VALU_DEP_1) | instskip(SKIP_1) | instid1(VALU_DEP_2)
	v_add_f64_e64 v[16:17], v[14:15], -v[12:13]
	v_add_f64_e32 v[23:24], v[10:11], v[14:15]
	v_add_f64_e64 v[21:22], v[14:15], -v[16:17]
	v_add_f64_e64 v[6:7], v[6:7], -v[16:17]
	s_delay_alu instid0(VALU_DEP_3) | instskip(SKIP_1) | instid1(VALU_DEP_4)
	v_ldexp_f64 v[16:17], v[23:24], -2
	v_add_f64_e64 v[10:11], v[23:24], -v[10:11]
	v_add_f64_e64 v[12:13], v[12:13], -v[21:22]
	s_delay_alu instid0(VALU_DEP_3) | instskip(NEXT) | instid1(VALU_DEP_3)
	v_cmp_neq_f64_e64 vcc_lo, 0x7ff00000, |v[16:17]|
	v_add_f64_e64 v[10:11], v[14:15], -v[10:11]
	s_delay_alu instid0(VALU_DEP_3) | instskip(SKIP_1) | instid1(VALU_DEP_1)
	v_add_f64_e32 v[6:7], v[6:7], v[12:13]
	v_fract_f64_e32 v[12:13], v[16:17]
	v_ldexp_f64 v[12:13], v[12:13], 2
	s_wait_alu 0xfffd
	s_delay_alu instid0(VALU_DEP_1) | instskip(SKIP_1) | instid1(VALU_DEP_1)
	v_dual_cndmask_b32 v13, 0, v13 :: v_dual_cndmask_b32 v12, 0, v12
	v_mul_f64_e32 v[25:26], v[19:20], v[0:1]
	v_add_f64_e32 v[21:22], v[25:26], v[8:9]
	v_fma_f64 v[0:1], v[19:20], v[0:1], -v[25:26]
	s_delay_alu instid0(VALU_DEP_2) | instskip(NEXT) | instid1(VALU_DEP_1)
	v_add_f64_e32 v[14:15], v[21:22], v[6:7]
	v_add_f64_e32 v[16:17], v[10:11], v[14:15]
	s_delay_alu instid0(VALU_DEP_1) | instskip(SKIP_1) | instid1(VALU_DEP_2)
	v_add_f64_e32 v[23:24], v[16:17], v[12:13]
	v_add_f64_e64 v[10:11], v[16:17], -v[10:11]
	v_cmp_gt_f64_e32 vcc_lo, 0, v[23:24]
	v_add_f64_e64 v[23:24], v[21:22], -v[25:26]
	s_delay_alu instid0(VALU_DEP_3) | instskip(SKIP_2) | instid1(VALU_DEP_3)
	v_add_f64_e64 v[10:11], v[14:15], -v[10:11]
	s_wait_alu 0xfffd
	v_cndmask_b32_e64 v28, 0, 0x40100000, vcc_lo
	v_add_f64_e64 v[32:33], v[21:22], -v[23:24]
	v_add_f64_e64 v[8:9], v[8:9], -v[23:24]
	s_delay_alu instid0(VALU_DEP_3) | instskip(SKIP_1) | instid1(VALU_DEP_4)
	v_add_f64_e32 v[12:13], v[12:13], v[27:28]
	v_add_f64_e64 v[28:29], v[14:15], -v[21:22]
	v_add_f64_e64 v[23:24], v[25:26], -v[32:33]
	s_delay_alu instid0(VALU_DEP_3) | instskip(NEXT) | instid1(VALU_DEP_3)
	v_add_f64_e32 v[30:31], v[16:17], v[12:13]
	v_add_f64_e64 v[34:35], v[14:15], -v[28:29]
	v_add_f64_e64 v[6:7], v[6:7], -v[28:29]
	s_delay_alu instid0(VALU_DEP_4) | instskip(NEXT) | instid1(VALU_DEP_4)
	v_add_f64_e32 v[8:9], v[8:9], v[23:24]
	v_cvt_i32_f64_e32 v30, v[30:31]
	s_delay_alu instid0(VALU_DEP_4) | instskip(NEXT) | instid1(VALU_DEP_2)
	v_add_f64_e64 v[21:22], v[21:22], -v[34:35]
	v_cvt_f64_i32_e32 v[28:29], v30
	s_delay_alu instid0(VALU_DEP_2) | instskip(NEXT) | instid1(VALU_DEP_2)
	v_add_f64_e32 v[6:7], v[6:7], v[21:22]
	v_add_f64_e64 v[12:13], v[12:13], -v[28:29]
	s_delay_alu instid0(VALU_DEP_2) | instskip(NEXT) | instid1(VALU_DEP_2)
	v_add_f64_e32 v[6:7], v[8:9], v[6:7]
	v_add_f64_e32 v[8:9], v[16:17], v[12:13]
	s_delay_alu instid0(VALU_DEP_2) | instskip(NEXT) | instid1(VALU_DEP_2)
	v_add_f64_e32 v[0:1], v[0:1], v[6:7]
	v_add_f64_e64 v[6:7], v[8:9], -v[12:13]
	v_cmp_le_f64_e32 vcc_lo, 0.5, v[8:9]
	s_delay_alu instid0(VALU_DEP_3) | instskip(NEXT) | instid1(VALU_DEP_3)
	v_add_f64_e32 v[0:1], v[10:11], v[0:1]
	v_add_f64_e64 v[6:7], v[16:17], -v[6:7]
	s_wait_alu 0xfffd
	v_cndmask_b32_e64 v28, 0, 0x3ff00000, vcc_lo
	v_add_co_ci_u32_e64 v12, null, 0, v30, vcc_lo
	s_delay_alu instid0(VALU_DEP_3) | instskip(NEXT) | instid1(VALU_DEP_3)
	v_add_f64_e32 v[0:1], v[0:1], v[6:7]
	v_add_f64_e64 v[6:7], v[8:9], -v[27:28]
	s_delay_alu instid0(VALU_DEP_1) | instskip(SKIP_1) | instid1(VALU_DEP_1)
	v_add_f64_e32 v[8:9], v[6:7], v[0:1]
	s_wait_alu 0xfffe
	v_mul_f64_e32 v[10:11], s[2:3], v[8:9]
	v_add_f64_e64 v[6:7], v[8:9], -v[6:7]
	s_delay_alu instid0(VALU_DEP_2) | instskip(NEXT) | instid1(VALU_DEP_2)
	v_fma_f64 v[13:14], v[8:9], s[2:3], -v[10:11]
	v_add_f64_e64 v[0:1], v[0:1], -v[6:7]
	s_delay_alu instid0(VALU_DEP_2) | instskip(NEXT) | instid1(VALU_DEP_1)
	v_fma_f64 v[6:7], v[8:9], s[8:9], v[13:14]
	v_fma_f64 v[6:7], v[0:1], s[2:3], v[6:7]
	s_delay_alu instid0(VALU_DEP_1) | instskip(NEXT) | instid1(VALU_DEP_1)
	v_add_f64_e32 v[0:1], v[10:11], v[6:7]
	v_add_f64_e64 v[8:9], v[0:1], -v[10:11]
	s_delay_alu instid0(VALU_DEP_1)
	v_add_f64_e64 v[6:7], v[6:7], -v[8:9]
	s_and_not1_saveexec_b32 s1, s1
	s_cbranch_execz .LBB55_55
	s_branch .LBB55_54
.LBB55_52:
	s_wait_alu 0xfffe
	s_or_b32 exec_lo, exec_lo, s7
                                        ; implicit-def: $vgpr4_vgpr5
                                        ; implicit-def: $vgpr6
	s_and_not1_saveexec_b32 s1, s6
	s_cbranch_execnz .LBB55_61
	s_branch .LBB55_66
.LBB55_53:
	s_wait_alu 0xfffe
	s_and_not1_saveexec_b32 s1, s1
	s_cbranch_execz .LBB55_55
.LBB55_54:
	s_mov_b32 s2, 0x6dc9c883
	s_mov_b32 s3, 0x3fe45f30
	;; [unrolled: 1-line block ×3, first 2 shown]
	s_wait_alu 0xfffe
	v_mul_f64_e64 v[0:1], |v[2:3]|, s[2:3]
	s_mov_b32 s2, 0x54442d18
	s_mov_b32 s3, 0xbff921fb
	;; [unrolled: 1-line block ×3, first 2 shown]
	s_delay_alu instid0(VALU_DEP_1) | instskip(SKIP_1) | instid1(VALU_DEP_1)
	v_rndne_f64_e32 v[8:9], v[0:1]
	s_wait_alu 0xfffe
	v_fma_f64 v[0:1], v[8:9], s[2:3], |v[2:3]|
	v_mul_f64_e32 v[6:7], s[8:9], v[8:9]
	s_mov_b32 s2, 0x252049c0
	s_mov_b32 s3, 0xb97b839a
	s_delay_alu instid0(VALU_DEP_2) | instskip(NEXT) | instid1(VALU_DEP_2)
	v_fma_f64 v[12:13], v[8:9], s[8:9], v[0:1]
	v_add_f64_e32 v[10:11], v[0:1], v[6:7]
	s_mov_b32 s9, 0x3c91a626
	s_delay_alu instid0(VALU_DEP_1) | instskip(NEXT) | instid1(VALU_DEP_3)
	v_add_f64_e64 v[0:1], v[0:1], -v[10:11]
	v_add_f64_e64 v[10:11], v[10:11], -v[12:13]
	s_delay_alu instid0(VALU_DEP_2) | instskip(SKIP_2) | instid1(VALU_DEP_2)
	v_add_f64_e32 v[0:1], v[0:1], v[6:7]
	s_wait_alu 0xfffe
	v_fma_f64 v[6:7], v[8:9], s[8:9], v[6:7]
	v_add_f64_e32 v[0:1], v[10:11], v[0:1]
	s_delay_alu instid0(VALU_DEP_1) | instskip(NEXT) | instid1(VALU_DEP_1)
	v_add_f64_e64 v[0:1], v[0:1], -v[6:7]
	v_fma_f64 v[6:7], v[8:9], s[2:3], v[0:1]
	s_delay_alu instid0(VALU_DEP_1) | instskip(NEXT) | instid1(VALU_DEP_1)
	v_add_f64_e32 v[0:1], v[12:13], v[6:7]
	v_add_f64_e64 v[10:11], v[0:1], -v[12:13]
	v_cvt_i32_f64_e32 v12, v[8:9]
	s_delay_alu instid0(VALU_DEP_2)
	v_add_f64_e64 v[6:7], v[6:7], -v[10:11]
.LBB55_55:
	s_wait_alu 0xfffe
	s_or_b32 exec_lo, exec_lo, s1
                                        ; implicit-def: $vgpr13
                                        ; implicit-def: $vgpr8_vgpr9
                                        ; implicit-def: $vgpr10_vgpr11
	s_and_saveexec_b32 s1, s0
	s_wait_alu 0xfffe
	s_xor_b32 s0, exec_lo, s1
	s_cbranch_execz .LBB55_57
; %bb.56:
	v_ldexp_f64 v[8:9], |v[2:3]|, 0xffffff80
	v_cmp_le_f64_e64 vcc_lo, 0x7b000000, |v[2:3]|
	v_trig_preop_f64 v[10:11], |v[2:3]|, 0
	v_trig_preop_f64 v[13:14], |v[2:3]|, 1
	;; [unrolled: 1-line block ×3, first 2 shown]
	v_mov_b32_e32 v31, 0
	s_mov_b32 s2, 0x54442d18
	s_mov_b32 s3, 0x3ff921fb
	;; [unrolled: 1-line block ×4, first 2 shown]
	s_wait_alu 0xfffd
	v_cndmask_b32_e32 v9, v18, v9, vcc_lo
	v_cndmask_b32_e32 v8, v2, v8, vcc_lo
	s_delay_alu instid0(VALU_DEP_1) | instskip(SKIP_1) | instid1(VALU_DEP_2)
	v_mul_f64_e32 v[15:16], v[10:11], v[8:9]
	v_mul_f64_e32 v[17:18], v[13:14], v[8:9]
	v_fma_f64 v[10:11], v[10:11], v[8:9], -v[15:16]
	s_delay_alu instid0(VALU_DEP_2) | instskip(NEXT) | instid1(VALU_DEP_2)
	v_fma_f64 v[13:14], v[13:14], v[8:9], -v[17:18]
	v_add_f64_e32 v[19:20], v[17:18], v[10:11]
	s_delay_alu instid0(VALU_DEP_1) | instskip(SKIP_1) | instid1(VALU_DEP_2)
	v_add_f64_e64 v[21:22], v[19:20], -v[17:18]
	v_add_f64_e32 v[27:28], v[15:16], v[19:20]
	v_add_f64_e64 v[25:26], v[19:20], -v[21:22]
	v_add_f64_e64 v[10:11], v[10:11], -v[21:22]
	s_delay_alu instid0(VALU_DEP_3) | instskip(SKIP_1) | instid1(VALU_DEP_4)
	v_ldexp_f64 v[21:22], v[27:28], -2
	v_add_f64_e64 v[15:16], v[27:28], -v[15:16]
	v_add_f64_e64 v[17:18], v[17:18], -v[25:26]
	s_delay_alu instid0(VALU_DEP_3) | instskip(NEXT) | instid1(VALU_DEP_3)
	v_cmp_neq_f64_e64 vcc_lo, 0x7ff00000, |v[21:22]|
	v_add_f64_e64 v[15:16], v[19:20], -v[15:16]
	s_delay_alu instid0(VALU_DEP_3) | instskip(SKIP_1) | instid1(VALU_DEP_1)
	v_add_f64_e32 v[10:11], v[10:11], v[17:18]
	v_fract_f64_e32 v[17:18], v[21:22]
	v_ldexp_f64 v[17:18], v[17:18], 2
	s_wait_alu 0xfffd
	s_delay_alu instid0(VALU_DEP_1) | instskip(SKIP_1) | instid1(VALU_DEP_1)
	v_dual_cndmask_b32 v18, 0, v18 :: v_dual_cndmask_b32 v17, 0, v17
	v_mul_f64_e32 v[29:30], v[23:24], v[8:9]
	v_add_f64_e32 v[25:26], v[29:30], v[13:14]
	v_fma_f64 v[8:9], v[23:24], v[8:9], -v[29:30]
	s_delay_alu instid0(VALU_DEP_2) | instskip(NEXT) | instid1(VALU_DEP_1)
	v_add_f64_e32 v[19:20], v[25:26], v[10:11]
	v_add_f64_e32 v[21:22], v[15:16], v[19:20]
	s_delay_alu instid0(VALU_DEP_1) | instskip(SKIP_1) | instid1(VALU_DEP_2)
	v_add_f64_e32 v[27:28], v[21:22], v[17:18]
	v_add_f64_e64 v[15:16], v[21:22], -v[15:16]
	v_cmp_gt_f64_e32 vcc_lo, 0, v[27:28]
	v_add_f64_e64 v[27:28], v[25:26], -v[29:30]
	s_wait_alu 0xfffd
	v_cndmask_b32_e64 v32, 0, 0x40100000, vcc_lo
	s_delay_alu instid0(VALU_DEP_2) | instskip(SKIP_1) | instid1(VALU_DEP_3)
	v_add_f64_e64 v[36:37], v[25:26], -v[27:28]
	v_add_f64_e64 v[13:14], v[13:14], -v[27:28]
	v_add_f64_e32 v[17:18], v[17:18], v[31:32]
	v_add_f64_e64 v[32:33], v[19:20], -v[25:26]
	s_delay_alu instid0(VALU_DEP_4) | instskip(NEXT) | instid1(VALU_DEP_3)
	v_add_f64_e64 v[27:28], v[29:30], -v[36:37]
	v_add_f64_e32 v[34:35], v[21:22], v[17:18]
	s_delay_alu instid0(VALU_DEP_3) | instskip(SKIP_1) | instid1(VALU_DEP_4)
	v_add_f64_e64 v[38:39], v[19:20], -v[32:33]
	v_add_f64_e64 v[10:11], v[10:11], -v[32:33]
	v_add_f64_e32 v[13:14], v[13:14], v[27:28]
	s_delay_alu instid0(VALU_DEP_4) | instskip(NEXT) | instid1(VALU_DEP_4)
	v_cvt_i32_f64_e32 v34, v[34:35]
	v_add_f64_e64 v[25:26], v[25:26], -v[38:39]
	s_delay_alu instid0(VALU_DEP_2) | instskip(NEXT) | instid1(VALU_DEP_2)
	v_cvt_f64_i32_e32 v[32:33], v34
	v_add_f64_e32 v[10:11], v[10:11], v[25:26]
	s_delay_alu instid0(VALU_DEP_2) | instskip(NEXT) | instid1(VALU_DEP_2)
	v_add_f64_e64 v[17:18], v[17:18], -v[32:33]
	v_add_f64_e32 v[10:11], v[13:14], v[10:11]
	v_add_f64_e64 v[13:14], v[19:20], -v[15:16]
	s_delay_alu instid0(VALU_DEP_3) | instskip(NEXT) | instid1(VALU_DEP_3)
	v_add_f64_e32 v[23:24], v[21:22], v[17:18]
	v_add_f64_e32 v[8:9], v[8:9], v[10:11]
	s_delay_alu instid0(VALU_DEP_2) | instskip(SKIP_1) | instid1(VALU_DEP_3)
	v_add_f64_e64 v[10:11], v[23:24], -v[17:18]
	v_cmp_le_f64_e32 vcc_lo, 0.5, v[23:24]
	v_add_f64_e32 v[8:9], v[13:14], v[8:9]
	s_delay_alu instid0(VALU_DEP_3) | instskip(SKIP_3) | instid1(VALU_DEP_3)
	v_add_f64_e64 v[10:11], v[21:22], -v[10:11]
	s_wait_alu 0xfffd
	v_cndmask_b32_e64 v32, 0, 0x3ff00000, vcc_lo
	v_add_co_ci_u32_e64 v13, null, 0, v34, vcc_lo
	v_add_f64_e32 v[8:9], v[8:9], v[10:11]
	s_delay_alu instid0(VALU_DEP_3) | instskip(NEXT) | instid1(VALU_DEP_1)
	v_add_f64_e64 v[10:11], v[23:24], -v[31:32]
	v_add_f64_e32 v[14:15], v[10:11], v[8:9]
	s_wait_alu 0xfffe
	s_delay_alu instid0(VALU_DEP_1) | instskip(SKIP_1) | instid1(VALU_DEP_2)
	v_mul_f64_e32 v[16:17], s[2:3], v[14:15]
	v_add_f64_e64 v[10:11], v[14:15], -v[10:11]
	v_fma_f64 v[18:19], v[14:15], s[2:3], -v[16:17]
	s_delay_alu instid0(VALU_DEP_2) | instskip(NEXT) | instid1(VALU_DEP_2)
	v_add_f64_e64 v[8:9], v[8:9], -v[10:11]
	v_fma_f64 v[10:11], v[14:15], s[8:9], v[18:19]
	s_delay_alu instid0(VALU_DEP_1) | instskip(NEXT) | instid1(VALU_DEP_1)
	v_fma_f64 v[10:11], v[8:9], s[2:3], v[10:11]
	v_add_f64_e32 v[8:9], v[16:17], v[10:11]
	s_delay_alu instid0(VALU_DEP_1) | instskip(NEXT) | instid1(VALU_DEP_1)
	v_add_f64_e64 v[14:15], v[8:9], -v[16:17]
	v_add_f64_e64 v[10:11], v[10:11], -v[14:15]
	s_and_not1_saveexec_b32 s0, s0
	s_cbranch_execnz .LBB55_58
	s_branch .LBB55_59
.LBB55_57:
	s_wait_alu 0xfffe
	s_and_not1_saveexec_b32 s0, s0
	s_cbranch_execz .LBB55_59
.LBB55_58:
	s_mov_b32 s2, 0x6dc9c883
	s_mov_b32 s3, 0x3fe45f30
	;; [unrolled: 1-line block ×3, first 2 shown]
	s_wait_alu 0xfffe
	v_mul_f64_e64 v[8:9], |v[2:3]|, s[2:3]
	s_mov_b32 s2, 0x54442d18
	s_mov_b32 s3, 0xbff921fb
	;; [unrolled: 1-line block ×3, first 2 shown]
	s_delay_alu instid0(VALU_DEP_1) | instskip(SKIP_1) | instid1(VALU_DEP_1)
	v_rndne_f64_e32 v[13:14], v[8:9]
	s_wait_alu 0xfffe
	v_fma_f64 v[8:9], v[13:14], s[2:3], |v[2:3]|
	v_mul_f64_e32 v[10:11], s[8:9], v[13:14]
	s_mov_b32 s2, 0x252049c0
	s_mov_b32 s3, 0xb97b839a
	s_delay_alu instid0(VALU_DEP_2) | instskip(NEXT) | instid1(VALU_DEP_2)
	v_fma_f64 v[17:18], v[13:14], s[8:9], v[8:9]
	v_add_f64_e32 v[15:16], v[8:9], v[10:11]
	s_mov_b32 s9, 0x3c91a626
	s_delay_alu instid0(VALU_DEP_1) | instskip(NEXT) | instid1(VALU_DEP_3)
	v_add_f64_e64 v[8:9], v[8:9], -v[15:16]
	v_add_f64_e64 v[15:16], v[15:16], -v[17:18]
	s_delay_alu instid0(VALU_DEP_2) | instskip(SKIP_2) | instid1(VALU_DEP_2)
	v_add_f64_e32 v[8:9], v[8:9], v[10:11]
	s_wait_alu 0xfffe
	v_fma_f64 v[10:11], v[13:14], s[8:9], v[10:11]
	v_add_f64_e32 v[8:9], v[15:16], v[8:9]
	s_delay_alu instid0(VALU_DEP_1) | instskip(NEXT) | instid1(VALU_DEP_1)
	v_add_f64_e64 v[8:9], v[8:9], -v[10:11]
	v_fma_f64 v[10:11], v[13:14], s[2:3], v[8:9]
	v_cvt_i32_f64_e32 v13, v[13:14]
	s_delay_alu instid0(VALU_DEP_2) | instskip(NEXT) | instid1(VALU_DEP_1)
	v_add_f64_e32 v[8:9], v[17:18], v[10:11]
	v_add_f64_e64 v[15:16], v[8:9], -v[17:18]
	s_delay_alu instid0(VALU_DEP_1)
	v_add_f64_e64 v[10:11], v[10:11], -v[15:16]
.LBB55_59:
	s_wait_alu 0xfffe
	s_or_b32 exec_lo, exec_lo, s0
	s_mov_b32 s0, 0x19ba0da4
	s_mov_b32 s1, 0xc0937be3
	;; [unrolled: 1-line block ×3, first 2 shown]
	s_wait_alu 0xfffe
	v_add_f64_e32 v[4:5], s[0:1], v[4:5]
	s_mov_b32 s0, 0x652b82fe
	s_mov_b32 s1, 0x3ff71547
	;; [unrolled: 1-line block ×3, first 2 shown]
	v_mul_f64_e32 v[20:21], v[0:1], v[0:1]
	v_mul_f64_e32 v[22:23], v[8:9], v[8:9]
	s_mov_b32 s8, 0x1852b7b0
	s_mov_b32 s9, 0x3f56c16c
	;; [unrolled: 1-line block ×5, first 2 shown]
	s_delay_alu instid0(VALU_DEP_4)
	v_mul_f64_e32 v[48:49], 0.5, v[6:7]
	v_mul_f64_e32 v[54:55], 0.5, v[10:11]
	s_wait_alu 0xfffe
	v_mul_f64_e32 v[14:15], s[0:1], v[4:5]
	s_mov_b32 s0, 0xfefa39ef
	s_mov_b32 s1, 0xbfe62e42
	v_mul_f64_e32 v[30:31], 0.5, v[20:21]
	v_mul_f64_e32 v[34:35], 0.5, v[22:23]
	v_mul_f64_e64 v[50:51], v[0:1], -v[20:21]
	v_mul_f64_e64 v[64:65], v[8:9], -v[22:23]
	v_rndne_f64_e32 v[14:15], v[14:15]
	v_add_f64_e64 v[36:37], -v[30:31], 1.0
	v_add_f64_e64 v[38:39], -v[34:35], 1.0
	s_wait_alu 0xfffe
	s_delay_alu instid0(VALU_DEP_3) | instskip(SKIP_2) | instid1(VALU_DEP_3)
	v_fma_f64 v[16:17], v[14:15], s[0:1], v[4:5]
	s_mov_b32 s0, 0x3b39803f
	s_mov_b32 s1, 0xbc7abc9e
	v_add_f64_e64 v[52:53], -v[36:37], 1.0
	s_delay_alu instid0(VALU_DEP_3) | instskip(SKIP_1) | instid1(VALU_DEP_3)
	v_add_f64_e64 v[66:67], -v[38:39], 1.0
	s_wait_alu 0xfffe
	v_fma_f64 v[16:17], v[14:15], s[0:1], v[16:17]
	s_mov_b32 s0, 0xfca7ab0c
	s_mov_b32 s1, 0x3e928af3
	s_delay_alu instid0(VALU_DEP_3) | instskip(NEXT) | instid1(VALU_DEP_3)
	v_add_f64_e64 v[30:31], v[52:53], -v[30:31]
	v_add_f64_e64 v[34:35], v[66:67], -v[34:35]
	s_wait_alu 0xfffe
	s_delay_alu instid0(VALU_DEP_3) | instskip(SKIP_4) | instid1(VALU_DEP_3)
	v_fma_f64 v[18:19], v[16:17], s[2:3], s[0:1]
	s_mov_b32 s0, 0x623fde64
	s_mov_b32 s1, 0x3ec71dee
	;; [unrolled: 1-line block ×4, first 2 shown]
	v_fma_f64 v[30:31], v[0:1], -v[6:7], v[30:31]
	s_wait_alu 0xfffe
	s_delay_alu instid0(VALU_DEP_2) | instskip(SKIP_3) | instid1(VALU_DEP_1)
	v_fma_f64 v[18:19], v[16:17], v[18:19], s[0:1]
	s_mov_b32 s0, 0x7c89e6b0
	s_mov_b32 s1, 0x3efa0199
	s_wait_alu 0xfffe
	v_fma_f64 v[18:19], v[16:17], v[18:19], s[0:1]
	s_mov_b32 s0, 0x14761f6e
	s_mov_b32 s1, 0x3f2a01a0
	s_wait_alu 0xfffe
	s_delay_alu instid0(VALU_DEP_1)
	v_fma_f64 v[18:19], v[16:17], v[18:19], s[0:1]
	s_mov_b32 s0, 0xb42fdfa7
	s_mov_b32 s1, 0xbe5ae600
	s_wait_alu 0xfffe
	v_fma_f64 v[24:25], v[20:21], s[2:3], s[0:1]
	v_fma_f64 v[26:27], v[22:23], s[2:3], s[0:1]
	s_mov_b32 s0, 0x796cde01
	s_mov_b32 s1, 0x3ec71de3
	;; [unrolled: 1-line block ×4, first 2 shown]
	s_wait_alu 0xfffe
	s_mov_b32 s13, s3
	s_delay_alu instid0(VALU_DEP_3) | instskip(SKIP_2) | instid1(VALU_DEP_3)
	v_fma_f64 v[18:19], v[16:17], v[18:19], s[8:9]
	s_mov_b32 s8, 0x9037ab78
	s_mov_b32 s9, 0x3e21eeb6
	v_fma_f64 v[24:25], v[20:21], v[24:25], s[0:1]
	s_wait_alu 0xfffe
	v_fma_f64 v[28:29], v[20:21], s[10:11], s[8:9]
	v_fma_f64 v[32:33], v[22:23], s[10:11], s[8:9]
	;; [unrolled: 1-line block ×3, first 2 shown]
	s_mov_b32 s8, 0x19e83e5c
	s_mov_b32 s9, 0xbf2a01a0
	;; [unrolled: 1-line block ×5, first 2 shown]
	s_wait_alu 0xfffe
	s_mov_b32 s11, s1
	v_fma_f64 v[18:19], v[16:17], v[18:19], s[12:13]
	s_mov_b32 s12, 0xa17f65f6
	s_mov_b32 s13, 0xbe927e4f
	v_fma_f64 v[24:25], v[20:21], v[24:25], s[8:9]
	s_wait_alu 0xfffe
	v_fma_f64 v[28:29], v[20:21], v[28:29], s[12:13]
	v_fma_f64 v[32:33], v[22:23], v[32:33], s[12:13]
	;; [unrolled: 1-line block ×3, first 2 shown]
	s_mov_b32 s8, 0x55555511
	s_mov_b32 s9, 0x3fc55555
	v_fma_f64 v[18:19], v[16:17], v[18:19], s[10:11]
	s_mov_b32 s10, 0x19f4ec90
	s_mov_b32 s11, 0x3efa01a0
	v_fma_f64 v[24:25], v[20:21], v[24:25], s[2:3]
	s_wait_alu 0xfffe
	v_fma_f64 v[28:29], v[20:21], v[28:29], s[10:11]
	v_fma_f64 v[32:33], v[22:23], v[32:33], s[10:11]
	;; [unrolled: 1-line block ×3, first 2 shown]
	s_mov_b32 s2, 0x16c16967
	s_mov_b32 s3, 0xbf56c16c
	v_fma_f64 v[18:19], v[16:17], v[18:19], s[8:9]
	s_mov_b32 s8, 11
	s_mov_b32 s9, 0x3fe00000
	v_fma_f64 v[24:25], v[50:51], v[24:25], v[48:49]
	s_wait_alu 0xfffe
	v_fma_f64 v[28:29], v[20:21], v[28:29], s[2:3]
	v_fma_f64 v[32:33], v[22:23], v[32:33], s[2:3]
	;; [unrolled: 1-line block ×3, first 2 shown]
	v_mul_f64_e32 v[48:49], v[20:21], v[20:21]
	v_cmp_ngt_f64_e64 s2, 0xc090cc00, v[4:5]
	v_fma_f64 v[18:19], v[16:17], v[18:19], s[8:9]
	v_fma_f64 v[6:7], v[20:21], v[24:25], -v[6:7]
	v_fma_f64 v[28:29], v[20:21], v[28:29], s[0:1]
	v_mul_f64_e32 v[20:21], v[22:23], v[22:23]
	v_fma_f64 v[24:25], v[22:23], v[32:33], s[0:1]
	v_fma_f64 v[32:33], v[8:9], -v[10:11], v[34:35]
	v_fma_f64 v[10:11], v[22:23], v[26:27], -v[10:11]
	s_mov_b32 s1, 0xbfc55555
	v_cvt_i32_f64_e32 v26, v[14:15]
	v_fma_f64 v[18:19], v[16:17], v[18:19], 1.0
	s_wait_alu 0xfffe
	v_fma_f64 v[6:7], v[50:51], s[0:1], v[6:7]
	v_fma_f64 v[22:23], v[48:49], v[28:29], v[30:31]
	;; [unrolled: 1-line block ×3, first 2 shown]
	v_cmp_nlt_f64_e64 s1, 0x40900000, v[4:5]
	v_cmp_class_f64_e64 s0, v[2:3], 0x1f8
	v_lshlrev_b32_e32 v4, 30, v13
	v_lshlrev_b32_e32 v5, 30, v12
	s_delay_alu instid0(VALU_DEP_2) | instskip(NEXT) | instid1(VALU_DEP_2)
	v_xor_b32_e32 v3, v4, v3
	v_and_b32_e32 v4, 0x80000000, v5
	s_delay_alu instid0(VALU_DEP_2)
	v_and_b32_e32 v3, 0x80000000, v3
	v_fma_f64 v[14:15], v[16:17], v[18:19], 1.0
	v_fma_f64 v[16:17], v[20:21], v[24:25], v[32:33]
	v_add_f64_e64 v[0:1], v[0:1], -v[6:7]
	v_add_f64_e32 v[18:19], v[36:37], v[22:23]
	v_add_f64_e64 v[8:9], v[8:9], -v[10:11]
	v_ldexp_f64 v[6:7], v[14:15], v26
	v_add_f64_e32 v[14:15], v[38:39], v[16:17]
	v_xor_b32_e32 v1, 0x80000000, v1
	v_and_b32_e32 v10, 1, v12
	s_delay_alu instid0(VALU_DEP_1) | instskip(SKIP_1) | instid1(VALU_DEP_3)
	v_cmp_eq_u32_e32 vcc_lo, 0, v10
	s_wait_alu 0xfffd
	v_dual_cndmask_b32 v0, v0, v18 :: v_dual_cndmask_b32 v1, v1, v19
	s_and_b32 vcc_lo, s2, s1
	s_delay_alu instid0(VALU_DEP_1) | instskip(NEXT) | instid1(VALU_DEP_2)
	v_cndmask_b32_e64 v0, 0, v0, s0
	v_xor_b32_e32 v1, v1, v4
	s_delay_alu instid0(VALU_DEP_1) | instskip(SKIP_3) | instid1(VALU_DEP_1)
	v_cndmask_b32_e64 v1, 0x7ff80000, v1, s0
	v_cndmask_b32_e64 v2, 0x7ff00000, v7, s1
	s_wait_alu 0xfffe
	v_dual_cndmask_b32 v4, 0, v6 :: v_dual_and_b32 v7, 1, v13
	v_cmp_eq_u32_e64 s3, 0, v7
	s_wait_alu 0xf1ff
	s_delay_alu instid0(VALU_DEP_1) | instskip(SKIP_3) | instid1(VALU_DEP_3)
	v_cndmask_b32_e64 v7, v15, v9, s3
	v_cndmask_b32_e64 v5, v14, v8, s3
	v_cndmask_b32_e64 v8, 0, v2, s2
	s_mov_b32 s3, 0xfffff
	v_xor_b32_e32 v3, v7, v3
	s_delay_alu instid0(VALU_DEP_3) | instskip(SKIP_2) | instid1(VALU_DEP_3)
	v_cndmask_b32_e64 v2, 0, v5, s0
	s_wait_alu 0xfffe
	v_and_or_b32 v5, v8, s3, 0x7fe00000
	v_cndmask_b32_e64 v3, 0x7ff80000, v3, s0
	s_delay_alu instid0(VALU_DEP_2) | instskip(NEXT) | instid1(VALU_DEP_2)
	v_mul_f64_e32 v[0:1], v[4:5], v[0:1]
	v_mul_f64_e32 v[2:3], v[4:5], v[2:3]
	v_lshrrev_b32_e32 v4, 20, v8
	s_delay_alu instid0(VALU_DEP_1) | instskip(NEXT) | instid1(VALU_DEP_1)
	v_add_nc_u32_e32 v6, 0xffffff09, v4
	v_lshrrev_b16 v4, 15, v6
	s_delay_alu instid0(VALU_DEP_1) | instskip(NEXT) | instid1(VALU_DEP_1)
	v_add_nc_u16 v4, v6, v4
	v_ashrrev_i16 v4, 1, v4
	s_delay_alu instid0(VALU_DEP_1) | instskip(SKIP_1) | instid1(VALU_DEP_2)
	v_bfe_i32 v7, v4, 0, 16
	v_mov_b32_e32 v4, 0
	v_lshl_add_u32 v5, v7, 20, 0x3ff00000
	s_delay_alu instid0(VALU_DEP_1) | instskip(SKIP_2) | instid1(VALU_DEP_1)
	v_mul_f64_e32 v[0:1], v[0:1], v[4:5]
	v_mul_f64_e32 v[2:3], v[2:3], v[4:5]
	v_sub_nc_u32_e32 v5, v6, v7
	v_lshl_add_u32 v5, v5, 20, 0x3ff00000
	s_delay_alu instid0(VALU_DEP_1) | instskip(NEXT) | instid1(VALU_DEP_4)
	v_mul_f64_e32 v[0:1], v[0:1], v[4:5]
	v_mul_f64_e32 v[2:3], v[2:3], v[4:5]
	s_or_b32 exec_lo, exec_lo, s7
                                        ; implicit-def: $vgpr4_vgpr5
                                        ; implicit-def: $vgpr6
.LBB55_60:
	s_wait_alu 0xfffe
	s_and_not1_saveexec_b32 s1, s6
	s_cbranch_execz .LBB55_66
.LBB55_61:
	s_delay_alu instid0(VALU_DEP_1)
	v_add_f64_e64 v[2:3], v[2:3], -v[2:3]
	v_cmp_ne_u32_e32 vcc_lo, 0, v4
	v_cmp_ne_u32_e64 s0, 0x7ff00000, v6
	s_or_b32 s0, vcc_lo, s0
	s_wait_alu 0xfffe
	s_and_saveexec_b32 s2, s0
	s_wait_alu 0xfffe
	s_xor_b32 s0, exec_lo, s2
; %bb.62:
                                        ; implicit-def: $vgpr4_vgpr5
; %bb.63:
	s_wait_alu 0xfffe
	s_or_saveexec_b32 s0, s0
	v_dual_mov_b32 v0, v2 :: v_dual_mov_b32 v1, v3
	s_wait_alu 0xfffe
	s_xor_b32 exec_lo, exec_lo, s0
; %bb.64:
	v_cmp_lt_i64_e32 vcc_lo, -1, v[4:5]
	s_wait_alu 0xfffd
	v_dual_cndmask_b32 v1, 0, v5 :: v_dual_cndmask_b32 v0, 0, v4
	v_dual_cndmask_b32 v3, 0, v3 :: v_dual_cndmask_b32 v2, 0, v2
; %bb.65:
	s_or_b32 exec_lo, exec_lo, s0
.LBB55_66:
	s_wait_alu 0xfffe
	s_or_b32 exec_lo, exec_lo, s1
                                        ; implicit-def: $vgpr18
.LBB55_67:
	s_wait_alu 0xfffe
	s_and_not1_saveexec_b32 s2, s5
	s_cbranch_execz .LBB55_77
; %bb.68:
	s_delay_alu instid0(VALU_DEP_1)
	v_cmp_ngt_f64_e64 s0, 0x41d00000, |v[2:3]|
	v_trig_preop_f64 v[10:11], |v[2:3]|, 0
	v_trig_preop_f64 v[8:9], |v[2:3]|, 1
	v_ldexp_f64 v[14:15], |v[2:3]|, 0xffffff80
	v_trig_preop_f64 v[6:7], |v[2:3]|, 2
                                        ; implicit-def: $vgpr19
                                        ; implicit-def: $vgpr0_vgpr1
                                        ; implicit-def: $vgpr4_vgpr5
	s_and_saveexec_b32 s1, s0
	s_wait_alu 0xfffe
	s_xor_b32 s1, exec_lo, s1
	s_cbranch_execz .LBB55_70
; %bb.69:
	v_cmp_le_f64_e64 vcc_lo, 0x7b000000, |v[2:3]|
	v_mov_b32_e32 v31, 0
	s_mov_b32 s6, 0x54442d18
	s_mov_b32 s7, 0x3ff921fb
	;; [unrolled: 1-line block ×4, first 2 shown]
	s_wait_alu 0xfffd
	v_cndmask_b32_e32 v1, v18, v15, vcc_lo
	v_cndmask_b32_e32 v0, v2, v14, vcc_lo
	s_delay_alu instid0(VALU_DEP_1) | instskip(SKIP_1) | instid1(VALU_DEP_2)
	v_mul_f64_e32 v[4:5], v[10:11], v[0:1]
	v_mul_f64_e32 v[12:13], v[8:9], v[0:1]
	v_fma_f64 v[16:17], v[10:11], v[0:1], -v[4:5]
	s_delay_alu instid0(VALU_DEP_2) | instskip(NEXT) | instid1(VALU_DEP_2)
	v_fma_f64 v[29:30], v[8:9], v[0:1], -v[12:13]
	v_add_f64_e32 v[19:20], v[12:13], v[16:17]
	s_delay_alu instid0(VALU_DEP_1) | instskip(SKIP_1) | instid1(VALU_DEP_2)
	v_add_f64_e64 v[21:22], v[19:20], -v[12:13]
	v_add_f64_e32 v[25:26], v[4:5], v[19:20]
	v_add_f64_e64 v[23:24], v[19:20], -v[21:22]
	v_add_f64_e64 v[16:17], v[16:17], -v[21:22]
	s_delay_alu instid0(VALU_DEP_3) | instskip(SKIP_1) | instid1(VALU_DEP_4)
	v_ldexp_f64 v[21:22], v[25:26], -2
	v_add_f64_e64 v[4:5], v[25:26], -v[4:5]
	v_add_f64_e64 v[12:13], v[12:13], -v[23:24]
	s_delay_alu instid0(VALU_DEP_3) | instskip(NEXT) | instid1(VALU_DEP_3)
	v_cmp_neq_f64_e64 vcc_lo, 0x7ff00000, |v[21:22]|
	v_add_f64_e64 v[4:5], v[19:20], -v[4:5]
	s_delay_alu instid0(VALU_DEP_3) | instskip(SKIP_1) | instid1(VALU_DEP_1)
	v_add_f64_e32 v[12:13], v[16:17], v[12:13]
	v_fract_f64_e32 v[16:17], v[21:22]
	v_ldexp_f64 v[16:17], v[16:17], 2
	s_wait_alu 0xfffd
	s_delay_alu instid0(VALU_DEP_1) | instskip(SKIP_1) | instid1(VALU_DEP_1)
	v_dual_cndmask_b32 v17, 0, v17 :: v_dual_cndmask_b32 v16, 0, v16
	v_mul_f64_e32 v[27:28], v[6:7], v[0:1]
	v_add_f64_e32 v[23:24], v[27:28], v[29:30]
	v_fma_f64 v[0:1], v[6:7], v[0:1], -v[27:28]
	s_delay_alu instid0(VALU_DEP_2) | instskip(NEXT) | instid1(VALU_DEP_1)
	v_add_f64_e32 v[19:20], v[23:24], v[12:13]
	v_add_f64_e32 v[21:22], v[4:5], v[19:20]
	s_delay_alu instid0(VALU_DEP_1) | instskip(SKIP_1) | instid1(VALU_DEP_2)
	v_add_f64_e32 v[25:26], v[21:22], v[16:17]
	v_add_f64_e64 v[4:5], v[21:22], -v[4:5]
	v_cmp_gt_f64_e32 vcc_lo, 0, v[25:26]
	v_add_f64_e64 v[25:26], v[23:24], -v[27:28]
	s_delay_alu instid0(VALU_DEP_3) | instskip(SKIP_2) | instid1(VALU_DEP_3)
	v_add_f64_e64 v[4:5], v[19:20], -v[4:5]
	s_wait_alu 0xfffd
	v_cndmask_b32_e64 v32, 0, 0x40100000, vcc_lo
	v_add_f64_e64 v[36:37], v[23:24], -v[25:26]
	v_add_f64_e64 v[25:26], v[29:30], -v[25:26]
	s_delay_alu instid0(VALU_DEP_3) | instskip(SKIP_1) | instid1(VALU_DEP_4)
	v_add_f64_e32 v[16:17], v[16:17], v[31:32]
	v_add_f64_e64 v[32:33], v[19:20], -v[23:24]
	v_add_f64_e64 v[29:30], v[27:28], -v[36:37]
	s_delay_alu instid0(VALU_DEP_3) | instskip(NEXT) | instid1(VALU_DEP_3)
	v_add_f64_e32 v[34:35], v[21:22], v[16:17]
	v_add_f64_e64 v[38:39], v[19:20], -v[32:33]
	v_add_f64_e64 v[12:13], v[12:13], -v[32:33]
	s_delay_alu instid0(VALU_DEP_4) | instskip(NEXT) | instid1(VALU_DEP_4)
	v_add_f64_e32 v[25:26], v[25:26], v[29:30]
	v_cvt_i32_f64_e32 v34, v[34:35]
	s_delay_alu instid0(VALU_DEP_4) | instskip(NEXT) | instid1(VALU_DEP_2)
	v_add_f64_e64 v[23:24], v[23:24], -v[38:39]
	v_cvt_f64_i32_e32 v[32:33], v34
	s_delay_alu instid0(VALU_DEP_2) | instskip(NEXT) | instid1(VALU_DEP_2)
	v_add_f64_e32 v[12:13], v[12:13], v[23:24]
	v_add_f64_e64 v[16:17], v[16:17], -v[32:33]
	s_delay_alu instid0(VALU_DEP_2) | instskip(NEXT) | instid1(VALU_DEP_2)
	v_add_f64_e32 v[12:13], v[25:26], v[12:13]
	v_add_f64_e32 v[23:24], v[21:22], v[16:17]
	s_delay_alu instid0(VALU_DEP_2) | instskip(NEXT) | instid1(VALU_DEP_2)
	v_add_f64_e32 v[0:1], v[0:1], v[12:13]
	v_add_f64_e64 v[12:13], v[23:24], -v[16:17]
	v_cmp_le_f64_e32 vcc_lo, 0.5, v[23:24]
	s_delay_alu instid0(VALU_DEP_3) | instskip(NEXT) | instid1(VALU_DEP_3)
	v_add_f64_e32 v[0:1], v[4:5], v[0:1]
	v_add_f64_e64 v[4:5], v[21:22], -v[12:13]
	s_wait_alu 0xfffd
	v_cndmask_b32_e64 v32, 0, 0x3ff00000, vcc_lo
	v_add_co_ci_u32_e64 v19, null, 0, v34, vcc_lo
	s_delay_alu instid0(VALU_DEP_3) | instskip(NEXT) | instid1(VALU_DEP_3)
	v_add_f64_e32 v[0:1], v[0:1], v[4:5]
	v_add_f64_e64 v[4:5], v[23:24], -v[31:32]
	s_delay_alu instid0(VALU_DEP_1) | instskip(SKIP_1) | instid1(VALU_DEP_1)
	v_add_f64_e32 v[12:13], v[4:5], v[0:1]
	s_wait_alu 0xfffe
	v_mul_f64_e32 v[16:17], s[6:7], v[12:13]
	v_add_f64_e64 v[4:5], v[12:13], -v[4:5]
	s_delay_alu instid0(VALU_DEP_2) | instskip(NEXT) | instid1(VALU_DEP_2)
	v_fma_f64 v[20:21], v[12:13], s[6:7], -v[16:17]
	v_add_f64_e64 v[0:1], v[0:1], -v[4:5]
	s_delay_alu instid0(VALU_DEP_2) | instskip(NEXT) | instid1(VALU_DEP_1)
	v_fma_f64 v[4:5], v[12:13], s[8:9], v[20:21]
	v_fma_f64 v[4:5], v[0:1], s[6:7], v[4:5]
	s_delay_alu instid0(VALU_DEP_1) | instskip(NEXT) | instid1(VALU_DEP_1)
	v_add_f64_e32 v[0:1], v[16:17], v[4:5]
	v_add_f64_e64 v[12:13], v[0:1], -v[16:17]
	s_delay_alu instid0(VALU_DEP_1)
	v_add_f64_e64 v[4:5], v[4:5], -v[12:13]
	s_and_not1_saveexec_b32 s1, s1
	s_cbranch_execz .LBB55_72
	s_branch .LBB55_71
.LBB55_70:
	s_wait_alu 0xfffe
	s_and_not1_saveexec_b32 s1, s1
	s_cbranch_execz .LBB55_72
.LBB55_71:
	s_mov_b32 s6, 0x6dc9c883
	s_mov_b32 s7, 0x3fe45f30
	;; [unrolled: 1-line block ×3, first 2 shown]
	s_wait_alu 0xfffe
	v_mul_f64_e64 v[0:1], |v[2:3]|, s[6:7]
	s_mov_b32 s6, 0x54442d18
	s_mov_b32 s7, 0xbff921fb
	;; [unrolled: 1-line block ×3, first 2 shown]
	s_delay_alu instid0(VALU_DEP_1) | instskip(SKIP_1) | instid1(VALU_DEP_1)
	v_rndne_f64_e32 v[12:13], v[0:1]
	s_wait_alu 0xfffe
	v_fma_f64 v[0:1], v[12:13], s[6:7], |v[2:3]|
	v_mul_f64_e32 v[4:5], s[8:9], v[12:13]
	s_mov_b32 s6, 0x252049c0
	s_mov_b32 s7, 0xb97b839a
	s_delay_alu instid0(VALU_DEP_2) | instskip(NEXT) | instid1(VALU_DEP_2)
	v_fma_f64 v[19:20], v[12:13], s[8:9], v[0:1]
	v_add_f64_e32 v[16:17], v[0:1], v[4:5]
	s_mov_b32 s9, 0x3c91a626
	s_delay_alu instid0(VALU_DEP_1) | instskip(NEXT) | instid1(VALU_DEP_3)
	v_add_f64_e64 v[0:1], v[0:1], -v[16:17]
	v_add_f64_e64 v[16:17], v[16:17], -v[19:20]
	s_delay_alu instid0(VALU_DEP_2) | instskip(SKIP_2) | instid1(VALU_DEP_2)
	v_add_f64_e32 v[0:1], v[0:1], v[4:5]
	s_wait_alu 0xfffe
	v_fma_f64 v[4:5], v[12:13], s[8:9], v[4:5]
	v_add_f64_e32 v[0:1], v[16:17], v[0:1]
	s_delay_alu instid0(VALU_DEP_1) | instskip(NEXT) | instid1(VALU_DEP_1)
	v_add_f64_e64 v[0:1], v[0:1], -v[4:5]
	v_fma_f64 v[4:5], v[12:13], s[6:7], v[0:1]
	s_delay_alu instid0(VALU_DEP_1) | instskip(NEXT) | instid1(VALU_DEP_1)
	v_add_f64_e32 v[0:1], v[19:20], v[4:5]
	v_add_f64_e64 v[16:17], v[0:1], -v[19:20]
	v_cvt_i32_f64_e32 v19, v[12:13]
	s_delay_alu instid0(VALU_DEP_2)
	v_add_f64_e64 v[4:5], v[4:5], -v[16:17]
.LBB55_72:
	s_wait_alu 0xfffe
	s_or_b32 exec_lo, exec_lo, s1
                                        ; implicit-def: $vgpr20
                                        ; implicit-def: $vgpr12_vgpr13
                                        ; implicit-def: $vgpr16_vgpr17
	s_and_saveexec_b32 s1, s0
	s_wait_alu 0xfffe
	s_xor_b32 s0, exec_lo, s1
	s_cbranch_execz .LBB55_74
; %bb.73:
	v_cmp_le_f64_e64 vcc_lo, 0x7b000000, |v[2:3]|
	v_mov_b32_e32 v30, 0
	s_mov_b32 s6, 0x54442d18
	s_mov_b32 s7, 0x3ff921fb
	s_mov_b32 s8, 0x33145c07
	s_mov_b32 s9, 0x3c91a626
	s_wait_alu 0xfffd
	v_cndmask_b32_e32 v13, v18, v15, vcc_lo
	v_cndmask_b32_e32 v12, v2, v14, vcc_lo
	s_delay_alu instid0(VALU_DEP_1) | instskip(SKIP_1) | instid1(VALU_DEP_2)
	v_mul_f64_e32 v[14:15], v[10:11], v[12:13]
	v_mul_f64_e32 v[16:17], v[8:9], v[12:13]
	v_fma_f64 v[10:11], v[10:11], v[12:13], -v[14:15]
	s_delay_alu instid0(VALU_DEP_2) | instskip(NEXT) | instid1(VALU_DEP_2)
	v_fma_f64 v[8:9], v[8:9], v[12:13], -v[16:17]
	v_add_f64_e32 v[20:21], v[16:17], v[10:11]
	s_delay_alu instid0(VALU_DEP_1) | instskip(SKIP_1) | instid1(VALU_DEP_2)
	v_add_f64_e64 v[22:23], v[20:21], -v[16:17]
	v_add_f64_e32 v[26:27], v[14:15], v[20:21]
	v_add_f64_e64 v[24:25], v[20:21], -v[22:23]
	v_add_f64_e64 v[10:11], v[10:11], -v[22:23]
	s_delay_alu instid0(VALU_DEP_3) | instskip(SKIP_1) | instid1(VALU_DEP_4)
	v_ldexp_f64 v[22:23], v[26:27], -2
	v_add_f64_e64 v[14:15], v[26:27], -v[14:15]
	v_add_f64_e64 v[16:17], v[16:17], -v[24:25]
	s_delay_alu instid0(VALU_DEP_3) | instskip(NEXT) | instid1(VALU_DEP_3)
	v_cmp_neq_f64_e64 vcc_lo, 0x7ff00000, |v[22:23]|
	v_add_f64_e64 v[14:15], v[20:21], -v[14:15]
	s_delay_alu instid0(VALU_DEP_3) | instskip(SKIP_1) | instid1(VALU_DEP_1)
	v_add_f64_e32 v[10:11], v[10:11], v[16:17]
	v_fract_f64_e32 v[16:17], v[22:23]
	v_ldexp_f64 v[16:17], v[16:17], 2
	s_wait_alu 0xfffd
	s_delay_alu instid0(VALU_DEP_1) | instskip(SKIP_1) | instid1(VALU_DEP_1)
	v_dual_cndmask_b32 v17, 0, v17 :: v_dual_cndmask_b32 v16, 0, v16
	v_mul_f64_e32 v[28:29], v[6:7], v[12:13]
	v_add_f64_e32 v[24:25], v[28:29], v[8:9]
	v_fma_f64 v[6:7], v[6:7], v[12:13], -v[28:29]
	s_delay_alu instid0(VALU_DEP_2) | instskip(NEXT) | instid1(VALU_DEP_1)
	v_add_f64_e32 v[20:21], v[24:25], v[10:11]
	v_add_f64_e32 v[22:23], v[14:15], v[20:21]
	s_delay_alu instid0(VALU_DEP_1) | instskip(SKIP_1) | instid1(VALU_DEP_2)
	v_add_f64_e32 v[26:27], v[22:23], v[16:17]
	v_add_f64_e64 v[12:13], v[22:23], -v[14:15]
	v_cmp_gt_f64_e32 vcc_lo, 0, v[26:27]
	v_add_f64_e64 v[26:27], v[24:25], -v[28:29]
	s_delay_alu instid0(VALU_DEP_3) | instskip(SKIP_2) | instid1(VALU_DEP_3)
	v_add_f64_e64 v[12:13], v[20:21], -v[12:13]
	s_wait_alu 0xfffd
	v_cndmask_b32_e64 v31, 0, 0x40100000, vcc_lo
	v_add_f64_e64 v[35:36], v[24:25], -v[26:27]
	v_add_f64_e64 v[8:9], v[8:9], -v[26:27]
	s_delay_alu instid0(VALU_DEP_3) | instskip(SKIP_1) | instid1(VALU_DEP_4)
	v_add_f64_e32 v[16:17], v[16:17], v[30:31]
	v_add_f64_e64 v[31:32], v[20:21], -v[24:25]
	v_add_f64_e64 v[26:27], v[28:29], -v[35:36]
	s_delay_alu instid0(VALU_DEP_3) | instskip(NEXT) | instid1(VALU_DEP_3)
	v_add_f64_e32 v[33:34], v[22:23], v[16:17]
	v_add_f64_e64 v[37:38], v[20:21], -v[31:32]
	v_add_f64_e64 v[10:11], v[10:11], -v[31:32]
	s_delay_alu instid0(VALU_DEP_4) | instskip(NEXT) | instid1(VALU_DEP_4)
	v_add_f64_e32 v[8:9], v[8:9], v[26:27]
	v_cvt_i32_f64_e32 v18, v[33:34]
	s_delay_alu instid0(VALU_DEP_4) | instskip(NEXT) | instid1(VALU_DEP_2)
	v_add_f64_e64 v[24:25], v[24:25], -v[37:38]
	v_cvt_f64_i32_e32 v[31:32], v18
	s_delay_alu instid0(VALU_DEP_2) | instskip(NEXT) | instid1(VALU_DEP_2)
	v_add_f64_e32 v[10:11], v[10:11], v[24:25]
	v_add_f64_e64 v[16:17], v[16:17], -v[31:32]
	s_delay_alu instid0(VALU_DEP_2) | instskip(NEXT) | instid1(VALU_DEP_2)
	v_add_f64_e32 v[8:9], v[8:9], v[10:11]
	v_add_f64_e32 v[10:11], v[22:23], v[16:17]
	s_delay_alu instid0(VALU_DEP_2) | instskip(NEXT) | instid1(VALU_DEP_2)
	v_add_f64_e32 v[6:7], v[6:7], v[8:9]
	v_add_f64_e64 v[8:9], v[10:11], -v[16:17]
	v_cmp_le_f64_e32 vcc_lo, 0.5, v[10:11]
	s_delay_alu instid0(VALU_DEP_3) | instskip(NEXT) | instid1(VALU_DEP_3)
	v_add_f64_e32 v[6:7], v[12:13], v[6:7]
	v_add_f64_e64 v[8:9], v[22:23], -v[8:9]
	s_wait_alu 0xfffd
	v_cndmask_b32_e64 v31, 0, 0x3ff00000, vcc_lo
	v_add_co_ci_u32_e64 v20, null, 0, v18, vcc_lo
	s_delay_alu instid0(VALU_DEP_3) | instskip(NEXT) | instid1(VALU_DEP_3)
	v_add_f64_e32 v[6:7], v[6:7], v[8:9]
	v_add_f64_e64 v[8:9], v[10:11], -v[30:31]
	s_delay_alu instid0(VALU_DEP_1) | instskip(SKIP_1) | instid1(VALU_DEP_1)
	v_add_f64_e32 v[10:11], v[8:9], v[6:7]
	s_wait_alu 0xfffe
	v_mul_f64_e32 v[14:15], s[6:7], v[10:11]
	v_add_f64_e64 v[8:9], v[10:11], -v[8:9]
	s_delay_alu instid0(VALU_DEP_2) | instskip(NEXT) | instid1(VALU_DEP_2)
	v_fma_f64 v[12:13], v[10:11], s[6:7], -v[14:15]
	v_add_f64_e64 v[6:7], v[6:7], -v[8:9]
	s_delay_alu instid0(VALU_DEP_2) | instskip(NEXT) | instid1(VALU_DEP_1)
	v_fma_f64 v[8:9], v[10:11], s[8:9], v[12:13]
	v_fma_f64 v[6:7], v[6:7], s[6:7], v[8:9]
	s_delay_alu instid0(VALU_DEP_1) | instskip(NEXT) | instid1(VALU_DEP_1)
	v_add_f64_e32 v[12:13], v[14:15], v[6:7]
	v_add_f64_e64 v[8:9], v[12:13], -v[14:15]
	s_delay_alu instid0(VALU_DEP_1)
	v_add_f64_e64 v[16:17], v[6:7], -v[8:9]
	s_and_not1_saveexec_b32 s0, s0
	s_cbranch_execnz .LBB55_75
	s_branch .LBB55_76
.LBB55_74:
	s_wait_alu 0xfffe
	s_and_not1_saveexec_b32 s0, s0
	s_cbranch_execz .LBB55_76
.LBB55_75:
	s_mov_b32 s6, 0x6dc9c883
	s_mov_b32 s7, 0x3fe45f30
	;; [unrolled: 1-line block ×3, first 2 shown]
	s_wait_alu 0xfffe
	v_mul_f64_e64 v[6:7], |v[2:3]|, s[6:7]
	s_mov_b32 s6, 0x54442d18
	s_mov_b32 s7, 0xbff921fb
	;; [unrolled: 1-line block ×3, first 2 shown]
	s_delay_alu instid0(VALU_DEP_1) | instskip(SKIP_1) | instid1(VALU_DEP_1)
	v_rndne_f64_e32 v[6:7], v[6:7]
	s_wait_alu 0xfffe
	v_fma_f64 v[8:9], v[6:7], s[6:7], |v[2:3]|
	v_mul_f64_e32 v[10:11], s[8:9], v[6:7]
	s_mov_b32 s6, 0x252049c0
	s_mov_b32 s7, 0xb97b839a
	v_cvt_i32_f64_e32 v20, v[6:7]
	s_delay_alu instid0(VALU_DEP_3) | instskip(NEXT) | instid1(VALU_DEP_3)
	v_fma_f64 v[14:15], v[6:7], s[8:9], v[8:9]
	v_add_f64_e32 v[12:13], v[8:9], v[10:11]
	s_mov_b32 s9, 0x3c91a626
	s_delay_alu instid0(VALU_DEP_1) | instskip(NEXT) | instid1(VALU_DEP_3)
	v_add_f64_e64 v[8:9], v[8:9], -v[12:13]
	v_add_f64_e64 v[12:13], v[12:13], -v[14:15]
	s_delay_alu instid0(VALU_DEP_2) | instskip(SKIP_2) | instid1(VALU_DEP_2)
	v_add_f64_e32 v[8:9], v[8:9], v[10:11]
	s_wait_alu 0xfffe
	v_fma_f64 v[10:11], v[6:7], s[8:9], v[10:11]
	v_add_f64_e32 v[8:9], v[12:13], v[8:9]
	s_delay_alu instid0(VALU_DEP_1) | instskip(NEXT) | instid1(VALU_DEP_1)
	v_add_f64_e64 v[8:9], v[8:9], -v[10:11]
	v_fma_f64 v[8:9], v[6:7], s[6:7], v[8:9]
	s_delay_alu instid0(VALU_DEP_1) | instskip(NEXT) | instid1(VALU_DEP_1)
	v_add_f64_e32 v[12:13], v[14:15], v[8:9]
	v_add_f64_e64 v[10:11], v[12:13], -v[14:15]
	s_delay_alu instid0(VALU_DEP_1)
	v_add_f64_e64 v[16:17], v[8:9], -v[10:11]
.LBB55_76:
	s_wait_alu 0xfffe
	s_or_b32 exec_lo, exec_lo, s0
	v_mul_f64_e32 v[6:7], v[0:1], v[0:1]
	v_mul_f64_e32 v[8:9], v[12:13], v[12:13]
	s_mov_b32 s0, 0xb42fdfa7
	s_mov_b32 s6, 0xf9a43bb8
	;; [unrolled: 1-line block ×6, first 2 shown]
	s_delay_alu instid0(VALU_DEP_3) | instskip(NEXT) | instid1(VALU_DEP_4)
	v_mul_f64_e32 v[33:34], 0.5, v[4:5]
	v_mul_f64_e32 v[48:49], 0.5, v[16:17]
	s_wait_alu 0xfffe
	s_delay_alu instid0(VALU_DEP_4) | instskip(NEXT) | instid1(VALU_DEP_4)
	v_fma_f64 v[10:11], v[6:7], s[6:7], s[0:1]
	v_fma_f64 v[14:15], v[8:9], s[6:7], s[0:1]
	s_mov_b32 s6, 0x796cde01
	s_mov_b32 s7, 0x3ec71de3
	v_mul_f64_e32 v[23:24], 0.5, v[6:7]
	s_mov_b32 s0, 0x46cc5e42
	s_mov_b32 s1, 0xbda907db
	v_mul_f64_e32 v[27:28], 0.5, v[8:9]
	s_wait_alu 0xfffe
	v_fma_f64 v[21:22], v[6:7], s[0:1], s[8:9]
	v_fma_f64 v[25:26], v[8:9], s[0:1], s[8:9]
	s_mov_b32 s0, 0xa17f65f6
	s_mov_b32 s1, 0xbe927e4f
	v_mul_f64_e64 v[35:36], v[0:1], -v[6:7]
	s_mov_b32 s8, 0x19f4ec90
	s_mov_b32 s9, 0x3efa01a0
	v_mul_f64_e64 v[50:51], v[12:13], -v[8:9]
	v_fma_f64 v[10:11], v[6:7], v[10:11], s[6:7]
	v_fma_f64 v[14:15], v[8:9], v[14:15], s[6:7]
	s_mov_b32 s6, 0x19e83e5c
	s_mov_b32 s7, 0xbf2a01a0
	v_add_f64_e64 v[29:30], -v[23:24], 1.0
	v_add_f64_e64 v[31:32], -v[27:28], 1.0
	s_wait_alu 0xfffe
	v_fma_f64 v[21:22], v[6:7], v[21:22], s[0:1]
	v_fma_f64 v[25:26], v[8:9], v[25:26], s[0:1]
	s_mov_b32 s0, 0x11110bb3
	s_mov_b32 s1, 0x3f811111
	v_fma_f64 v[10:11], v[6:7], v[10:11], s[6:7]
	v_fma_f64 v[14:15], v[8:9], v[14:15], s[6:7]
	v_add_f64_e64 v[37:38], -v[29:30], 1.0
	v_add_f64_e64 v[52:53], -v[31:32], 1.0
	v_fma_f64 v[21:22], v[6:7], v[21:22], s[8:9]
	v_fma_f64 v[25:26], v[8:9], v[25:26], s[8:9]
	s_wait_alu 0xfffe
	v_fma_f64 v[10:11], v[6:7], v[10:11], s[0:1]
	v_fma_f64 v[14:15], v[8:9], v[14:15], s[0:1]
	s_mov_b32 s0, 0x16c16967
	s_mov_b32 s1, 0xbf56c16c
	v_add_f64_e64 v[23:24], v[37:38], -v[23:24]
	v_add_f64_e64 v[27:28], v[52:53], -v[27:28]
	s_wait_alu 0xfffe
	v_fma_f64 v[21:22], v[6:7], v[21:22], s[0:1]
	v_fma_f64 v[25:26], v[8:9], v[25:26], s[0:1]
	s_mov_b32 s0, 0x55555555
	s_mov_b32 s1, 0x3fa55555
	v_fma_f64 v[10:11], v[35:36], v[10:11], v[33:34]
	v_fma_f64 v[14:15], v[50:51], v[14:15], v[48:49]
	v_mul_f64_e32 v[33:34], v[6:7], v[6:7]
	v_fma_f64 v[23:24], v[0:1], -v[4:5], v[23:24]
	s_wait_alu 0xfffe
	v_fma_f64 v[21:22], v[6:7], v[21:22], s[0:1]
	v_fma_f64 v[4:5], v[6:7], v[10:11], -v[4:5]
	v_mul_f64_e32 v[6:7], v[8:9], v[8:9]
	v_fma_f64 v[10:11], v[8:9], v[25:26], s[0:1]
	v_fma_f64 v[25:26], v[12:13], -v[16:17], v[27:28]
	v_fma_f64 v[8:9], v[8:9], v[14:15], -v[16:17]
	s_mov_b32 s1, 0xbfc55555
	v_fma_f64 v[14:15], v[33:34], v[21:22], v[23:24]
	s_wait_alu 0xfffe
	v_fma_f64 v[4:5], v[35:36], s[0:1], v[4:5]
	s_delay_alu instid0(VALU_DEP_4) | instskip(NEXT) | instid1(VALU_DEP_4)
	v_fma_f64 v[6:7], v[6:7], v[10:11], v[25:26]
	v_fma_f64 v[8:9], v[50:51], s[0:1], v[8:9]
	v_cmp_class_f64_e64 s0, v[2:3], 0x1f8
	v_add_f64_e32 v[10:11], v[29:30], v[14:15]
	v_add_f64_e64 v[0:1], v[0:1], -v[4:5]
	v_add_f64_e32 v[4:5], v[31:32], v[6:7]
	v_add_f64_e64 v[6:7], v[12:13], -v[8:9]
	v_and_b32_e32 v8, 1, v19
	v_lshlrev_b32_e32 v9, 30, v19
	s_delay_alu instid0(VALU_DEP_2) | instskip(SKIP_1) | instid1(VALU_DEP_1)
	v_cmp_eq_u32_e32 vcc_lo, 0, v8
	v_and_b32_e32 v8, 1, v20
	v_cmp_eq_u32_e64 s1, 0, v8
	v_xor_b32_e32 v1, 0x80000000, v1
	v_lshlrev_b32_e32 v2, 30, v20
	s_wait_alu 0xfffd
	v_cndmask_b32_e32 v0, v0, v10, vcc_lo
	s_wait_alu 0xf1ff
	v_cndmask_b32_e64 v5, v5, v7, s1
	v_cndmask_b32_e32 v1, v1, v11, vcc_lo
	v_xor_b32_e32 v2, v2, v3
	v_and_b32_e32 v3, 0x80000000, v9
	v_cndmask_b32_e64 v4, v4, v6, s1
	v_cndmask_b32_e64 v0, 0, v0, s0
	s_delay_alu instid0(VALU_DEP_4) | instskip(NEXT) | instid1(VALU_DEP_4)
	v_and_b32_e32 v2, 0x80000000, v2
	v_xor_b32_e32 v1, v1, v3
	s_delay_alu instid0(VALU_DEP_2) | instskip(NEXT) | instid1(VALU_DEP_2)
	v_xor_b32_e32 v3, v5, v2
	v_cndmask_b32_e64 v1, 0x7ff80000, v1, s0
	v_cndmask_b32_e64 v2, 0, v4, s0
	s_delay_alu instid0(VALU_DEP_3)
	v_cndmask_b32_e64 v3, 0x7ff80000, v3, s0
.LBB55_77:
	s_wait_alu 0xfffe
	s_or_b32 exec_lo, exec_lo, s2
                                        ; implicit-def: $vgpr4_vgpr5
	s_and_not1_saveexec_b32 s1, s4
	s_cbranch_execnz .LBB55_41
.LBB55_78:
	s_wait_alu 0xfffe
	s_or_b32 exec_lo, exec_lo, s1
	s_setpc_b64 s[30:31]
.Lfunc_end55:
	.size	_ZN2at6native12_GLOBAL__N_14pow_IdEEN3c107complexIT_EES6_S6_, .Lfunc_end55-_ZN2at6native12_GLOBAL__N_14pow_IdEEN3c107complexIT_EES6_S6_
                                        ; -- End function
	.set .L_ZN2at6native12_GLOBAL__N_14pow_IdEEN3c107complexIT_EES6_S6_.num_vgpr, 68
	.set .L_ZN2at6native12_GLOBAL__N_14pow_IdEEN3c107complexIT_EES6_S6_.num_agpr, 0
	.set .L_ZN2at6native12_GLOBAL__N_14pow_IdEEN3c107complexIT_EES6_S6_.numbered_sgpr, 32
	.set .L_ZN2at6native12_GLOBAL__N_14pow_IdEEN3c107complexIT_EES6_S6_.num_named_barrier, 0
	.set .L_ZN2at6native12_GLOBAL__N_14pow_IdEEN3c107complexIT_EES6_S6_.private_seg_size, 0
	.set .L_ZN2at6native12_GLOBAL__N_14pow_IdEEN3c107complexIT_EES6_S6_.uses_vcc, 1
	.set .L_ZN2at6native12_GLOBAL__N_14pow_IdEEN3c107complexIT_EES6_S6_.uses_flat_scratch, 0
	.set .L_ZN2at6native12_GLOBAL__N_14pow_IdEEN3c107complexIT_EES6_S6_.has_dyn_sized_stack, 0
	.set .L_ZN2at6native12_GLOBAL__N_14pow_IdEEN3c107complexIT_EES6_S6_.has_recursion, 0
	.set .L_ZN2at6native12_GLOBAL__N_14pow_IdEEN3c107complexIT_EES6_S6_.has_indirect_call, 0
	.section	.AMDGPU.csdata,"",@progbits
; Function info:
; codeLenInByte = 25064
; TotalNumSgprs: 34
; NumVgprs: 68
; ScratchSize: 0
; MemoryBound: 0
	.section	.text._ZN2at6native12_GLOBAL__N_125multi_tensor_apply_kernelINS1_18TensorListMetadataILi1EEENS1_21BinaryOpScalarFunctorIN3c107complexIdEELi1ELi1ELi0EEEJNS1_13power_functorIS8_EES8_EEEvT_T0_DpT1_,"axG",@progbits,_ZN2at6native12_GLOBAL__N_125multi_tensor_apply_kernelINS1_18TensorListMetadataILi1EEENS1_21BinaryOpScalarFunctorIN3c107complexIdEELi1ELi1ELi0EEEJNS1_13power_functorIS8_EES8_EEEvT_T0_DpT1_,comdat
	.globl	_ZN2at6native12_GLOBAL__N_125multi_tensor_apply_kernelINS1_18TensorListMetadataILi1EEENS1_21BinaryOpScalarFunctorIN3c107complexIdEELi1ELi1ELi0EEEJNS1_13power_functorIS8_EES8_EEEvT_T0_DpT1_ ; -- Begin function _ZN2at6native12_GLOBAL__N_125multi_tensor_apply_kernelINS1_18TensorListMetadataILi1EEENS1_21BinaryOpScalarFunctorIN3c107complexIdEELi1ELi1ELi0EEEJNS1_13power_functorIS8_EES8_EEEvT_T0_DpT1_
	.p2align	8
	.type	_ZN2at6native12_GLOBAL__N_125multi_tensor_apply_kernelINS1_18TensorListMetadataILi1EEENS1_21BinaryOpScalarFunctorIN3c107complexIdEELi1ELi1ELi0EEEJNS1_13power_functorIS8_EES8_EEEvT_T0_DpT1_,@function
_ZN2at6native12_GLOBAL__N_125multi_tensor_apply_kernelINS1_18TensorListMetadataILi1EEENS1_21BinaryOpScalarFunctorIN3c107complexIdEELi1ELi1ELi0EEEJNS1_13power_functorIS8_EES8_EEEvT_T0_DpT1_: ; @_ZN2at6native12_GLOBAL__N_125multi_tensor_apply_kernelINS1_18TensorListMetadataILi1EEENS1_21BinaryOpScalarFunctorIN3c107complexIdEELi1ELi1ELi0EEEJNS1_13power_functorIS8_EES8_EEEvT_T0_DpT1_
; %bb.0:
	s_mov_b64 s[18:19], s[0:1]
	s_mov_b32 s0, ttmp9
	s_mov_b32 s1, 0
	v_mov_b32_e32 v60, v0
	s_mul_u64 s[2:3], s[0:1], 3
	s_add_nc_u64 s[4:5], s[18:19], s[0:1]
	s_mov_b32 s7, s1
	s_add_nc_u64 s[2:3], s[4:5], s[2:3]
	s_clause 0x1
	s_load_b32 s2, s[2:3], 0x820
	s_load_u8 s0, s[18:19], ttmp9 offset:0x6e0
	s_mov_b32 s32, 0
	s_wait_kmcnt 0x0
	s_ashr_i32 s3, s2, 31
	s_lshl_b32 s0, s0, 3
	s_clause 0x2
	s_load_b64 s[28:29], s[18:19], s0 offset:0x0
	s_load_b64 s[4:5], s[18:19], s0 offset:0x370
	s_load_b128 s[24:27], s[18:19], 0xd30
	s_lshl_b64 s[34:35], s[2:3], 20
	s_lshl_b64 s[2:3], s[2:3], 16
	s_wait_kmcnt 0x0
	s_add_nc_u64 s[38:39], s[28:29], s[34:35]
	s_and_b32 s6, s4, 3
	s_and_b32 s0, s38, 63
	s_sub_nc_u64 s[36:37], s[4:5], s[2:3]
	s_or_b64 s[0:1], s[0:1], s[6:7]
	s_delay_alu instid0(SALU_CYCLE_1)
	s_cmp_eq_u64 s[0:1], 0
	s_cbranch_scc1 .LBB56_21
; %bb.1:
	v_cmp_lt_i64_e64 s0, s[36:37], 1
	s_and_b32 vcc_lo, exec_lo, s0
	s_cbranch_vccnz .LBB56_20
; %bb.2:
	s_load_b32 s0, s[18:19], 0xd4c
	v_cmp_gt_i64_e64 s1, 0x10000, s[36:37]
	v_cmp_gt_u64_e64 s2, 0x10000, s[36:37]
	v_dual_mov_b32 v62, 0 :: v_dual_lshlrev_b32 v61, 4, v60
	s_mov_b32 s41, 0
	s_mov_b64 s[48:49], 0
	s_and_b32 s1, s1, exec_lo
	s_cselect_b32 s43, s37, 0
	s_cselect_b32 s42, s36, 0x10000
	s_mov_b32 s47, s41
	s_wait_kmcnt 0x0
	s_and_b32 s0, s0, 0xffff
	s_and_b32 s1, s2, exec_lo
	s_mul_i32 s2, s0, 3
	v_add_co_u32 v68, s3, v60, s0
	v_mad_co_u64_u32 v[62:63], null, s0, 48, v[61:62]
	s_cselect_b32 s45, s37, 0
	s_cselect_b32 s44, s36, 0x10000
	v_add_co_ci_u32_e64 v69, null, 0, 0, s3
	s_lshl_b32 s3, s0, 5
	v_add_co_u32 v70, s2, s2, v60
	s_wait_alu 0xf1ff
	v_add_co_ci_u32_e64 v71, null, 0, 0, s2
	s_wait_alu 0xfffe
	v_add_co_u32 v0, s2, s3, v61
	s_lshl_b32 s1, s0, 1
	v_lshlrev_b32_e32 v72, 4, v68
	s_wait_alu 0xfffe
	v_add_co_u32 v75, s1, s1, v60
	v_or_b32_e32 v62, 8, v62
	v_add_co_ci_u32_e64 v73, null, 0, 0, s2
	v_or_b32_e32 v74, 8, v0
	s_wait_alu 0xf1ff
	v_add_co_ci_u32_e64 v76, null, 0, 0, s1
	s_lshl_b32 s40, s0, 2
	s_lshl_b32 s46, s0, 6
	s_branch .LBB56_4
.LBB56_3:                               ;   in Loop: Header=BB56_4 Depth=1
	s_wait_alu 0xfffe
	s_or_b32 exec_lo, exec_lo, s21
	s_add_nc_u64 s[48:49], s[48:49], s[40:41]
	s_add_nc_u64 s[38:39], s[38:39], s[46:47]
	s_wait_alu 0xfffe
	v_cmp_lt_i64_e64 s0, s[48:49], s[42:43]
	s_and_b32 vcc_lo, exec_lo, s0
	s_wait_alu 0xfffe
	s_cbranch_vccz .LBB56_20
.LBB56_4:                               ; =>This Inner Loop Header: Depth=1
	s_wait_loadcnt 0x0
	v_add_co_u32 v0, s0, v60, s48
	s_wait_alu 0xf1ff
	v_add_co_ci_u32_e64 v1, null, 0, s49, s0
	v_mov_b32_e32 v46, 0
	v_dual_mov_b32 v47, 0 :: v_dual_mov_b32 v2, 0
	s_delay_alu instid0(VALU_DEP_3)
	v_cmp_gt_u64_e32 vcc_lo, s[44:45], v[0:1]
	v_dual_mov_b32 v0, 0 :: v_dual_mov_b32 v3, 0
	v_mov_b32_e32 v1, 0
	s_and_saveexec_b32 s0, vcc_lo
	s_cbranch_execz .LBB56_6
; %bb.5:                                ;   in Loop: Header=BB56_4 Depth=1
	v_add_co_u32 v0, s1, s38, v61
	s_wait_alu 0xf1ff
	v_add_co_ci_u32_e64 v1, null, s39, 0, s1
	global_load_b128 v[0:3], v[0:1], off
.LBB56_6:                               ;   in Loop: Header=BB56_4 Depth=1
	s_wait_alu 0xfffe
	s_or_b32 exec_lo, exec_lo, s0
	v_add_co_u32 v4, s0, v68, s48
	s_wait_alu 0xf1ff
	v_add_co_ci_u32_e64 v5, null, s49, v69, s0
	v_mov_b32_e32 v44, 0
	v_mov_b32_e32 v45, 0
	s_delay_alu instid0(VALU_DEP_3)
	v_cmp_gt_u64_e64 s22, s[44:45], v[4:5]
	s_and_saveexec_b32 s0, s22
	s_cbranch_execz .LBB56_8
; %bb.7:                                ;   in Loop: Header=BB56_4 Depth=1
	v_add_co_u32 v4, s1, s38, v72
	s_wait_alu 0xf1ff
	v_add_co_ci_u32_e64 v5, null, s39, 0, s1
	global_load_b128 v[44:47], v[4:5], off
.LBB56_8:                               ;   in Loop: Header=BB56_4 Depth=1
	s_wait_alu 0xfffe
	s_or_b32 exec_lo, exec_lo, s0
	v_add_co_u32 v4, s0, v75, s48
	s_wait_alu 0xf1ff
	v_add_co_ci_u32_e64 v5, null, s49, v76, s0
	v_mov_b32_e32 v42, 0
	v_dual_mov_b32 v43, 0 :: v_dual_mov_b32 v58, 0
	s_delay_alu instid0(VALU_DEP_3)
	v_cmp_gt_u64_e64 s21, s[44:45], v[4:5]
	v_dual_mov_b32 v56, 0 :: v_dual_mov_b32 v59, 0
	v_mov_b32_e32 v57, 0
	s_and_saveexec_b32 s1, s21
	s_cbranch_execz .LBB56_10
; %bb.9:                                ;   in Loop: Header=BB56_4 Depth=1
	v_add_co_u32 v4, s0, s38, v74
	s_wait_alu 0xf1ff
	v_add_co_ci_u32_e64 v5, null, s39, v73, s0
	global_load_b128 v[56:59], v[4:5], off offset:-8
.LBB56_10:                              ;   in Loop: Header=BB56_4 Depth=1
	s_wait_alu 0xfffe
	s_or_b32 exec_lo, exec_lo, s1
	v_add_co_u32 v4, s0, v70, s48
	s_wait_alu 0xf1ff
	v_add_co_ci_u32_e64 v5, null, s49, v71, s0
	v_mov_b32_e32 v40, 0
	v_mov_b32_e32 v41, 0
	s_delay_alu instid0(VALU_DEP_3)
	v_cmp_gt_u64_e64 s20, s[44:45], v[4:5]
	s_and_saveexec_b32 s1, s20
	s_cbranch_execnz .LBB56_15
; %bb.11:                               ;   in Loop: Header=BB56_4 Depth=1
	s_wait_alu 0xfffe
	s_or_b32 exec_lo, exec_lo, s1
	s_and_saveexec_b32 s23, vcc_lo
	s_cbranch_execnz .LBB56_16
.LBB56_12:                              ;   in Loop: Header=BB56_4 Depth=1
	s_wait_alu 0xfffe
	s_or_b32 exec_lo, exec_lo, s23
	s_and_saveexec_b32 s23, s22
	s_cbranch_execnz .LBB56_17
.LBB56_13:                              ;   in Loop: Header=BB56_4 Depth=1
	s_wait_alu 0xfffe
	s_or_b32 exec_lo, exec_lo, s23
	s_and_saveexec_b32 s22, s21
	s_cbranch_execnz .LBB56_18
.LBB56_14:                              ;   in Loop: Header=BB56_4 Depth=1
	s_wait_alu 0xfffe
	s_or_b32 exec_lo, exec_lo, s22
	s_and_saveexec_b32 s21, s20
	s_cbranch_execz .LBB56_3
	s_branch .LBB56_19
.LBB56_15:                              ;   in Loop: Header=BB56_4 Depth=1
	v_add_co_u32 v4, s0, s38, v62
	s_wait_alu 0xf1ff
	v_add_co_ci_u32_e64 v5, null, s39, v63, s0
	global_load_b128 v[40:43], v[4:5], off offset:-8
	s_wait_alu 0xfffe
	s_or_b32 exec_lo, exec_lo, s1
	s_and_saveexec_b32 s23, vcc_lo
	s_cbranch_execz .LBB56_12
.LBB56_16:                              ;   in Loop: Header=BB56_4 Depth=1
	v_dual_mov_b32 v4, s24 :: v_dual_mov_b32 v5, s25
	v_dual_mov_b32 v6, s26 :: v_dual_mov_b32 v7, s27
	s_getpc_b64 s[0:1]
	s_wait_alu 0xfffe
	s_sext_i32_i16 s1, s1
	s_add_co_u32 s0, s0, _ZN2at6native12_GLOBAL__N_14pow_IdEEN3c107complexIT_EES6_S6_@rel32@lo+12
	s_wait_alu 0xfffe
	s_add_co_ci_u32 s1, s1, _ZN2at6native12_GLOBAL__N_14pow_IdEEN3c107complexIT_EES6_S6_@rel32@hi+24
	s_wait_alu 0xfffe
	s_swappc_b64 s[30:31], s[0:1]
	v_add_co_u32 v4, s0, s38, v61
	s_wait_alu 0xf1ff
	v_add_co_ci_u32_e64 v5, null, s39, 0, s0
	global_store_b128 v[4:5], v[0:3], off
	s_or_b32 exec_lo, exec_lo, s23
	s_and_saveexec_b32 s23, s22
	s_cbranch_execz .LBB56_13
.LBB56_17:                              ;   in Loop: Header=BB56_4 Depth=1
	s_wait_loadcnt 0x0
	v_dual_mov_b32 v0, v44 :: v_dual_mov_b32 v1, v45
	v_dual_mov_b32 v2, v46 :: v_dual_mov_b32 v3, v47
	v_dual_mov_b32 v4, s24 :: v_dual_mov_b32 v5, s25
	v_dual_mov_b32 v6, s26 :: v_dual_mov_b32 v7, s27
	s_getpc_b64 s[0:1]
	s_wait_alu 0xfffe
	s_sext_i32_i16 s1, s1
	s_add_co_u32 s0, s0, _ZN2at6native12_GLOBAL__N_14pow_IdEEN3c107complexIT_EES6_S6_@rel32@lo+12
	s_wait_alu 0xfffe
	s_add_co_ci_u32 s1, s1, _ZN2at6native12_GLOBAL__N_14pow_IdEEN3c107complexIT_EES6_S6_@rel32@hi+24
	s_wait_alu 0xfffe
	s_swappc_b64 s[30:31], s[0:1]
	v_add_co_u32 v4, s0, s38, v72
	s_wait_alu 0xf1ff
	v_add_co_ci_u32_e64 v5, null, s39, 0, s0
	global_store_b128 v[4:5], v[0:3], off
	s_or_b32 exec_lo, exec_lo, s23
	s_and_saveexec_b32 s22, s21
	s_cbranch_execz .LBB56_14
.LBB56_18:                              ;   in Loop: Header=BB56_4 Depth=1
	s_wait_loadcnt 0x0
	v_dual_mov_b32 v0, v56 :: v_dual_mov_b32 v1, v57
	v_dual_mov_b32 v2, v58 :: v_dual_mov_b32 v3, v59
	;; [unrolled: 1-line block ×4, first 2 shown]
	s_getpc_b64 s[0:1]
	s_wait_alu 0xfffe
	s_sext_i32_i16 s1, s1
	s_add_co_u32 s0, s0, _ZN2at6native12_GLOBAL__N_14pow_IdEEN3c107complexIT_EES6_S6_@rel32@lo+12
	s_wait_alu 0xfffe
	s_add_co_ci_u32 s1, s1, _ZN2at6native12_GLOBAL__N_14pow_IdEEN3c107complexIT_EES6_S6_@rel32@hi+24
	s_wait_alu 0xfffe
	s_swappc_b64 s[30:31], s[0:1]
	v_add_co_u32 v4, vcc_lo, s38, v74
	s_wait_alu 0xfffd
	v_add_co_ci_u32_e64 v5, null, s39, v73, vcc_lo
	global_store_b128 v[4:5], v[0:3], off offset:-8
	s_or_b32 exec_lo, exec_lo, s22
	s_and_saveexec_b32 s21, s20
	s_cbranch_execz .LBB56_3
.LBB56_19:                              ;   in Loop: Header=BB56_4 Depth=1
	s_wait_loadcnt 0x0
	v_dual_mov_b32 v0, v40 :: v_dual_mov_b32 v1, v41
	v_dual_mov_b32 v2, v42 :: v_dual_mov_b32 v3, v43
	;; [unrolled: 1-line block ×4, first 2 shown]
	s_getpc_b64 s[0:1]
	s_wait_alu 0xfffe
	s_sext_i32_i16 s1, s1
	s_add_co_u32 s0, s0, _ZN2at6native12_GLOBAL__N_14pow_IdEEN3c107complexIT_EES6_S6_@rel32@lo+12
	s_wait_alu 0xfffe
	s_add_co_ci_u32 s1, s1, _ZN2at6native12_GLOBAL__N_14pow_IdEEN3c107complexIT_EES6_S6_@rel32@hi+24
	s_wait_alu 0xfffe
	s_swappc_b64 s[30:31], s[0:1]
	v_add_co_u32 v4, vcc_lo, s38, v62
	s_wait_alu 0xfffd
	v_add_co_ci_u32_e64 v5, null, s39, v63, vcc_lo
	global_store_b128 v[4:5], v[0:3], off offset:-8
	s_branch .LBB56_3
.LBB56_20:
	s_cbranch_execz .LBB56_22
	s_branch .LBB56_25
.LBB56_21:
.LBB56_22:
	v_cmp_gt_i64_e64 s0, 0x10000, s[36:37]
	s_wait_loadcnt 0x0
	v_dual_mov_b32 v1, 0 :: v_dual_lshlrev_b32 v0, 2, v60
	s_mov_b32 s22, 0
	s_and_b32 s0, s0, exec_lo
	s_cselect_b32 s21, s37, 0
	s_cselect_b32 s20, s36, 0x10000
	s_mov_b32 s0, exec_lo
	s_wait_alu 0xfffe
	v_cmpx_gt_i64_e64 s[20:21], v[0:1]
	s_cbranch_execz .LBB56_25
; %bb.23:
	s_load_b32 s2, s[18:19], 0xd4c
	v_dual_mov_b32 v61, v1 :: v_dual_lshlrev_b32 v0, 6, v60
	s_add_nc_u64 s[0:1], s[28:29], s[34:35]
	s_wait_alu 0xfffe
	s_delay_alu instid0(VALU_DEP_1)
	v_add_co_u32 v62, s0, s0, v0
	s_wait_alu 0xf1ff
	v_add_co_ci_u32_e64 v63, null, s1, 0, s0
	s_wait_kmcnt 0x0
	s_and_b32 s18, s2, 0xffff
	s_wait_alu 0xfffe
	s_lshl_b32 s19, s18, 6
.LBB56_24:                              ; =>This Inner Loop Header: Depth=1
	s_clause 0x3
	global_load_b128 v[0:3], v[62:63], off
	global_load_b128 v[40:43], v[62:63], off offset:16
	global_load_b128 v[44:47], v[62:63], off offset:48
	;; [unrolled: 1-line block ×3, first 2 shown]
	v_dual_mov_b32 v4, s24 :: v_dual_mov_b32 v5, s25
	v_dual_mov_b32 v6, s26 :: v_dual_mov_b32 v7, s27
	s_getpc_b64 s[28:29]
	s_wait_alu 0xfffe
	s_sext_i32_i16 s29, s29
	s_add_co_u32 s28, s28, _ZN2at6native12_GLOBAL__N_14pow_IdEEN3c107complexIT_EES6_S6_@rel32@lo+12
	s_wait_alu 0xfffe
	s_add_co_ci_u32 s29, s29, _ZN2at6native12_GLOBAL__N_14pow_IdEEN3c107complexIT_EES6_S6_@rel32@hi+24
	s_wait_alu 0xfffe
	s_swappc_b64 s[30:31], s[28:29]
	v_dual_mov_b32 v68, v0 :: v_dual_mov_b32 v69, v1
	v_dual_mov_b32 v70, v2 :: v_dual_mov_b32 v71, v3
	v_dual_mov_b32 v0, v40 :: v_dual_mov_b32 v1, v41
	v_dual_mov_b32 v2, v42 :: v_dual_mov_b32 v3, v43
	v_dual_mov_b32 v4, s24 :: v_dual_mov_b32 v5, s25
	v_dual_mov_b32 v6, s26 :: v_dual_mov_b32 v7, s27
	s_wait_alu 0xfffe
	s_swappc_b64 s[30:31], s[28:29]
	v_dual_mov_b32 v40, v0 :: v_dual_mov_b32 v41, v1
	v_dual_mov_b32 v42, v2 :: v_dual_mov_b32 v43, v3
	v_dual_mov_b32 v0, v56 :: v_dual_mov_b32 v1, v57
	v_dual_mov_b32 v2, v58 :: v_dual_mov_b32 v3, v59
	v_dual_mov_b32 v4, s24 :: v_dual_mov_b32 v5, s25
	v_dual_mov_b32 v6, s26 :: v_dual_mov_b32 v7, s27
	;; [unrolled: 8-line block ×3, first 2 shown]
	s_wait_alu 0xfffe
	s_swappc_b64 s[30:31], s[28:29]
	v_add_co_u32 v60, vcc_lo, v60, s18
	s_wait_alu 0xfffd
	v_add_co_ci_u32_e64 v61, null, 0, v61, vcc_lo
	s_clause 0x3
	global_store_b128 v[62:63], v[68:71], off
	global_store_b128 v[62:63], v[40:43], off offset:16
	global_store_b128 v[62:63], v[56:59], off offset:32
	;; [unrolled: 1-line block ×3, first 2 shown]
	v_add_co_u32 v62, s0, v62, s19
	v_lshlrev_b64_e32 v[4:5], 2, v[60:61]
	s_wait_alu 0xf1ff
	v_add_co_ci_u32_e64 v63, null, 0, v63, s0
	s_delay_alu instid0(VALU_DEP_2)
	v_cmp_le_i64_e32 vcc_lo, s[20:21], v[4:5]
	s_or_b32 s22, vcc_lo, s22
	s_wait_alu 0xfffe
	s_and_not1_b32 exec_lo, exec_lo, s22
	s_cbranch_execnz .LBB56_24
.LBB56_25:
	s_endpgm
	.section	.rodata,"a",@progbits
	.p2align	6, 0x0
	.amdhsa_kernel _ZN2at6native12_GLOBAL__N_125multi_tensor_apply_kernelINS1_18TensorListMetadataILi1EEENS1_21BinaryOpScalarFunctorIN3c107complexIdEELi1ELi1ELi0EEEJNS1_13power_functorIS8_EES8_EEEvT_T0_DpT1_
		.amdhsa_group_segment_fixed_size 0
		.amdhsa_private_segment_fixed_size 0
		.amdhsa_kernarg_size 3648
		.amdhsa_user_sgpr_count 2
		.amdhsa_user_sgpr_dispatch_ptr 0
		.amdhsa_user_sgpr_queue_ptr 0
		.amdhsa_user_sgpr_kernarg_segment_ptr 1
		.amdhsa_user_sgpr_dispatch_id 0
		.amdhsa_user_sgpr_private_segment_size 0
		.amdhsa_wavefront_size32 1
		.amdhsa_uses_dynamic_stack 0
		.amdhsa_enable_private_segment 0
		.amdhsa_system_sgpr_workgroup_id_x 1
		.amdhsa_system_sgpr_workgroup_id_y 0
		.amdhsa_system_sgpr_workgroup_id_z 0
		.amdhsa_system_sgpr_workgroup_info 0
		.amdhsa_system_vgpr_workitem_id 0
		.amdhsa_next_free_vgpr 77
		.amdhsa_next_free_sgpr 50
		.amdhsa_reserve_vcc 1
		.amdhsa_float_round_mode_32 0
		.amdhsa_float_round_mode_16_64 0
		.amdhsa_float_denorm_mode_32 3
		.amdhsa_float_denorm_mode_16_64 3
		.amdhsa_fp16_overflow 0
		.amdhsa_workgroup_processor_mode 1
		.amdhsa_memory_ordered 1
		.amdhsa_forward_progress 1
		.amdhsa_inst_pref_size 15
		.amdhsa_round_robin_scheduling 0
		.amdhsa_exception_fp_ieee_invalid_op 0
		.amdhsa_exception_fp_denorm_src 0
		.amdhsa_exception_fp_ieee_div_zero 0
		.amdhsa_exception_fp_ieee_overflow 0
		.amdhsa_exception_fp_ieee_underflow 0
		.amdhsa_exception_fp_ieee_inexact 0
		.amdhsa_exception_int_div_zero 0
	.end_amdhsa_kernel
	.section	.text._ZN2at6native12_GLOBAL__N_125multi_tensor_apply_kernelINS1_18TensorListMetadataILi1EEENS1_21BinaryOpScalarFunctorIN3c107complexIdEELi1ELi1ELi0EEEJNS1_13power_functorIS8_EES8_EEEvT_T0_DpT1_,"axG",@progbits,_ZN2at6native12_GLOBAL__N_125multi_tensor_apply_kernelINS1_18TensorListMetadataILi1EEENS1_21BinaryOpScalarFunctorIN3c107complexIdEELi1ELi1ELi0EEEJNS1_13power_functorIS8_EES8_EEEvT_T0_DpT1_,comdat
.Lfunc_end56:
	.size	_ZN2at6native12_GLOBAL__N_125multi_tensor_apply_kernelINS1_18TensorListMetadataILi1EEENS1_21BinaryOpScalarFunctorIN3c107complexIdEELi1ELi1ELi0EEEJNS1_13power_functorIS8_EES8_EEEvT_T0_DpT1_, .Lfunc_end56-_ZN2at6native12_GLOBAL__N_125multi_tensor_apply_kernelINS1_18TensorListMetadataILi1EEENS1_21BinaryOpScalarFunctorIN3c107complexIdEELi1ELi1ELi0EEEJNS1_13power_functorIS8_EES8_EEEvT_T0_DpT1_
                                        ; -- End function
	.set _ZN2at6native12_GLOBAL__N_125multi_tensor_apply_kernelINS1_18TensorListMetadataILi1EEENS1_21BinaryOpScalarFunctorIN3c107complexIdEELi1ELi1ELi0EEEJNS1_13power_functorIS8_EES8_EEEvT_T0_DpT1_.num_vgpr, max(77, .L_ZN2at6native12_GLOBAL__N_14pow_IdEEN3c107complexIT_EES6_S6_.num_vgpr)
	.set _ZN2at6native12_GLOBAL__N_125multi_tensor_apply_kernelINS1_18TensorListMetadataILi1EEENS1_21BinaryOpScalarFunctorIN3c107complexIdEELi1ELi1ELi0EEEJNS1_13power_functorIS8_EES8_EEEvT_T0_DpT1_.num_agpr, max(0, .L_ZN2at6native12_GLOBAL__N_14pow_IdEEN3c107complexIT_EES6_S6_.num_agpr)
	.set _ZN2at6native12_GLOBAL__N_125multi_tensor_apply_kernelINS1_18TensorListMetadataILi1EEENS1_21BinaryOpScalarFunctorIN3c107complexIdEELi1ELi1ELi0EEEJNS1_13power_functorIS8_EES8_EEEvT_T0_DpT1_.numbered_sgpr, max(50, .L_ZN2at6native12_GLOBAL__N_14pow_IdEEN3c107complexIT_EES6_S6_.numbered_sgpr)
	.set _ZN2at6native12_GLOBAL__N_125multi_tensor_apply_kernelINS1_18TensorListMetadataILi1EEENS1_21BinaryOpScalarFunctorIN3c107complexIdEELi1ELi1ELi0EEEJNS1_13power_functorIS8_EES8_EEEvT_T0_DpT1_.num_named_barrier, max(0, .L_ZN2at6native12_GLOBAL__N_14pow_IdEEN3c107complexIT_EES6_S6_.num_named_barrier)
	.set _ZN2at6native12_GLOBAL__N_125multi_tensor_apply_kernelINS1_18TensorListMetadataILi1EEENS1_21BinaryOpScalarFunctorIN3c107complexIdEELi1ELi1ELi0EEEJNS1_13power_functorIS8_EES8_EEEvT_T0_DpT1_.private_seg_size, 0+max(.L_ZN2at6native12_GLOBAL__N_14pow_IdEEN3c107complexIT_EES6_S6_.private_seg_size)
	.set _ZN2at6native12_GLOBAL__N_125multi_tensor_apply_kernelINS1_18TensorListMetadataILi1EEENS1_21BinaryOpScalarFunctorIN3c107complexIdEELi1ELi1ELi0EEEJNS1_13power_functorIS8_EES8_EEEvT_T0_DpT1_.uses_vcc, or(1, .L_ZN2at6native12_GLOBAL__N_14pow_IdEEN3c107complexIT_EES6_S6_.uses_vcc)
	.set _ZN2at6native12_GLOBAL__N_125multi_tensor_apply_kernelINS1_18TensorListMetadataILi1EEENS1_21BinaryOpScalarFunctorIN3c107complexIdEELi1ELi1ELi0EEEJNS1_13power_functorIS8_EES8_EEEvT_T0_DpT1_.uses_flat_scratch, or(0, .L_ZN2at6native12_GLOBAL__N_14pow_IdEEN3c107complexIT_EES6_S6_.uses_flat_scratch)
	.set _ZN2at6native12_GLOBAL__N_125multi_tensor_apply_kernelINS1_18TensorListMetadataILi1EEENS1_21BinaryOpScalarFunctorIN3c107complexIdEELi1ELi1ELi0EEEJNS1_13power_functorIS8_EES8_EEEvT_T0_DpT1_.has_dyn_sized_stack, or(0, .L_ZN2at6native12_GLOBAL__N_14pow_IdEEN3c107complexIT_EES6_S6_.has_dyn_sized_stack)
	.set _ZN2at6native12_GLOBAL__N_125multi_tensor_apply_kernelINS1_18TensorListMetadataILi1EEENS1_21BinaryOpScalarFunctorIN3c107complexIdEELi1ELi1ELi0EEEJNS1_13power_functorIS8_EES8_EEEvT_T0_DpT1_.has_recursion, or(0, .L_ZN2at6native12_GLOBAL__N_14pow_IdEEN3c107complexIT_EES6_S6_.has_recursion)
	.set _ZN2at6native12_GLOBAL__N_125multi_tensor_apply_kernelINS1_18TensorListMetadataILi1EEENS1_21BinaryOpScalarFunctorIN3c107complexIdEELi1ELi1ELi0EEEJNS1_13power_functorIS8_EES8_EEEvT_T0_DpT1_.has_indirect_call, or(0, .L_ZN2at6native12_GLOBAL__N_14pow_IdEEN3c107complexIT_EES6_S6_.has_indirect_call)
	.section	.AMDGPU.csdata,"",@progbits
; Kernel info:
; codeLenInByte = 1868
; TotalNumSgprs: 52
; NumVgprs: 77
; ScratchSize: 0
; MemoryBound: 1
; FloatMode: 240
; IeeeMode: 1
; LDSByteSize: 0 bytes/workgroup (compile time only)
; SGPRBlocks: 0
; VGPRBlocks: 9
; NumSGPRsForWavesPerEU: 52
; NumVGPRsForWavesPerEU: 77
; Occupancy: 16
; WaveLimiterHint : 0
; COMPUTE_PGM_RSRC2:SCRATCH_EN: 0
; COMPUTE_PGM_RSRC2:USER_SGPR: 2
; COMPUTE_PGM_RSRC2:TRAP_HANDLER: 0
; COMPUTE_PGM_RSRC2:TGID_X_EN: 1
; COMPUTE_PGM_RSRC2:TGID_Y_EN: 0
; COMPUTE_PGM_RSRC2:TGID_Z_EN: 0
; COMPUTE_PGM_RSRC2:TIDIG_COMP_CNT: 0
	.text
	.p2align	2                               ; -- Begin function _ZN2at6native12_GLOBAL__N_14pow_IfEEN3c107complexIT_EES6_S6_
	.type	_ZN2at6native12_GLOBAL__N_14pow_IfEEN3c107complexIT_EES6_S6_,@function
_ZN2at6native12_GLOBAL__N_14pow_IfEEN3c107complexIT_EES6_S6_: ; @_ZN2at6native12_GLOBAL__N_14pow_IfEEN3c107complexIT_EES6_S6_
; %bb.0:
                                        ; implicit-def: $vgpr5
                                        ; implicit-def: $vgpr4
	s_wait_loadcnt_dscnt 0x0
	s_wait_expcnt 0x0
	s_wait_samplecnt 0x0
	s_wait_bvhcnt 0x0
	s_wait_kmcnt 0x0
	s_mov_b32 s0, exec_lo
	v_cmpx_o_f32_e32 v0, v1
	s_wait_alu 0xfffe
	s_xor_b32 s7, exec_lo, s0
	s_cbranch_execz .LBB57_28
; %bb.1:
	v_cmp_lt_f32_e64 s0, |v0|, |v1|
                                        ; implicit-def: $vgpr5
                                        ; implicit-def: $vgpr4
	s_mov_b32 s1, exec_lo
	s_wait_alu 0xf1ff
	v_cndmask_b32_e64 v6, |v1|, |v0|, s0
	s_delay_alu instid0(VALU_DEP_1)
	v_cmpx_nlt_f32_e32 0x77f684df, v6
	s_wait_alu 0xfffe
	s_xor_b32 s8, exec_lo, s1
	s_cbranch_execz .LBB57_25
; %bb.2:
	v_and_b32_e32 v4, 0x7fffffff, v1
                                        ; implicit-def: $vgpr5
	s_mov_b32 s1, exec_lo
	s_delay_alu instid0(VALU_DEP_1) | instskip(NEXT) | instid1(VALU_DEP_1)
	v_cndmask_b32_e64 v7, |v0|, v4, s0
                                        ; implicit-def: $vgpr4
	v_cmpx_neq_f32_e32 1.0, v7
	s_wait_alu 0xfffe
	s_xor_b32 s9, exec_lo, s1
	s_cbranch_execz .LBB57_18
; %bb.3:
	v_dual_max_num_f32 v4, v6, v6 :: v_dual_max_num_f32 v5, v7, v7
	s_delay_alu instid0(VALU_DEP_1) | instskip(SKIP_1) | instid1(VALU_DEP_2)
	v_min_num_f32_e32 v8, v5, v4
	v_max_num_f32_e32 v4, v5, v4
                                        ; implicit-def: $vgpr5
	v_cmp_ngt_f32_e32 vcc_lo, 0x358637bd, v8
	s_delay_alu instid0(VALU_DEP_2)
	v_cmp_nlt_f32_e64 s1, 0x49742400, v4
                                        ; implicit-def: $vgpr4
	s_and_b32 s1, s1, vcc_lo
	s_wait_alu 0xfffe
	s_and_saveexec_b32 s2, s1
	s_wait_alu 0xfffe
	s_xor_b32 s10, exec_lo, s2
	s_cbranch_execz .LBB57_15
; %bb.4:
                                        ; implicit-def: $vgpr5
                                        ; implicit-def: $vgpr4
	s_mov_b32 s1, exec_lo
	v_cmpx_le_f32_e32 1.0, v7
	s_wait_alu 0xfffe
	s_xor_b32 s2, exec_lo, s1
	s_cbranch_execz .LBB57_6
; %bb.5:
	v_add_f32_e32 v4, -1.0, v7
	v_add_f32_e32 v5, 1.0, v7
	s_mov_b32 s1, 0x3e9b6dac
	v_cmp_class_f32_e64 s3, v0, 0x204
	s_delay_alu instid0(VALU_DEP_2) | instskip(NEXT) | instid1(VALU_DEP_1)
	v_mul_f32_e32 v7, v4, v5
	v_fmac_f32_e32 v7, v6, v6
	s_delay_alu instid0(VALU_DEP_1) | instskip(NEXT) | instid1(VALU_DEP_1)
	v_add_f32_e32 v6, 1.0, v7
	v_cvt_f64_f32_e32 v[4:5], v6
	s_delay_alu instid0(VALU_DEP_1) | instskip(SKIP_1) | instid1(VALU_DEP_1)
	v_frexp_exp_i32_f64_e32 v4, v[4:5]
	v_frexp_mant_f32_e32 v5, v6
	v_cmp_gt_f32_e32 vcc_lo, 0x3f2aaaab, v5
	v_add_f32_e32 v5, -1.0, v6
	s_delay_alu instid0(VALU_DEP_1) | instskip(SKIP_4) | instid1(VALU_DEP_2)
	v_sub_f32_e32 v9, v5, v6
	v_sub_f32_e32 v5, v7, v5
	s_wait_alu 0xfffd
	v_subrev_co_ci_u32_e64 v4, null, 0, v4, vcc_lo
	v_cmp_neq_f32_e32 vcc_lo, 0x7f800000, v7
	v_sub_nc_u32_e32 v8, 0, v4
	v_cvt_f32_i32_e32 v4, v4
	s_delay_alu instid0(VALU_DEP_2) | instskip(NEXT) | instid1(VALU_DEP_1)
	v_ldexp_f32 v6, v6, v8
	v_dual_add_f32 v10, 1.0, v6 :: v_dual_add_f32 v9, 1.0, v9
	s_delay_alu instid0(VALU_DEP_1) | instskip(NEXT) | instid1(VALU_DEP_2)
	v_add_f32_e32 v5, v5, v9
	v_add_f32_e32 v9, -1.0, v10
	s_delay_alu instid0(VALU_DEP_2) | instskip(NEXT) | instid1(VALU_DEP_2)
	v_ldexp_f32 v5, v5, v8
	v_dual_add_f32 v8, -1.0, v6 :: v_dual_sub_f32 v9, v6, v9
	s_delay_alu instid0(VALU_DEP_1) | instskip(NEXT) | instid1(VALU_DEP_1)
	v_add_f32_e32 v11, 1.0, v8
	v_dual_add_f32 v9, v5, v9 :: v_dual_sub_f32 v6, v6, v11
	s_delay_alu instid0(VALU_DEP_1) | instskip(NEXT) | instid1(VALU_DEP_2)
	v_add_f32_e32 v11, v10, v9
	v_add_f32_e32 v5, v5, v6
	s_delay_alu instid0(VALU_DEP_2) | instskip(SKIP_1) | instid1(VALU_DEP_1)
	v_rcp_f32_e32 v6, v11
	v_sub_f32_e32 v10, v11, v10
	v_dual_add_f32 v12, v8, v5 :: v_dual_sub_f32 v9, v9, v10
	s_delay_alu instid0(VALU_DEP_1) | instskip(NEXT) | instid1(TRANS32_DEP_1)
	v_sub_f32_e32 v8, v12, v8
	v_mul_f32_e32 v13, v12, v6
	s_delay_alu instid0(VALU_DEP_1) | instskip(NEXT) | instid1(VALU_DEP_1)
	v_mul_f32_e32 v14, v11, v13
	v_fma_f32 v10, v13, v11, -v14
	s_delay_alu instid0(VALU_DEP_1) | instskip(NEXT) | instid1(VALU_DEP_1)
	v_fmac_f32_e32 v10, v13, v9
	v_add_f32_e32 v15, v14, v10
	s_delay_alu instid0(VALU_DEP_1) | instskip(NEXT) | instid1(VALU_DEP_1)
	v_sub_f32_e32 v16, v12, v15
	v_sub_f32_e32 v12, v12, v16
	s_delay_alu instid0(VALU_DEP_1) | instskip(SKIP_1) | instid1(VALU_DEP_1)
	v_dual_sub_f32 v12, v12, v15 :: v_dual_sub_f32 v5, v5, v8
	v_sub_f32_e32 v8, v15, v14
	v_dual_sub_f32 v8, v8, v10 :: v_dual_add_f32 v5, v5, v12
	s_delay_alu instid0(VALU_DEP_1) | instskip(NEXT) | instid1(VALU_DEP_1)
	v_add_f32_e32 v5, v8, v5
	v_add_f32_e32 v8, v16, v5
	s_delay_alu instid0(VALU_DEP_1) | instskip(NEXT) | instid1(VALU_DEP_1)
	v_mul_f32_e32 v10, v6, v8
	v_dual_sub_f32 v15, v16, v8 :: v_dual_mul_f32 v12, v11, v10
	s_delay_alu instid0(VALU_DEP_1) | instskip(NEXT) | instid1(VALU_DEP_1)
	v_fma_f32 v11, v10, v11, -v12
	v_fmac_f32_e32 v11, v10, v9
	s_delay_alu instid0(VALU_DEP_1) | instskip(NEXT) | instid1(VALU_DEP_1)
	v_add_f32_e32 v9, v12, v11
	v_sub_f32_e32 v14, v8, v9
	v_sub_f32_e32 v12, v9, v12
	s_delay_alu instid0(VALU_DEP_2) | instskip(NEXT) | instid1(VALU_DEP_1)
	v_dual_sub_f32 v8, v8, v14 :: v_dual_add_f32 v5, v5, v15
	v_sub_f32_e32 v8, v8, v9
	s_delay_alu instid0(VALU_DEP_1) | instskip(NEXT) | instid1(VALU_DEP_4)
	v_add_f32_e32 v5, v5, v8
	v_dual_add_f32 v8, v13, v10 :: v_dual_sub_f32 v9, v12, v11
	v_max_num_f32_e64 v11, |v1|, |v1|
	s_delay_alu instid0(VALU_DEP_2) | instskip(NEXT) | instid1(VALU_DEP_3)
	v_add_f32_e32 v5, v9, v5
	v_sub_f32_e32 v9, v8, v13
	s_delay_alu instid0(VALU_DEP_2) | instskip(NEXT) | instid1(VALU_DEP_1)
	v_dual_add_f32 v5, v14, v5 :: v_dual_mul_f32 v14, 0x3f317218, v4
	v_mul_f32_e32 v5, v6, v5
	s_delay_alu instid0(VALU_DEP_2) | instskip(NEXT) | instid1(VALU_DEP_1)
	v_fma_f32 v15, 0x3f317218, v4, -v14
	v_dual_sub_f32 v9, v10, v9 :: v_dual_fmamk_f32 v4, v4, 0xb102e308, v15
	s_delay_alu instid0(VALU_DEP_1) | instskip(NEXT) | instid1(VALU_DEP_1)
	v_add_f32_e32 v5, v9, v5
	v_add_f32_e32 v6, v8, v5
	s_delay_alu instid0(VALU_DEP_1) | instskip(SKIP_1) | instid1(VALU_DEP_1)
	v_mul_f32_e32 v9, v6, v6
	s_wait_alu 0xfffe
	v_fmaak_f32 v10, s1, v9, 0x3ecc95a3
	v_mul_f32_e32 v12, v6, v9
	s_mov_b32 s1, 0x3b2d2a58
	s_delay_alu instid0(VALU_DEP_2) | instskip(SKIP_2) | instid1(VALU_DEP_3)
	v_fmaak_f32 v9, v9, v10, 0x3f2aaada
	v_max_num_f32_e64 v10, |v0|, |v0|
	v_ldexp_f32 v13, v6, 1
	v_dual_sub_f32 v6, v6, v8 :: v_dual_mul_f32 v9, v12, v9
	s_delay_alu instid0(VALU_DEP_3) | instskip(NEXT) | instid1(VALU_DEP_2)
	v_max_num_f32_e32 v12, v10, v11
	v_dual_min_num_f32 v10, v10, v11 :: v_dual_sub_f32 v5, v5, v6
	s_delay_alu instid0(VALU_DEP_3) | instskip(NEXT) | instid1(VALU_DEP_3)
	v_add_f32_e32 v8, v13, v9
	v_frexp_mant_f32_e32 v11, v12
	v_frexp_exp_i32_f32_e32 v12, v12
	s_delay_alu instid0(VALU_DEP_4) | instskip(NEXT) | instid1(VALU_DEP_4)
	v_ldexp_f32 v5, v5, 1
	v_sub_f32_e32 v6, v8, v13
	s_delay_alu instid0(VALU_DEP_4) | instskip(SKIP_1) | instid1(VALU_DEP_2)
	v_rcp_f32_e32 v11, v11
	v_frexp_exp_i32_f32_e32 v13, v10
	v_sub_f32_e32 v6, v9, v6
	v_frexp_mant_f32_e32 v9, v10
	s_delay_alu instid0(VALU_DEP_3) | instskip(NEXT) | instid1(VALU_DEP_3)
	v_sub_nc_u32_e32 v10, v13, v12
	v_add_f32_e32 v5, v5, v6
	s_delay_alu instid0(TRANS32_DEP_1) | instid1(VALU_DEP_3)
	v_dual_mul_f32 v6, v9, v11 :: v_dual_add_f32 v9, v14, v4
	s_delay_alu instid0(VALU_DEP_2) | instskip(NEXT) | instid1(VALU_DEP_2)
	v_add_f32_e32 v11, v8, v5
	v_ldexp_f32 v6, v6, v10
	s_delay_alu instid0(VALU_DEP_3) | instskip(NEXT) | instid1(VALU_DEP_3)
	v_sub_f32_e32 v14, v9, v14
	v_sub_f32_e32 v8, v11, v8
	s_delay_alu instid0(VALU_DEP_3) | instskip(SKIP_1) | instid1(VALU_DEP_3)
	v_mul_f32_e32 v12, v6, v6
	v_add_f32_e32 v10, v9, v11
	v_dual_sub_f32 v4, v4, v14 :: v_dual_sub_f32 v5, v5, v8
	s_wait_alu 0xfffe
	s_delay_alu instid0(VALU_DEP_3) | instskip(NEXT) | instid1(VALU_DEP_3)
	v_fmaak_f32 v15, s1, v12, 0xbc7a590c
	v_sub_f32_e32 v13, v10, v9
	v_cmp_neq_f32_e64 s1, -1.0, v7
	s_delay_alu instid0(VALU_DEP_2) | instskip(SKIP_2) | instid1(VALU_DEP_3)
	v_sub_f32_e32 v16, v10, v13
	v_sub_f32_e32 v8, v11, v13
	v_add_f32_e32 v13, v4, v5
	v_sub_f32_e32 v9, v9, v16
	s_delay_alu instid0(VALU_DEP_1) | instskip(NEXT) | instid1(VALU_DEP_1)
	v_add_f32_e32 v8, v8, v9
	v_dual_fmaak_f32 v15, v12, v15, 0x3d29fb3f :: v_dual_add_f32 v8, v13, v8
	s_delay_alu instid0(VALU_DEP_1) | instskip(NEXT) | instid1(VALU_DEP_1)
	v_dual_fmaak_f32 v11, v12, v15, 0xbd97d4d7 :: v_dual_add_f32 v14, v10, v8
	v_dual_fmaak_f32 v9, v12, v11, 0x3dd931b2 :: v_dual_sub_f32 v10, v14, v10
	v_sub_f32_e32 v11, v13, v4
	s_delay_alu instid0(VALU_DEP_1) | instskip(NEXT) | instid1(VALU_DEP_1)
	v_sub_f32_e32 v13, v13, v11
	v_dual_sub_f32 v5, v5, v11 :: v_dual_sub_f32 v4, v4, v13
	s_delay_alu instid0(VALU_DEP_1) | instskip(SKIP_1) | instid1(VALU_DEP_1)
	v_dual_add_f32 v4, v5, v4 :: v_dual_fmaak_f32 v9, v12, v9, 0xbe1160e6
	v_sub_f32_e32 v5, v8, v10
	v_add_f32_e32 v4, v4, v5
	s_delay_alu instid0(VALU_DEP_1) | instskip(NEXT) | instid1(VALU_DEP_1)
	v_dual_fmaak_f32 v9, v12, v9, 0x3e4cb8bf :: v_dual_add_f32 v4, v14, v4
	v_fmaak_f32 v9, v12, v9, 0xbeaaaa62
	s_wait_alu 0xfffd
	s_delay_alu instid0(VALU_DEP_2) | instskip(NEXT) | instid1(VALU_DEP_2)
	v_cndmask_b32_e32 v4, 0x7f800000, v4, vcc_lo
	v_mul_f32_e32 v8, v12, v9
	v_cmp_gt_i32_e32 vcc_lo, 0, v0
	s_delay_alu instid0(VALU_DEP_2) | instskip(SKIP_3) | instid1(VALU_DEP_3)
	v_fmac_f32_e32 v6, v6, v8
	s_wait_alu 0xfffd
	v_cndmask_b32_e64 v8, 0, 0x40490fdb, vcc_lo
	v_cmp_ngt_f32_e32 vcc_lo, -1.0, v7
	v_sub_f32_e32 v5, 0x3fc90fdb, v6
	s_wait_alu 0xfffd
	v_cndmask_b32_e32 v4, 0x7fc00000, v4, vcc_lo
	v_cmp_gt_f32_e32 vcc_lo, 0, v0
	s_delay_alu instid0(VALU_DEP_3)
	v_cndmask_b32_e64 v5, v6, v5, s0
	v_mov_b32_e32 v6, 0x4016cbe4
	s_wait_alu 0xf1ff
	v_cndmask_b32_e64 v0, 0xff800000, v4, s1
	v_cmp_class_f32_e64 s1, v1, 0x204
	v_sub_f32_e32 v9, 0x40490fdb, v5
	s_wait_alu 0xfffd
	v_cndmask_b32_e32 v6, 0x3f490fdb, v6, vcc_lo
	s_delay_alu instid0(VALU_DEP_2) | instskip(SKIP_4) | instid1(VALU_DEP_2)
	v_cndmask_b32_e32 v4, v5, v9, vcc_lo
	v_cmp_gt_f32_e64 vcc_lo, 0x33800000, |v7|
	s_wait_alu 0xfffd
	v_cndmask_b32_e32 v0, v0, v7, vcc_lo
	v_cmp_eq_f32_e32 vcc_lo, 0, v1
                                        ; implicit-def: $vgpr7
	v_mul_f32_e32 v5, 0.5, v0
	s_wait_alu 0xfffd
	v_cndmask_b32_e32 v4, v4, v8, vcc_lo
	s_and_b32 vcc_lo, s3, s1
                                        ; implicit-def: $vgpr0
	s_wait_alu 0xfffe
	s_delay_alu instid0(VALU_DEP_1)
	v_cndmask_b32_e32 v4, v4, v6, vcc_lo
                                        ; implicit-def: $vgpr6
.LBB57_6:
	s_wait_alu 0xfffe
	s_and_not1_saveexec_b32 s11, s2
	s_cbranch_execz .LBB57_14
; %bb.7:
	v_mul_f32_e32 v8, v6, v6
                                        ; implicit-def: $vgpr5
                                        ; implicit-def: $vgpr4
	s_mov_b32 s1, exec_lo
	s_delay_alu instid0(VALU_DEP_1) | instskip(NEXT) | instid1(VALU_DEP_1)
	v_fmac_f32_e32 v8, v7, v7
	v_cmpx_ge_f32_e32 0x3f333333, v8
	s_wait_alu 0xfffe
	s_xor_b32 s2, exec_lo, s1
	s_cbranch_execz .LBB57_9
; %bb.8:
	v_max_num_f32_e64 v4, |v1|, |v1|
	v_max_num_f32_e64 v5, |v0|, |v0|
	v_cmp_gt_f32_e32 vcc_lo, 0x800000, v8
	s_mov_b32 s1, 0x3b2d2a58
	v_cmp_class_f32_e64 s3, v0, 0x204
	v_cmp_class_f32_e64 s4, v1, 0x204
	v_max_num_f32_e32 v6, v5, v4
	v_min_num_f32_e32 v4, v5, v4
	s_wait_alu 0xfffd
	v_cndmask_b32_e64 v10, 0, 0x41b17218, vcc_lo
	s_delay_alu instid0(VALU_DEP_3) | instskip(SKIP_1) | instid1(VALU_DEP_2)
	v_frexp_mant_f32_e32 v7, v6
	v_frexp_exp_i32_f32_e32 v6, v6
	v_rcp_f32_e32 v5, v7
	v_frexp_exp_i32_f32_e32 v7, v4
	v_frexp_mant_f32_e32 v4, v4
	s_delay_alu instid0(VALU_DEP_2)
	v_sub_nc_u32_e32 v6, v7, v6
	v_cndmask_b32_e64 v7, 0, 32, vcc_lo
	s_delay_alu instid0(TRANS32_DEP_1) | instid1(VALU_DEP_3)
	v_mul_f32_e32 v4, v4, v5
	s_delay_alu instid0(VALU_DEP_2) | instskip(SKIP_1) | instid1(VALU_DEP_3)
	v_ldexp_f32 v7, v8, v7
	v_mov_b32_e32 v8, 0x4016cbe4
	v_ldexp_f32 v4, v4, v6
	s_delay_alu instid0(VALU_DEP_3) | instskip(NEXT) | instid1(VALU_DEP_1)
	v_log_f32_e32 v7, v7
	v_mul_f32_e32 v5, v4, v4
	s_wait_alu 0xfffe
	s_delay_alu instid0(VALU_DEP_1) | instskip(SKIP_1) | instid1(TRANS32_DEP_1)
	v_fmaak_f32 v6, s1, v5, 0xbc7a590c
	v_cmp_gt_i32_e64 s1, 0, v0
	v_cmp_gt_f32_e64 vcc_lo, 0x7f800000, |v7|
	s_delay_alu instid0(VALU_DEP_3) | instskip(NEXT) | instid1(VALU_DEP_1)
	v_fmaak_f32 v6, v5, v6, 0x3d29fb3f
	v_fmaak_f32 v6, v5, v6, 0xbd97d4d7
	s_delay_alu instid0(VALU_DEP_1) | instskip(NEXT) | instid1(VALU_DEP_1)
	v_fmaak_f32 v6, v5, v6, 0x3dd931b2
	v_fmaak_f32 v6, v5, v6, 0xbe1160e6
	s_delay_alu instid0(VALU_DEP_1) | instskip(NEXT) | instid1(VALU_DEP_1)
	;; [unrolled: 3-line block ×3, first 2 shown]
	v_dual_mul_f32 v5, v5, v6 :: v_dual_mul_f32 v6, 0x3f317217, v7
	v_fmac_f32_e32 v4, v4, v5
	s_delay_alu instid0(VALU_DEP_2) | instskip(NEXT) | instid1(VALU_DEP_2)
	v_fma_f32 v5, 0x3f317217, v7, -v6
	v_sub_f32_e32 v6, 0x3fc90fdb, v4
	s_delay_alu instid0(VALU_DEP_2) | instskip(NEXT) | instid1(VALU_DEP_2)
	v_fmamk_f32 v5, v7, 0x3377d1cf, v5
	v_cndmask_b32_e64 v4, v4, v6, s0
	s_delay_alu instid0(VALU_DEP_2)
	v_fmac_f32_e32 v5, 0x3f317217, v7
	s_wait_alu 0xf1ff
	v_cndmask_b32_e64 v6, 0, 0x40490fdb, s1
	v_cmp_eq_f32_e64 s1, 0, v1
	s_wait_alu 0xfffd
	v_cndmask_b32_e32 v5, v7, v5, vcc_lo
	v_sub_f32_e32 v9, 0x40490fdb, v4
	v_cmp_gt_f32_e32 vcc_lo, 0, v0
                                        ; implicit-def: $vgpr7
	s_delay_alu instid0(VALU_DEP_3) | instskip(SKIP_1) | instid1(VALU_DEP_1)
	v_sub_f32_e32 v0, v5, v10
	s_wait_alu 0xfffd
	v_dual_cndmask_b32 v4, v4, v9 :: v_dual_mul_f32 v5, 0.5, v0
                                        ; implicit-def: $vgpr0
	s_wait_alu 0xf1ff
	s_delay_alu instid0(VALU_DEP_1) | instskip(SKIP_3) | instid1(VALU_DEP_1)
	v_cndmask_b32_e64 v4, v4, v6, s1
	v_cndmask_b32_e32 v6, 0x3f490fdb, v8, vcc_lo
	s_and_b32 vcc_lo, s3, s4
	s_wait_alu 0xfffe
	v_cndmask_b32_e32 v4, v4, v6, vcc_lo
                                        ; implicit-def: $vgpr6
.LBB57_9:
	s_wait_alu 0xfffe
	s_and_not1_saveexec_b32 s12, s2
	s_cbranch_execz .LBB57_13
; %bb.10:
	v_and_b32_e32 v8, 0x7fff0000, v6
	v_and_b32_e32 v5, 0x7fff0000, v7
	s_mov_b32 s13, 0
	s_delay_alu instid0(VALU_DEP_2) | instskip(NEXT) | instid1(VALU_DEP_2)
	v_sub_f32_e32 v9, v6, v8
	v_dual_mul_f32 v6, v8, v8 :: v_dual_sub_f32 v7, v7, v5
	v_dual_mul_f32 v4, v5, v5 :: v_dual_add_f32 v15, v8, v8
	s_delay_alu instid0(VALU_DEP_2) | instskip(NEXT) | instid1(VALU_DEP_1)
	v_and_b32_e32 v10, 0xffff0000, v7
	v_dual_sub_f32 v8, v7, v10 :: v_dual_and_b32 v11, 0xffff0000, v9
	s_delay_alu instid0(VALU_DEP_1) | instskip(SKIP_2) | instid1(VALU_DEP_3)
	v_dual_add_f32 v12, v5, v5 :: v_dual_mul_f32 v5, v15, v11
	v_dual_sub_f32 v16, v9, v11 :: v_dual_mul_f32 v7, v10, v10
	v_add_f32_e32 v9, v10, v10
	v_dual_mul_f32 v14, v12, v10 :: v_dual_add_f32 v17, v11, v11
	v_dual_mul_f32 v13, v11, v11 :: v_dual_mul_f32 v10, v12, v8
	s_delay_alu instid0(VALU_DEP_4) | instskip(NEXT) | instid1(VALU_DEP_4)
	v_mul_f32_e32 v12, v15, v16
	v_mul_f32_e32 v11, v9, v8
	s_delay_alu instid0(VALU_DEP_4)
	v_mul_f32_e32 v9, v17, v16
	v_mul_f32_e32 v8, v8, v8
	;; [unrolled: 1-line block ×3, first 2 shown]
.LBB57_11:                              ; =>This Inner Loop Header: Depth=1
	v_cmp_nlt_f32_e32 vcc_lo, v4, v6
	s_wait_alu 0xfffd
	s_delay_alu instid0(VALU_DEP_2) | instskip(SKIP_1) | instid1(VALU_DEP_2)
	v_dual_mov_b32 v17, v15 :: v_dual_cndmask_b32 v16, v4, v6
	v_cndmask_b32_e32 v4, v6, v4, vcc_lo
	v_cmp_nlt_f32_e64 s1, v16, v14
	s_wait_alu 0xf1ff
	s_delay_alu instid0(VALU_DEP_1) | instskip(SKIP_2) | instid1(VALU_DEP_2)
	v_cndmask_b32_e64 v15, v16, v14, s1
	v_cndmask_b32_e64 v6, v14, v16, s1
	s_and_b32 s14, vcc_lo, s1
	v_cmp_nlt_f32_e64 s2, v15, v5
	s_wait_alu 0xf1ff
	s_delay_alu instid0(VALU_DEP_1) | instskip(SKIP_1) | instid1(VALU_DEP_2)
	v_cndmask_b32_e64 v18, v15, v5, s2
	v_cndmask_b32_e64 v14, v5, v15, s2
	v_cmp_nlt_f32_e64 s3, v18, v7
	s_wait_alu 0xf1ff
	s_delay_alu instid0(VALU_DEP_1) | instskip(SKIP_2) | instid1(VALU_DEP_2)
	v_cndmask_b32_e64 v16, v18, v7, s3
	v_cndmask_b32_e64 v5, v7, v18, s3
	s_and_b32 s15, s2, s3
	v_cmp_nlt_f32_e64 s4, v16, v13
	s_wait_alu 0xf1ff
	s_delay_alu instid0(VALU_DEP_1) | instskip(SKIP_1) | instid1(VALU_DEP_2)
	v_cndmask_b32_e64 v19, v16, v13, s4
	v_cndmask_b32_e64 v7, v13, v16, s4
	v_cmp_nlt_f32_e64 s5, v19, v10
	s_wait_alu 0xf1ff
	s_delay_alu instid0(VALU_DEP_1) | instskip(SKIP_2) | instid1(VALU_DEP_2)
	v_cndmask_b32_e64 v20, v19, v10, s5
	s_and_b32 s3, s4, s5
	v_cndmask_b32_e64 v13, v10, v19, s5
	v_cmp_nlt_f32_e64 s6, v20, v12
	s_wait_alu 0xf1ff
	s_delay_alu instid0(VALU_DEP_1) | instskip(SKIP_3) | instid1(VALU_DEP_2)
	v_cndmask_b32_e64 v21, v20, v12, s6
	s_wait_alu 0xfffe
	s_and_b32 s3, s3, s6
	v_cndmask_b32_e64 v10, v12, v20, s6
	v_cmp_nlt_f32_e32 vcc_lo, v21, v11
	s_wait_alu 0xfffd
	v_cndmask_b32_e32 v22, v21, v11, vcc_lo
	s_wait_alu 0xfffe
	s_and_b32 s4, s3, vcc_lo
	v_cndmask_b32_e32 v12, v11, v21, vcc_lo
	s_delay_alu instid0(VALU_DEP_2) | instskip(SKIP_1) | instid1(VALU_DEP_1)
	v_cmp_nlt_f32_e64 s1, v22, v9
	s_wait_alu 0xf1ff
	v_cndmask_b32_e64 v18, v22, v9, s1
	s_wait_alu 0xfffe
	s_and_b32 s4, s4, s1
	v_cndmask_b32_e64 v11, v9, v22, s1
	s_delay_alu instid0(VALU_DEP_2) | instskip(SKIP_1) | instid1(VALU_DEP_1)
	v_cmp_nlt_f32_e64 s2, v18, v8
	s_wait_alu 0xf1ff
	v_cndmask_b32_e64 v16, v18, v8, s2
	s_wait_alu 0xfffe
	s_and_b32 s4, s4, s2
	v_cndmask_b32_e64 v9, v8, v18, s2
	s_delay_alu instid0(VALU_DEP_2)
	v_cmp_nlt_f32_e64 s3, v16, v17
	s_wait_alu 0xfffe
	s_and_b32 s4, s4, s3
	v_cndmask_b32_e64 v15, v16, v17, s3
	s_wait_alu 0xfffe
	s_and_b32 s1, s4, s15
	v_cndmask_b32_e64 v8, v17, v16, s3
	s_wait_alu 0xfffe
	s_and_b32 s1, s1, s14
	s_wait_alu 0xfffe
	s_and_b32 s1, exec_lo, s1
	s_wait_alu 0xfffe
	s_or_b32 s13, s1, s13
	s_wait_alu 0xfffe
	s_and_not1_b32 exec_lo, exec_lo, s13
	s_cbranch_execnz .LBB57_11
; %bb.12:
	s_or_b32 exec_lo, exec_lo, s13
	v_add_f32_e32 v4, -1.0, v4
	s_mov_b32 s1, 0x3e9b6dac
	v_cmp_class_f32_e64 s2, v0, 0x204
	s_delay_alu instid0(VALU_DEP_2) | instskip(NEXT) | instid1(VALU_DEP_1)
	v_add_f32_e32 v4, v4, v6
	v_add_f32_e32 v4, v4, v14
	s_delay_alu instid0(VALU_DEP_1) | instskip(NEXT) | instid1(VALU_DEP_1)
	v_add_f32_e32 v4, v4, v5
	v_add_f32_e32 v4, v4, v7
	s_delay_alu instid0(VALU_DEP_1) | instskip(NEXT) | instid1(VALU_DEP_1)
	v_add_f32_e32 v4, v4, v13
	v_add_f32_e32 v4, v4, v10
	s_delay_alu instid0(VALU_DEP_1) | instskip(NEXT) | instid1(VALU_DEP_1)
	v_add_f32_e32 v4, v4, v12
	v_add_f32_e32 v4, v4, v11
	s_delay_alu instid0(VALU_DEP_1) | instskip(NEXT) | instid1(VALU_DEP_1)
	v_add_f32_e32 v4, v4, v9
	v_add_f32_e32 v4, v4, v8
	s_delay_alu instid0(VALU_DEP_1) | instskip(NEXT) | instid1(VALU_DEP_1)
	v_add_f32_e32 v6, v15, v4
	v_add_f32_e32 v7, 1.0, v6
	s_delay_alu instid0(VALU_DEP_1) | instskip(NEXT) | instid1(VALU_DEP_1)
	v_cvt_f64_f32_e32 v[4:5], v7
	v_frexp_exp_i32_f64_e32 v4, v[4:5]
	v_frexp_mant_f32_e32 v5, v7
	s_delay_alu instid0(VALU_DEP_1) | instskip(SKIP_1) | instid1(VALU_DEP_1)
	v_cmp_gt_f32_e32 vcc_lo, 0x3f2aaaab, v5
	v_add_f32_e32 v5, -1.0, v7
	v_sub_f32_e32 v9, v5, v7
	v_sub_f32_e32 v5, v6, v5
	s_delay_alu instid0(VALU_DEP_2) | instskip(NEXT) | instid1(VALU_DEP_1)
	v_add_f32_e32 v9, 1.0, v9
	v_add_f32_e32 v5, v5, v9
	s_wait_alu 0xfffd
	v_subrev_co_ci_u32_e64 v4, null, 0, v4, vcc_lo
	s_delay_alu instid0(VALU_DEP_1) | instskip(SKIP_1) | instid1(VALU_DEP_2)
	v_sub_nc_u32_e32 v8, 0, v4
	v_cvt_f32_i32_e32 v4, v4
	v_ldexp_f32 v7, v7, v8
	v_ldexp_f32 v5, v5, v8
	s_delay_alu instid0(VALU_DEP_2) | instskip(NEXT) | instid1(VALU_DEP_1)
	v_add_f32_e32 v10, 1.0, v7
	v_add_f32_e32 v9, -1.0, v10
	s_delay_alu instid0(VALU_DEP_1) | instskip(NEXT) | instid1(VALU_DEP_1)
	v_sub_f32_e32 v9, v7, v9
	v_dual_add_f32 v9, v5, v9 :: v_dual_add_f32 v8, -1.0, v7
	s_delay_alu instid0(VALU_DEP_1) | instskip(NEXT) | instid1(VALU_DEP_1)
	v_add_f32_e32 v11, 1.0, v8
	v_sub_f32_e32 v7, v7, v11
	s_delay_alu instid0(VALU_DEP_1) | instskip(NEXT) | instid1(VALU_DEP_1)
	v_add_f32_e32 v5, v5, v7
	v_add_f32_e32 v12, v8, v5
	s_delay_alu instid0(VALU_DEP_1) | instskip(NEXT) | instid1(VALU_DEP_1)
	v_sub_f32_e32 v8, v12, v8
	v_sub_f32_e32 v5, v5, v8
	v_add_f32_e32 v11, v10, v9
	v_cmp_neq_f32_e32 vcc_lo, 0x7f800000, v6
	s_delay_alu instid0(VALU_DEP_2) | instskip(SKIP_1) | instid1(VALU_DEP_1)
	v_rcp_f32_e32 v7, v11
	v_sub_f32_e32 v10, v11, v10
	v_sub_f32_e32 v9, v9, v10
	s_delay_alu instid0(TRANS32_DEP_1) | instskip(NEXT) | instid1(VALU_DEP_1)
	v_mul_f32_e32 v13, v12, v7
	v_mul_f32_e32 v14, v11, v13
	s_delay_alu instid0(VALU_DEP_1) | instskip(NEXT) | instid1(VALU_DEP_1)
	v_fma_f32 v10, v13, v11, -v14
	v_fmac_f32_e32 v10, v13, v9
	s_delay_alu instid0(VALU_DEP_1) | instskip(NEXT) | instid1(VALU_DEP_1)
	v_add_f32_e32 v15, v14, v10
	v_sub_f32_e32 v16, v12, v15
	s_delay_alu instid0(VALU_DEP_1) | instskip(NEXT) | instid1(VALU_DEP_1)
	v_sub_f32_e32 v12, v12, v16
	v_sub_f32_e32 v12, v12, v15
	s_delay_alu instid0(VALU_DEP_1) | instskip(NEXT) | instid1(VALU_DEP_1)
	v_dual_add_f32 v5, v5, v12 :: v_dual_sub_f32 v8, v15, v14
	v_sub_f32_e32 v8, v8, v10
	s_delay_alu instid0(VALU_DEP_1) | instskip(NEXT) | instid1(VALU_DEP_1)
	v_add_f32_e32 v5, v8, v5
	v_add_f32_e32 v8, v16, v5
	s_delay_alu instid0(VALU_DEP_1) | instskip(NEXT) | instid1(VALU_DEP_1)
	v_mul_f32_e32 v10, v7, v8
	v_mul_f32_e32 v12, v11, v10
	s_delay_alu instid0(VALU_DEP_1) | instskip(NEXT) | instid1(VALU_DEP_1)
	v_fma_f32 v11, v10, v11, -v12
	v_fmac_f32_e32 v11, v10, v9
	v_sub_f32_e32 v15, v16, v8
	s_delay_alu instid0(VALU_DEP_2) | instskip(NEXT) | instid1(VALU_DEP_1)
	v_add_f32_e32 v9, v12, v11
	v_dual_add_f32 v5, v5, v15 :: v_dual_sub_f32 v14, v8, v9
	s_delay_alu instid0(VALU_DEP_1) | instskip(NEXT) | instid1(VALU_DEP_1)
	v_sub_f32_e32 v8, v8, v14
	v_sub_f32_e32 v8, v8, v9
	s_delay_alu instid0(VALU_DEP_1) | instskip(SKIP_2) | instid1(VALU_DEP_1)
	v_add_f32_e32 v5, v5, v8
	v_add_f32_e32 v8, v13, v10
	v_sub_f32_e32 v12, v9, v12
	v_sub_f32_e32 v9, v12, v11
	v_max_num_f32_e64 v11, |v1|, |v1|
	s_delay_alu instid0(VALU_DEP_2) | instskip(NEXT) | instid1(VALU_DEP_1)
	v_add_f32_e32 v5, v9, v5
	v_dual_add_f32 v5, v14, v5 :: v_dual_mul_f32 v14, 0x3f317218, v4
	s_delay_alu instid0(VALU_DEP_1) | instskip(SKIP_1) | instid1(VALU_DEP_3)
	v_mul_f32_e32 v5, v7, v5
	v_sub_f32_e32 v9, v8, v13
	v_fma_f32 v15, 0x3f317218, v4, -v14
	s_delay_alu instid0(VALU_DEP_2) | instskip(NEXT) | instid1(VALU_DEP_1)
	v_sub_f32_e32 v9, v10, v9
	v_add_f32_e32 v5, v9, v5
	s_delay_alu instid0(VALU_DEP_1) | instskip(NEXT) | instid1(VALU_DEP_1)
	v_add_f32_e32 v7, v8, v5
	v_mul_f32_e32 v9, v7, v7
	s_wait_alu 0xfffe
	s_delay_alu instid0(VALU_DEP_1) | instskip(SKIP_2) | instid1(VALU_DEP_2)
	v_fmaak_f32 v10, s1, v9, 0x3ecc95a3
	v_mul_f32_e32 v12, v7, v9
	s_mov_b32 s1, 0x3b2d2a58
	v_fmaak_f32 v9, v9, v10, 0x3f2aaada
	v_max_num_f32_e64 v10, |v0|, |v0|
	s_delay_alu instid0(VALU_DEP_1) | instskip(SKIP_3) | instid1(VALU_DEP_4)
	v_dual_mul_f32 v9, v12, v9 :: v_dual_max_num_f32 v12, v10, v11
	v_min_num_f32_e32 v10, v10, v11
	v_ldexp_f32 v13, v7, 1
	v_sub_f32_e32 v7, v7, v8
	v_frexp_mant_f32_e32 v11, v12
	v_frexp_exp_i32_f32_e32 v12, v12
	s_delay_alu instid0(VALU_DEP_3) | instskip(NEXT) | instid1(VALU_DEP_3)
	v_sub_f32_e32 v5, v5, v7
	v_rcp_f32_e32 v11, v11
	s_delay_alu instid0(VALU_DEP_1) | instskip(SKIP_2) | instid1(VALU_DEP_1)
	v_ldexp_f32 v5, v5, 1
	v_fmamk_f32 v4, v4, 0xb102e308, v15
	v_add_f32_e32 v8, v13, v9
	v_sub_f32_e32 v7, v8, v13
	v_frexp_exp_i32_f32_e32 v13, v10
	s_delay_alu instid0(VALU_DEP_2) | instskip(SKIP_1) | instid1(VALU_DEP_3)
	v_sub_f32_e32 v7, v9, v7
	v_frexp_mant_f32_e32 v9, v10
	v_sub_nc_u32_e32 v10, v13, v12
	s_delay_alu instid0(VALU_DEP_3) | instskip(NEXT) | instid1(VALU_DEP_3)
	v_add_f32_e32 v5, v5, v7
	v_mul_f32_e32 v7, v9, v11
	v_add_f32_e32 v9, v14, v4
	s_delay_alu instid0(VALU_DEP_1) | instskip(NEXT) | instid1(VALU_DEP_1)
	v_dual_add_f32 v11, v8, v5 :: v_dual_sub_f32 v14, v9, v14
	v_sub_f32_e32 v8, v11, v8
	s_delay_alu instid0(VALU_DEP_4) | instskip(SKIP_1) | instid1(VALU_DEP_4)
	v_ldexp_f32 v7, v7, v10
	v_add_f32_e32 v10, v9, v11
	v_sub_f32_e32 v4, v4, v14
	s_delay_alu instid0(VALU_DEP_2) | instskip(SKIP_1) | instid1(VALU_DEP_1)
	v_dual_mul_f32 v12, v7, v7 :: v_dual_sub_f32 v13, v10, v9
	s_wait_alu 0xfffe
	v_dual_fmaak_f32 v15, s1, v12, 0xbc7a590c :: v_dual_sub_f32 v16, v10, v13
	v_cmp_neq_f32_e64 s1, -1.0, v6
	s_delay_alu instid0(VALU_DEP_2) | instskip(NEXT) | instid1(VALU_DEP_3)
	v_fmaak_f32 v15, v12, v15, 0x3d29fb3f
	v_sub_f32_e32 v9, v9, v16
	v_dual_sub_f32 v5, v5, v8 :: v_dual_sub_f32 v8, v11, v13
	s_delay_alu instid0(VALU_DEP_1) | instskip(NEXT) | instid1(VALU_DEP_2)
	v_add_f32_e32 v8, v8, v9
	v_add_f32_e32 v13, v4, v5
	s_delay_alu instid0(VALU_DEP_1) | instskip(NEXT) | instid1(VALU_DEP_1)
	v_dual_fmaak_f32 v11, v12, v15, 0xbd97d4d7 :: v_dual_add_f32 v8, v13, v8
	v_dual_add_f32 v14, v10, v8 :: v_dual_fmaak_f32 v9, v12, v11, 0x3dd931b2
	s_delay_alu instid0(VALU_DEP_1) | instskip(NEXT) | instid1(VALU_DEP_1)
	v_dual_sub_f32 v10, v14, v10 :: v_dual_fmaak_f32 v9, v12, v9, 0xbe1160e6
	v_fmaak_f32 v9, v12, v9, 0x3e4cb8bf
	s_delay_alu instid0(VALU_DEP_1) | instskip(SKIP_1) | instid1(VALU_DEP_1)
	v_fmaak_f32 v9, v12, v9, 0xbeaaaa62
	v_sub_f32_e32 v11, v13, v4
	v_sub_f32_e32 v13, v13, v11
	s_delay_alu instid0(VALU_DEP_1) | instskip(NEXT) | instid1(VALU_DEP_1)
	v_dual_sub_f32 v5, v5, v11 :: v_dual_sub_f32 v4, v4, v13
	v_dual_add_f32 v4, v5, v4 :: v_dual_sub_f32 v5, v8, v10
	v_mul_f32_e32 v8, v12, v9
	s_delay_alu instid0(VALU_DEP_1) | instskip(NEXT) | instid1(VALU_DEP_1)
	v_dual_add_f32 v4, v4, v5 :: v_dual_fmac_f32 v7, v7, v8
	v_add_f32_e32 v4, v14, v4
	s_wait_alu 0xfffd
	s_delay_alu instid0(VALU_DEP_1)
	v_cndmask_b32_e32 v4, 0x7f800000, v4, vcc_lo
	v_cmp_gt_i32_e32 vcc_lo, 0, v0
	s_wait_alu 0xfffd
	v_cndmask_b32_e64 v8, 0, 0x40490fdb, vcc_lo
	v_cmp_ngt_f32_e32 vcc_lo, -1.0, v6
	s_wait_alu 0xfffd
	v_cndmask_b32_e32 v4, 0x7fc00000, v4, vcc_lo
	v_cmp_gt_f32_e32 vcc_lo, 0, v0
	s_wait_alu 0xf1ff
	s_delay_alu instid0(VALU_DEP_2) | instskip(SKIP_2) | instid1(VALU_DEP_2)
	v_cndmask_b32_e64 v0, 0xff800000, v4, s1
	v_sub_f32_e32 v5, 0x3fc90fdb, v7
	v_cmp_class_f32_e64 s1, v1, 0x204
	v_cndmask_b32_e64 v5, v7, v5, s0
	s_delay_alu instid0(VALU_DEP_1) | instskip(SKIP_1) | instid1(VALU_DEP_1)
	v_sub_f32_e32 v9, 0x40490fdb, v5
	s_wait_alu 0xfffd
	v_dual_cndmask_b32 v4, v5, v9 :: v_dual_mov_b32 v7, 0x4016cbe4
	s_delay_alu instid0(VALU_DEP_1) | instskip(SKIP_4) | instid1(VALU_DEP_2)
	v_cndmask_b32_e32 v7, 0x3f490fdb, v7, vcc_lo
	v_cmp_gt_f32_e64 vcc_lo, 0x33800000, |v6|
	s_wait_alu 0xfffd
	v_cndmask_b32_e32 v0, v0, v6, vcc_lo
	v_cmp_eq_f32_e32 vcc_lo, 0, v1
	v_mul_f32_e32 v5, 0.5, v0
	s_wait_alu 0xfffd
	v_cndmask_b32_e32 v4, v4, v8, vcc_lo
	s_and_b32 vcc_lo, s2, s1
	s_wait_alu 0xfffe
	s_delay_alu instid0(VALU_DEP_1)
	v_cndmask_b32_e32 v4, v4, v7, vcc_lo
.LBB57_13:
	s_wait_alu 0xfffe
	s_or_b32 exec_lo, exec_lo, s12
.LBB57_14:
	s_wait_alu 0xfffe
	s_or_b32 exec_lo, exec_lo, s11
                                        ; implicit-def: $vgpr0
.LBB57_15:
	s_wait_alu 0xfffe
	s_and_not1_saveexec_b32 s2, s10
	s_cbranch_execz .LBB57_17
; %bb.16:
	v_max_num_f32_e64 v6, |v1|, |v1|
	v_max_num_f32_e64 v7, |v0|, |v0|
	s_mov_b32 s1, 0x3b2d2a58
	v_cmp_class_f32_e64 s3, v0, 0x204
	v_cmp_class_f32_e64 s4, v1, 0x204
	s_delay_alu instid0(VALU_DEP_3) | instskip(SKIP_1) | instid1(VALU_DEP_2)
	v_max_num_f32_e32 v8, v7, v6
	v_min_num_f32_e32 v6, v7, v6
	v_cvt_f64_f32_e32 v[4:5], v8
	s_delay_alu instid0(VALU_DEP_2) | instskip(SKIP_1) | instid1(VALU_DEP_3)
	v_frexp_exp_i32_f32_e32 v9, v6
	v_frexp_mant_f32_e32 v6, v6
	v_frexp_exp_i32_f64_e32 v4, v[4:5]
	v_frexp_mant_f32_e32 v5, v8
	s_delay_alu instid0(VALU_DEP_1) | instskip(NEXT) | instid1(TRANS32_DEP_1)
	v_rcp_f32_e32 v5, v5
	v_mul_f32_e32 v5, v6, v5
	v_frexp_exp_i32_f32_e32 v7, v8
	v_cmp_neq_f32_e32 vcc_lo, 0x7f800000, v8
	v_mov_b32_e32 v8, 0x4016cbe4
	s_delay_alu instid0(VALU_DEP_3) | instskip(NEXT) | instid1(VALU_DEP_1)
	v_sub_nc_u32_e32 v7, v9, v7
	v_ldexp_f32 v5, v5, v7
	s_delay_alu instid0(VALU_DEP_1) | instskip(SKIP_1) | instid1(VALU_DEP_1)
	v_mul_f32_e32 v9, v5, v5
	v_sub_nc_u32_e32 v10, 0, v4
	v_ldexp_f32 v6, |v1|, v10
	v_ldexp_f32 v7, |v0|, v10
	s_delay_alu instid0(VALU_DEP_2) | instskip(SKIP_1) | instid1(VALU_DEP_1)
	v_mul_f32_e32 v6, v6, v6
	s_wait_alu 0xfffe
	v_dual_fmac_f32 v6, v7, v7 :: v_dual_fmaak_f32 v7, s1, v9, 0xbc7a590c
	v_cmp_gt_i32_e64 s1, 0, v0
	s_delay_alu instid0(VALU_DEP_2) | instskip(NEXT) | instid1(VALU_DEP_2)
	v_sqrt_f32_e32 v6, v6
	v_fmaak_f32 v7, v9, v7, 0x3d29fb3f
	s_delay_alu instid0(VALU_DEP_1) | instskip(NEXT) | instid1(TRANS32_DEP_1)
	v_fmaak_f32 v7, v9, v7, 0xbd97d4d7
	v_ldexp_f32 v4, v6, v4
	s_delay_alu instid0(VALU_DEP_2) | instskip(NEXT) | instid1(VALU_DEP_1)
	v_fmaak_f32 v6, v9, v7, 0x3dd931b2
	v_fmaak_f32 v6, v9, v6, 0xbe1160e6
	s_delay_alu instid0(VALU_DEP_1) | instskip(NEXT) | instid1(VALU_DEP_1)
	v_fmaak_f32 v6, v9, v6, 0x3e4cb8bf
	v_fmaak_f32 v6, v9, v6, 0xbeaaaa62
	s_delay_alu instid0(VALU_DEP_1) | instskip(SKIP_1) | instid1(VALU_DEP_1)
	v_mul_f32_e32 v6, v9, v6
	s_wait_alu 0xfffd
	v_dual_cndmask_b32 v4, 0x7f800000, v4 :: v_dual_fmac_f32 v5, v5, v6
	s_delay_alu instid0(VALU_DEP_1) | instskip(SKIP_2) | instid1(VALU_DEP_1)
	v_cmp_gt_f32_e32 vcc_lo, 0x800000, v4
	s_wait_alu 0xfffd
	v_cndmask_b32_e64 v7, 0, 32, vcc_lo
	v_ldexp_f32 v4, v4, v7
	v_sub_f32_e32 v7, 0x3fc90fdb, v5
	s_delay_alu instid0(VALU_DEP_2) | instskip(NEXT) | instid1(VALU_DEP_1)
	v_log_f32_e32 v4, v4
	v_cndmask_b32_e64 v5, v5, v7, s0
	s_wait_alu 0xf1ff
	v_cndmask_b32_e64 v7, 0, 0x40490fdb, s1
	v_cmp_gt_f32_e64 s1, 0, v0
	s_delay_alu instid0(VALU_DEP_3) | instskip(SKIP_1) | instid1(VALU_DEP_2)
	v_sub_f32_e32 v9, 0x40490fdb, v5
	s_wait_alu 0xf1ff
	v_cndmask_b32_e64 v8, 0x3f490fdb, v8, s1
	s_delay_alu instid0(TRANS32_DEP_1) | instskip(NEXT) | instid1(VALU_DEP_3)
	v_mul_f32_e32 v6, 0x3f317217, v4
	v_cndmask_b32_e64 v0, v5, v9, s1
	v_cndmask_b32_e64 v5, 0, 0x41b17218, vcc_lo
	v_cmp_gt_f32_e64 vcc_lo, 0x7f800000, |v4|
	s_delay_alu instid0(VALU_DEP_4) | instskip(NEXT) | instid1(VALU_DEP_1)
	v_fma_f32 v6, 0x3f317217, v4, -v6
	v_fmamk_f32 v6, v4, 0x3377d1cf, v6
	s_delay_alu instid0(VALU_DEP_1) | instskip(SKIP_1) | instid1(VALU_DEP_1)
	v_fmac_f32_e32 v6, 0x3f317217, v4
	s_wait_alu 0xfffd
	v_cndmask_b32_e32 v4, v4, v6, vcc_lo
	v_cmp_eq_f32_e32 vcc_lo, 0, v1
	s_delay_alu instid0(VALU_DEP_2) | instskip(SKIP_4) | instid1(VALU_DEP_1)
	v_sub_f32_e32 v5, v4, v5
	s_wait_alu 0xfffd
	v_cndmask_b32_e32 v0, v0, v7, vcc_lo
	s_and_b32 vcc_lo, s3, s4
	s_wait_alu 0xfffe
	v_cndmask_b32_e32 v4, v0, v8, vcc_lo
.LBB57_17:
	s_wait_alu 0xfffe
	s_or_b32 exec_lo, exec_lo, s2
                                        ; implicit-def: $vgpr6
                                        ; implicit-def: $vgpr0
.LBB57_18:
	s_wait_alu 0xfffe
	s_and_not1_saveexec_b32 s2, s9
	s_cbranch_execz .LBB57_24
; %bb.19:
                                        ; implicit-def: $vgpr5
                                        ; implicit-def: $vgpr4
	s_mov_b32 s1, exec_lo
	v_cmpx_ngt_f32_e32 0x1fec1e4a, v6
	s_wait_alu 0xfffe
	s_xor_b32 s3, exec_lo, s1
	s_cbranch_execz .LBB57_21
; %bb.20:
	v_mul_f32_e32 v6, v6, v6
	s_mov_b32 s1, 0x3e9b6dac
	v_cmp_class_f32_e64 s4, v0, 0x204
	s_delay_alu instid0(VALU_DEP_2) | instskip(NEXT) | instid1(VALU_DEP_1)
	v_add_f32_e32 v7, 1.0, v6
	v_cvt_f64_f32_e32 v[4:5], v7
	s_delay_alu instid0(VALU_DEP_1) | instskip(SKIP_1) | instid1(VALU_DEP_1)
	v_frexp_exp_i32_f64_e32 v4, v[4:5]
	v_frexp_mant_f32_e32 v5, v7
	v_cmp_gt_f32_e32 vcc_lo, 0x3f2aaaab, v5
	v_add_f32_e32 v5, -1.0, v7
	s_delay_alu instid0(VALU_DEP_1) | instskip(SKIP_3) | instid1(VALU_DEP_2)
	v_sub_f32_e32 v9, v5, v7
	s_wait_alu 0xfffd
	v_subrev_co_ci_u32_e64 v4, null, 0, v4, vcc_lo
	v_cmp_gt_i32_e32 vcc_lo, 0, v0
	v_sub_nc_u32_e32 v8, 0, v4
	v_cvt_f32_i32_e32 v4, v4
	s_delay_alu instid0(VALU_DEP_2) | instskip(SKIP_1) | instid1(VALU_DEP_2)
	v_ldexp_f32 v7, v7, v8
	v_sub_f32_e32 v5, v6, v5
	v_dual_add_f32 v9, 1.0, v9 :: v_dual_add_f32 v10, 1.0, v7
	s_delay_alu instid0(VALU_DEP_1) | instskip(NEXT) | instid1(VALU_DEP_2)
	v_add_f32_e32 v5, v5, v9
	v_add_f32_e32 v9, -1.0, v10
	s_delay_alu instid0(VALU_DEP_2) | instskip(NEXT) | instid1(VALU_DEP_2)
	v_ldexp_f32 v5, v5, v8
	v_dual_add_f32 v8, -1.0, v7 :: v_dual_sub_f32 v9, v7, v9
	s_delay_alu instid0(VALU_DEP_1) | instskip(NEXT) | instid1(VALU_DEP_2)
	v_add_f32_e32 v11, 1.0, v8
	v_add_f32_e32 v9, v5, v9
	s_delay_alu instid0(VALU_DEP_2) | instskip(NEXT) | instid1(VALU_DEP_2)
	v_sub_f32_e32 v7, v7, v11
	v_add_f32_e32 v11, v10, v9
	s_delay_alu instid0(VALU_DEP_2) | instskip(NEXT) | instid1(VALU_DEP_2)
	v_add_f32_e32 v5, v5, v7
	v_rcp_f32_e32 v7, v11
	v_sub_f32_e32 v10, v10, v11
	s_delay_alu instid0(VALU_DEP_1) | instskip(NEXT) | instid1(VALU_DEP_1)
	v_dual_add_f32 v12, v8, v5 :: v_dual_add_f32 v9, v9, v10
	v_sub_f32_e32 v8, v8, v12
	s_delay_alu instid0(TRANS32_DEP_1) | instskip(NEXT) | instid1(VALU_DEP_1)
	v_mul_f32_e32 v13, v12, v7
	v_dual_add_f32 v5, v5, v8 :: v_dual_mul_f32 v14, v11, v13
	s_delay_alu instid0(VALU_DEP_1) | instskip(NEXT) | instid1(VALU_DEP_1)
	v_fma_f32 v10, v13, v11, -v14
	v_fmac_f32_e32 v10, v13, v9
	s_delay_alu instid0(VALU_DEP_1) | instskip(NEXT) | instid1(VALU_DEP_1)
	v_add_f32_e32 v15, v14, v10
	v_sub_f32_e32 v16, v12, v15
	v_sub_f32_e32 v8, v15, v14
	s_delay_alu instid0(VALU_DEP_2) | instskip(NEXT) | instid1(VALU_DEP_2)
	v_sub_f32_e32 v12, v12, v16
	v_sub_f32_e32 v8, v8, v10
	s_delay_alu instid0(VALU_DEP_2) | instskip(NEXT) | instid1(VALU_DEP_1)
	v_sub_f32_e32 v12, v12, v15
	v_add_f32_e32 v5, v5, v12
	s_delay_alu instid0(VALU_DEP_1) | instskip(NEXT) | instid1(VALU_DEP_1)
	v_add_f32_e32 v5, v8, v5
	v_add_f32_e32 v8, v16, v5
	s_delay_alu instid0(VALU_DEP_1) | instskip(NEXT) | instid1(VALU_DEP_1)
	v_mul_f32_e32 v10, v7, v8
	v_dual_sub_f32 v15, v16, v8 :: v_dual_mul_f32 v12, v11, v10
	s_delay_alu instid0(VALU_DEP_1) | instskip(NEXT) | instid1(VALU_DEP_1)
	v_fma_f32 v11, v10, v11, -v12
	v_fmac_f32_e32 v11, v10, v9
	s_delay_alu instid0(VALU_DEP_1) | instskip(NEXT) | instid1(VALU_DEP_1)
	v_add_f32_e32 v9, v12, v11
	v_sub_f32_e32 v14, v8, v9
	v_sub_f32_e32 v12, v9, v12
	s_delay_alu instid0(VALU_DEP_2) | instskip(NEXT) | instid1(VALU_DEP_1)
	v_dual_sub_f32 v8, v8, v14 :: v_dual_add_f32 v5, v5, v15
	v_sub_f32_e32 v8, v8, v9
	s_delay_alu instid0(VALU_DEP_1) | instskip(NEXT) | instid1(VALU_DEP_4)
	v_add_f32_e32 v5, v5, v8
	v_dual_add_f32 v8, v13, v10 :: v_dual_sub_f32 v9, v12, v11
	v_max_num_f32_e64 v11, |v0|, |v0|
	s_delay_alu instid0(VALU_DEP_2) | instskip(NEXT) | instid1(VALU_DEP_3)
	v_add_f32_e32 v5, v9, v5
	v_sub_f32_e32 v9, v8, v13
	s_delay_alu instid0(VALU_DEP_2) | instskip(NEXT) | instid1(VALU_DEP_2)
	v_add_f32_e32 v5, v14, v5
	v_sub_f32_e32 v9, v10, v9
	s_delay_alu instid0(VALU_DEP_2) | instskip(NEXT) | instid1(VALU_DEP_1)
	v_mul_f32_e32 v5, v7, v5
	v_add_f32_e32 v5, v9, v5
	v_max_num_f32_e64 v9, |v1|, |v1|
	s_delay_alu instid0(VALU_DEP_2) | instskip(NEXT) | instid1(VALU_DEP_2)
	v_add_f32_e32 v7, v8, v5
	v_max_num_f32_e32 v13, v11, v9
	v_min_num_f32_e32 v9, v11, v9
	s_delay_alu instid0(VALU_DEP_3) | instskip(NEXT) | instid1(VALU_DEP_3)
	v_mul_f32_e32 v10, v7, v7
	v_frexp_exp_i32_f32_e32 v11, v13
	s_wait_alu 0xfffe
	s_delay_alu instid0(VALU_DEP_2) | instskip(SKIP_2) | instid1(VALU_DEP_2)
	v_fmaak_f32 v12, s1, v10, 0x3ecc95a3
	v_mul_f32_e32 v14, v7, v10
	s_mov_b32 s1, 0x3b2d2a58
	v_fmaak_f32 v10, v10, v12, 0x3f2aaada
	v_frexp_mant_f32_e32 v12, v13
	v_ldexp_f32 v13, v7, 1
	s_delay_alu instid0(VALU_DEP_3) | instskip(NEXT) | instid1(VALU_DEP_3)
	v_dual_sub_f32 v7, v7, v8 :: v_dual_mul_f32 v10, v14, v10
	v_rcp_f32_e32 v12, v12
	v_frexp_exp_i32_f32_e32 v14, v9
	v_frexp_mant_f32_e32 v9, v9
	s_delay_alu instid0(VALU_DEP_3) | instskip(SKIP_1) | instid1(VALU_DEP_4)
	v_sub_f32_e32 v5, v5, v7
	v_add_f32_e32 v8, v13, v10
	v_sub_nc_u32_e32 v11, v14, v11
	v_mul_f32_e32 v14, 0x3f317218, v4
	s_delay_alu instid0(VALU_DEP_4) | instskip(NEXT) | instid1(VALU_DEP_4)
	v_ldexp_f32 v5, v5, 1
	v_sub_f32_e32 v7, v8, v13
	s_delay_alu instid0(TRANS32_DEP_1) | instskip(NEXT) | instid1(VALU_DEP_4)
	v_mul_f32_e32 v9, v9, v12
	v_fma_f32 v12, 0x3f317218, v4, -v14
	s_delay_alu instid0(VALU_DEP_3) | instskip(NEXT) | instid1(VALU_DEP_3)
	v_sub_f32_e32 v7, v10, v7
	v_ldexp_f32 v9, v9, v11
	s_delay_alu instid0(VALU_DEP_2) | instskip(NEXT) | instid1(VALU_DEP_1)
	v_dual_fmamk_f32 v4, v4, 0xb102e308, v12 :: v_dual_add_f32 v5, v5, v7
	v_dual_add_f32 v10, v14, v4 :: v_dual_mul_f32 v7, v9, v9
	s_delay_alu instid0(VALU_DEP_1) | instskip(SKIP_1) | instid1(VALU_DEP_2)
	v_sub_f32_e32 v14, v10, v14
	s_wait_alu 0xfffe
	v_fmaak_f32 v12, s1, v7, 0xbc7a590c
	v_cmp_neq_f32_e64 s1, 0x7f800000, v6
	s_delay_alu instid0(VALU_DEP_3) | instskip(NEXT) | instid1(VALU_DEP_3)
	v_sub_f32_e32 v4, v4, v14
	v_fmaak_f32 v12, v7, v12, 0x3d29fb3f
	s_delay_alu instid0(VALU_DEP_1) | instskip(NEXT) | instid1(VALU_DEP_1)
	v_dual_fmaak_f32 v12, v7, v12, 0xbd97d4d7 :: v_dual_add_f32 v11, v8, v5
	v_add_f32_e32 v13, v10, v11
	s_delay_alu instid0(VALU_DEP_1) | instskip(NEXT) | instid1(VALU_DEP_1)
	v_sub_f32_e32 v15, v13, v10
	v_sub_f32_e32 v16, v13, v15
	s_delay_alu instid0(VALU_DEP_1) | instskip(SKIP_2) | instid1(VALU_DEP_1)
	v_sub_f32_e32 v10, v10, v16
	v_fmaak_f32 v12, v7, v12, 0x3dd931b2
	v_sub_f32_e32 v8, v11, v8
	v_dual_sub_f32 v5, v5, v8 :: v_dual_sub_f32 v8, v11, v15
	s_delay_alu instid0(VALU_DEP_1) | instskip(NEXT) | instid1(VALU_DEP_1)
	v_dual_fmaak_f32 v11, v7, v12, 0xbe1160e6 :: v_dual_add_f32 v8, v8, v10
	v_fmaak_f32 v10, v7, v11, 0x3e4cb8bf
	s_delay_alu instid0(VALU_DEP_1) | instskip(NEXT) | instid1(VALU_DEP_1)
	v_fmaak_f32 v10, v7, v10, 0xbeaaaa62
	v_dual_add_f32 v12, v4, v5 :: v_dual_mul_f32 v7, v7, v10
	s_delay_alu instid0(VALU_DEP_1) | instskip(SKIP_1) | instid1(VALU_DEP_2)
	v_sub_f32_e32 v11, v12, v4
	v_add_f32_e32 v8, v12, v8
	v_sub_f32_e32 v12, v12, v11
	s_delay_alu instid0(VALU_DEP_2) | instskip(NEXT) | instid1(VALU_DEP_2)
	v_add_f32_e32 v14, v13, v8
	v_dual_sub_f32 v5, v5, v11 :: v_dual_sub_f32 v4, v4, v12
	s_delay_alu instid0(VALU_DEP_2) | instskip(NEXT) | instid1(VALU_DEP_1)
	v_sub_f32_e32 v10, v14, v13
	v_dual_add_f32 v4, v5, v4 :: v_dual_sub_f32 v5, v8, v10
	v_dual_fmac_f32 v9, v9, v7 :: v_dual_mov_b32 v8, 0x4016cbe4
	s_delay_alu instid0(VALU_DEP_2) | instskip(NEXT) | instid1(VALU_DEP_2)
	v_add_f32_e32 v4, v4, v5
	v_sub_f32_e32 v7, 0x3fc90fdb, v9
	s_delay_alu instid0(VALU_DEP_1)
	v_cndmask_b32_e64 v5, v9, v7, s0
	s_wait_alu 0xfffd
	v_cndmask_b32_e64 v7, 0, 0x40490fdb, vcc_lo
	v_add_f32_e32 v4, v14, v4
	v_cmp_gt_f32_e32 vcc_lo, 0, v0
	v_sub_f32_e32 v9, 0x40490fdb, v5
	s_wait_alu 0xf1ff
	s_delay_alu instid0(VALU_DEP_3)
	v_cndmask_b32_e64 v0, 0x7f800000, v4, s1
	s_wait_alu 0xfffd
	v_cndmask_b32_e32 v8, 0x3f490fdb, v8, vcc_lo
	v_cmp_class_f32_e64 s1, v1, 0x204
	v_cndmask_b32_e32 v4, v5, v9, vcc_lo
	v_cmp_gt_f32_e64 vcc_lo, 0x33800000, |v6|
	s_wait_alu 0xfffd
	v_cndmask_b32_e32 v0, v0, v6, vcc_lo
	v_cmp_eq_f32_e32 vcc_lo, 0, v1
                                        ; implicit-def: $vgpr6
	s_wait_alu 0xfffd
	s_delay_alu instid0(VALU_DEP_2) | instskip(SKIP_2) | instid1(VALU_DEP_1)
	v_dual_mul_f32 v5, 0.5, v0 :: v_dual_cndmask_b32 v4, v4, v7
	s_and_b32 vcc_lo, s4, s1
                                        ; implicit-def: $vgpr0
	s_wait_alu 0xfffe
	v_cndmask_b32_e32 v4, v4, v8, vcc_lo
.LBB57_21:
	s_wait_alu 0xfffe
	s_and_not1_saveexec_b32 s3, s3
	s_cbranch_execz .LBB57_23
; %bb.22:
	v_max_num_f32_e64 v4, |v1|, |v1|
	v_max_num_f32_e64 v5, |v0|, |v0|
	s_mov_b32 s1, 0x3b2d2a58
	v_cmp_gt_i32_e32 vcc_lo, 0, v0
	v_cmp_class_f32_e64 s4, v0, 0x204
	v_cmp_class_f32_e64 s5, v1, 0x204
	v_max_num_f32_e32 v7, v5, v4
	v_min_num_f32_e32 v4, v5, v4
	s_delay_alu instid0(VALU_DEP_2) | instskip(NEXT) | instid1(VALU_DEP_1)
	v_frexp_mant_f32_e32 v8, v7
	v_rcp_f32_e32 v5, v8
	s_delay_alu instid0(VALU_DEP_2)
	v_frexp_exp_i32_f32_e32 v8, v4
	v_frexp_mant_f32_e32 v4, v4
	s_delay_alu instid0(TRANS32_DEP_1) | instid1(VALU_DEP_1)
	v_mul_f32_e32 v4, v4, v5
	v_frexp_exp_i32_f32_e32 v7, v7
	s_delay_alu instid0(VALU_DEP_1) | instskip(SKIP_3) | instid1(VALU_DEP_3)
	v_sub_nc_u32_e32 v7, v8, v7
	s_wait_alu 0xfffd
	v_cndmask_b32_e64 v8, 0, 0x40490fdb, vcc_lo
	v_cmp_gt_f32_e32 vcc_lo, 0, v0
	v_ldexp_f32 v4, v4, v7
	s_delay_alu instid0(VALU_DEP_1) | instskip(SKIP_1) | instid1(VALU_DEP_1)
	v_mul_f32_e32 v5, v4, v4
	s_wait_alu 0xfffe
	v_fmaak_f32 v7, s1, v5, 0xbc7a590c
	v_cmp_eq_f32_e64 s1, 0, v1
	s_delay_alu instid0(VALU_DEP_2) | instskip(NEXT) | instid1(VALU_DEP_1)
	v_fmaak_f32 v7, v5, v7, 0x3d29fb3f
	v_fmaak_f32 v7, v5, v7, 0xbd97d4d7
	s_delay_alu instid0(VALU_DEP_1) | instskip(NEXT) | instid1(VALU_DEP_1)
	v_fmaak_f32 v7, v5, v7, 0x3dd931b2
	v_fmaak_f32 v7, v5, v7, 0xbe1160e6
	s_delay_alu instid0(VALU_DEP_1) | instskip(NEXT) | instid1(VALU_DEP_1)
	;; [unrolled: 3-line block ×3, first 2 shown]
	v_mul_f32_e32 v5, v5, v7
	v_fmac_f32_e32 v4, v4, v5
	s_delay_alu instid0(VALU_DEP_1) | instskip(NEXT) | instid1(VALU_DEP_1)
	v_sub_f32_e32 v5, 0x3fc90fdb, v4
	v_cndmask_b32_e64 v4, v4, v5, s0
	s_delay_alu instid0(VALU_DEP_1) | instskip(SKIP_1) | instid1(VALU_DEP_1)
	v_sub_f32_e32 v5, 0x40490fdb, v4
	s_wait_alu 0xfffd
	v_dual_cndmask_b32 v4, v4, v5 :: v_dual_mov_b32 v5, 0x4016cbe4
	v_mul_f32_e32 v7, 0.5, v6
	s_wait_alu 0xf1ff
	s_delay_alu instid0(VALU_DEP_2) | instskip(NEXT) | instid1(VALU_DEP_3)
	v_cndmask_b32_e64 v0, v4, v8, s1
	v_cndmask_b32_e32 v4, 0x3f490fdb, v5, vcc_lo
	s_and_b32 vcc_lo, s4, s5
	s_wait_alu 0xfffe
	s_delay_alu instid0(VALU_DEP_1)
	v_dual_mul_f32 v5, v6, v7 :: v_dual_cndmask_b32 v4, v0, v4
.LBB57_23:
	s_wait_alu 0xfffe
	s_or_b32 exec_lo, exec_lo, s3
.LBB57_24:
	s_wait_alu 0xfffe
	s_or_b32 exec_lo, exec_lo, s2
                                        ; implicit-def: $vgpr0
.LBB57_25:
	s_wait_alu 0xfffe
	s_and_not1_saveexec_b32 s2, s8
	s_cbranch_execz .LBB57_27
; %bb.26:
	v_div_scale_f32 v4, null, 0x402df854, 0x402df854, v0
	v_div_scale_f32 v5, null, 0x402df854, 0x402df854, v1
	v_div_scale_f32 v10, vcc_lo, v0, 0x402df854, v0
	s_delay_alu instid0(VALU_DEP_3) | instskip(NEXT) | instid1(VALU_DEP_2)
	v_rcp_f32_e32 v6, v4
	v_rcp_f32_e32 v7, v5
	v_cmp_class_f32_e64 s3, v1, 0x204
	s_delay_alu instid0(TRANS32_DEP_2) | instskip(NEXT) | instid1(TRANS32_DEP_1)
	v_fma_f32 v8, -v4, v6, 1.0
	v_fma_f32 v9, -v5, v7, 1.0
	s_delay_alu instid0(VALU_DEP_1) | instskip(SKIP_1) | instid1(VALU_DEP_2)
	v_dual_fmac_f32 v6, v8, v6 :: v_dual_fmac_f32 v7, v9, v7
	v_div_scale_f32 v8, s1, v1, 0x402df854, v1
	v_mul_f32_e32 v9, v10, v6
	s_delay_alu instid0(VALU_DEP_1) | instskip(NEXT) | instid1(VALU_DEP_1)
	v_fma_f32 v12, -v4, v9, v10
	v_fmac_f32_e32 v9, v12, v6
	s_delay_alu instid0(VALU_DEP_1) | instskip(SKIP_1) | instid1(VALU_DEP_1)
	v_fma_f32 v4, -v4, v9, v10
	s_wait_alu 0xfffd
	v_div_fmas_f32 v4, v4, v6, v9
	v_max_num_f32_e64 v9, |v0|, |v0|
	v_mul_f32_e32 v11, v8, v7
	s_mov_b32 vcc_lo, s1
	s_mov_b32 s1, 0x3b2d2a58
	v_div_fixup_f32 v6, v4, 0x402df854, v0
	s_delay_alu instid0(VALU_DEP_2) | instskip(NEXT) | instid1(VALU_DEP_1)
	v_fma_f32 v13, -v5, v11, v8
	v_fmac_f32_e32 v11, v13, v7
	s_delay_alu instid0(VALU_DEP_1) | instskip(SKIP_1) | instid1(VALU_DEP_1)
	v_fma_f32 v5, -v5, v11, v8
	s_wait_alu 0xfffe
	v_div_fmas_f32 v5, v5, v7, v11
	s_delay_alu instid0(VALU_DEP_1) | instskip(NEXT) | instid1(VALU_DEP_1)
	v_div_fixup_f32 v7, v5, 0x402df854, v1
	v_max_num_f32_e64 v8, |v6|, |v7|
	s_delay_alu instid0(VALU_DEP_1) | instskip(SKIP_1) | instid1(VALU_DEP_2)
	v_cvt_f64_f32_e32 v[4:5], v8
	v_cmp_neq_f32_e32 vcc_lo, 0x7f800000, v8
	v_frexp_exp_i32_f64_e32 v4, v[4:5]
	v_max_num_f32_e64 v5, |v1|, |v1|
	s_delay_alu instid0(VALU_DEP_1) | instskip(SKIP_1) | instid1(VALU_DEP_2)
	v_max_num_f32_e32 v10, v9, v5
	v_min_num_f32_e32 v5, v9, v5
	v_frexp_mant_f32_e32 v11, v10
	v_frexp_exp_i32_f32_e32 v10, v10
	s_delay_alu instid0(VALU_DEP_3) | instskip(SKIP_1) | instid1(VALU_DEP_4)
	v_frexp_exp_i32_f32_e32 v12, v5
	v_frexp_mant_f32_e32 v5, v5
	v_rcp_f32_e32 v9, v11
	s_delay_alu instid0(VALU_DEP_2) | instskip(NEXT) | instid1(TRANS32_DEP_1)
	v_sub_nc_u32_e32 v10, v12, v10
	v_mul_f32_e32 v5, v5, v9
	v_sub_nc_u32_e32 v11, 0, v4
	s_delay_alu instid0(VALU_DEP_1) | instskip(SKIP_1) | instid1(VALU_DEP_2)
	v_ldexp_f32 v7, |v7|, v11
	v_ldexp_f32 v6, |v6|, v11
	v_mul_f32_e32 v7, v7, v7
	s_delay_alu instid0(VALU_DEP_1) | instskip(NEXT) | instid1(VALU_DEP_1)
	v_fmac_f32_e32 v7, v6, v6
	v_sqrt_f32_e32 v7, v7
	s_delay_alu instid0(TRANS32_DEP_1) | instskip(SKIP_1) | instid1(VALU_DEP_1)
	v_ldexp_f32 v4, v7, v4
	s_wait_alu 0xfffd
	v_cndmask_b32_e32 v4, 0x7f800000, v4, vcc_lo
	s_delay_alu instid0(VALU_DEP_1) | instskip(SKIP_2) | instid1(VALU_DEP_1)
	v_cmp_gt_f32_e32 vcc_lo, 0x800000, v4
	s_wait_alu 0xfffd
	v_cndmask_b32_e64 v8, 0, 32, vcc_lo
	v_ldexp_f32 v4, v4, v8
	v_mov_b32_e32 v8, 0x4016cbe4
	v_ldexp_f32 v5, v5, v10
	v_cndmask_b32_e64 v10, 0, 0x41b17218, vcc_lo
	s_delay_alu instid0(VALU_DEP_4) | instskip(NEXT) | instid1(VALU_DEP_2)
	v_log_f32_e32 v4, v4
	v_mul_f32_e32 v6, v5, v5
	s_delay_alu instid0(VALU_DEP_1) | instskip(SKIP_1) | instid1(TRANS32_DEP_1)
	v_fmaak_f32 v9, s1, v6, 0xbc7a590c
	v_cmp_class_f32_e64 s1, v0, 0x204
	v_cmp_gt_f32_e64 vcc_lo, 0x7f800000, |v4|
	s_delay_alu instid0(VALU_DEP_3) | instskip(NEXT) | instid1(VALU_DEP_1)
	v_fmaak_f32 v9, v6, v9, 0x3d29fb3f
	v_fmaak_f32 v7, v6, v9, 0xbd97d4d7
	s_delay_alu instid0(VALU_DEP_1) | instskip(NEXT) | instid1(VALU_DEP_1)
	v_fmaak_f32 v7, v6, v7, 0x3dd931b2
	v_fmaak_f32 v7, v6, v7, 0xbe1160e6
	s_delay_alu instid0(VALU_DEP_1) | instskip(NEXT) | instid1(VALU_DEP_1)
	v_fmaak_f32 v7, v6, v7, 0x3e4cb8bf
	v_fmaak_f32 v7, v6, v7, 0xbeaaaa62
	s_delay_alu instid0(VALU_DEP_1) | instskip(NEXT) | instid1(VALU_DEP_1)
	v_dual_mul_f32 v6, v6, v7 :: v_dual_mul_f32 v7, 0x3f317217, v4
	v_fmac_f32_e32 v5, v5, v6
	s_delay_alu instid0(VALU_DEP_2) | instskip(NEXT) | instid1(VALU_DEP_2)
	v_fma_f32 v6, 0x3f317217, v4, -v7
	v_sub_f32_e32 v7, 0x3fc90fdb, v5
	s_delay_alu instid0(VALU_DEP_2) | instskip(NEXT) | instid1(VALU_DEP_2)
	v_fmamk_f32 v6, v4, 0x3377d1cf, v6
	v_cndmask_b32_e64 v5, v5, v7, s0
	v_cmp_gt_i32_e64 s0, 0, v0
	s_delay_alu instid0(VALU_DEP_3) | instskip(NEXT) | instid1(VALU_DEP_3)
	v_fmac_f32_e32 v6, 0x3f317217, v4
	v_sub_f32_e32 v9, 0x40490fdb, v5
	s_wait_alu 0xf1ff
	s_delay_alu instid0(VALU_DEP_3)
	v_cndmask_b32_e64 v7, 0, 0x40490fdb, s0
	v_cmp_gt_f32_e64 s0, 0, v0
	s_wait_alu 0xfffd
	v_cndmask_b32_e32 v4, v4, v6, vcc_lo
	v_cmp_eq_f32_e32 vcc_lo, 0, v1
	s_wait_alu 0xf1ff
	v_cndmask_b32_e64 v0, v5, v9, s0
	v_cndmask_b32_e64 v6, 0x3f490fdb, v8, s0
	v_sub_f32_e32 v4, v4, v10
	s_wait_alu 0xfffd
	s_delay_alu instid0(VALU_DEP_3) | instskip(SKIP_2) | instid1(VALU_DEP_1)
	v_cndmask_b32_e32 v0, v0, v7, vcc_lo
	s_and_b32 vcc_lo, s1, s3
	s_wait_alu 0xfffe
	v_dual_add_f32 v5, 1.0, v4 :: v_dual_cndmask_b32 v4, v0, v6
.LBB57_27:
	s_wait_alu 0xfffe
	s_or_b32 exec_lo, exec_lo, s2
                                        ; implicit-def: $vgpr0
.LBB57_28:
	s_wait_alu 0xfffe
	s_and_not1_saveexec_b32 s0, s7
	s_cbranch_execz .LBB57_34
; %bb.29:
	v_cmp_ngt_f32_e64 s1, 0x20000000, |v0|
	v_cmp_ngt_f32_e64 s2, 0x20000000, |v1|
                                        ; implicit-def: $vgpr4
	s_or_b32 s1, s1, s2
	s_wait_alu 0xfffe
	s_and_saveexec_b32 s2, s1
	s_wait_alu 0xfffe
	s_xor_b32 s1, exec_lo, s2
; %bb.30:
	v_mul_f32_e32 v4, v1, v1
	s_delay_alu instid0(VALU_DEP_1)
	v_fmac_f32_e32 v4, v0, v0
                                        ; implicit-def: $vgpr0
; %bb.31:
	s_wait_alu 0xfffe
	s_and_not1_saveexec_b32 s1, s1
; %bb.32:
	v_mul_f32_e32 v4, 4.0, v1
	v_mul_f32_e32 v0, 4.0, v0
	s_delay_alu instid0(VALU_DEP_2) | instskip(NEXT) | instid1(VALU_DEP_1)
	v_mul_f32_e32 v4, v4, v4
	v_fmac_f32_e32 v4, v0, v0
	s_delay_alu instid0(VALU_DEP_1)
	v_mul_f32_e32 v4, 0x3d800000, v4
; %bb.33:
	s_wait_alu 0xfffe
	s_or_b32 exec_lo, exec_lo, s1
	s_delay_alu instid0(VALU_DEP_1) | instskip(SKIP_3) | instid1(VALU_DEP_2)
	v_cmp_gt_f32_e32 vcc_lo, 0x800000, v4
	s_wait_alu 0xfffd
	v_cndmask_b32_e64 v0, 0, 32, vcc_lo
	v_cndmask_b32_e64 v5, 0, 0x41b17218, vcc_lo
	v_ldexp_f32 v0, v4, v0
	s_delay_alu instid0(VALU_DEP_1) | instskip(NEXT) | instid1(TRANS32_DEP_1)
	v_log_f32_e32 v0, v0
	v_mul_f32_e32 v4, 0x3f317217, v0
	v_cmp_gt_f32_e64 vcc_lo, 0x7f800000, |v0|
	s_delay_alu instid0(VALU_DEP_2) | instskip(NEXT) | instid1(VALU_DEP_1)
	v_fma_f32 v4, 0x3f317217, v0, -v4
	v_fmamk_f32 v4, v0, 0x3377d1cf, v4
	s_delay_alu instid0(VALU_DEP_1) | instskip(SKIP_1) | instid1(VALU_DEP_1)
	v_fmac_f32_e32 v4, 0x3f317217, v0
	s_wait_alu 0xfffd
	v_cndmask_b32_e32 v0, v0, v4, vcc_lo
	s_delay_alu instid0(VALU_DEP_1)
	v_dual_mov_b32 v4, 0x7fc00000 :: v_dual_sub_f32 v5, v0, v5
.LBB57_34:
	s_wait_alu 0xfffe
	s_or_b32 exec_lo, exec_lo, s0
	s_delay_alu instid0(VALU_DEP_1) | instskip(SKIP_1) | instid1(VALU_DEP_1)
	v_bfi_b32 v0, 0x7fffffff, v4, v1
	s_mov_b32 s0, exec_lo
	v_mul_f32_e64 v4, v3, -v0
	s_delay_alu instid0(VALU_DEP_1) | instskip(NEXT) | instid1(VALU_DEP_1)
	v_dual_mul_f32 v1, v5, v3 :: v_dual_fmac_f32 v4, v2, v5
	v_fmac_f32_e32 v1, v2, v0
                                        ; implicit-def: $vgpr0
	s_delay_alu instid0(VALU_DEP_1) | instskip(NEXT) | instid1(VALU_DEP_1)
	v_and_b32_e32 v3, 0x7fffffff, v1
	v_cmpx_ne_u32_e32 0, v3
	s_wait_alu 0xfffe
	s_xor_b32 s2, exec_lo, s0
	s_cbranch_execz .LBB57_40
; %bb.35:
	v_and_b32_e32 v2, 0x7fffffff, v4
                                        ; implicit-def: $vgpr0
	s_mov_b32 s0, exec_lo
	s_delay_alu instid0(VALU_DEP_1)
	v_cmpx_ne_u32_e32 0, v2
	s_wait_alu 0xfffe
	s_xor_b32 s3, exec_lo, s0
	s_cbranch_execz .LBB57_67
; %bb.36:
                                        ; implicit-def: $vgpr0
	s_mov_b32 s0, exec_lo
	v_cmpx_gt_u32_e32 0x7f800000, v3
	s_wait_alu 0xfffe
	s_xor_b32 s4, exec_lo, s0
	s_cbranch_execz .LBB57_60
; %bb.37:
	v_add_nc_u32_e32 v0, 0xbd4e8de8, v4
	s_delay_alu instid0(VALU_DEP_1)
	v_cmp_lt_u32_e32 vcc_lo, 0x8e8e5c, v0
                                        ; implicit-def: $vgpr0
	s_and_saveexec_b32 s0, vcc_lo
	s_wait_alu 0xfffe
	s_xor_b32 s5, exec_lo, s0
	s_cbranch_execz .LBB57_49
; %bb.38:
	v_cmp_ngt_f32_e64 s6, 0x48000000, |v1|
                                        ; implicit-def: $vgpr2
                                        ; implicit-def: $vgpr0
	s_and_saveexec_b32 s0, s6
	s_wait_alu 0xfffe
	s_xor_b32 s7, exec_lo, s0
	s_cbranch_execz .LBB57_42
; %bb.39:
	s_mov_b32 s0, 0x7fffff
	v_mov_b32_e32 v7, 0
	s_wait_alu 0xfffe
	v_and_or_b32 v0, v3, s0, 0x800000
	v_lshrrev_b32_e32 v2, 23, v3
	s_delay_alu instid0(VALU_DEP_2) | instskip(NEXT) | instid1(VALU_DEP_2)
	v_mad_co_u64_u32 v[5:6], null, 0xfe5163ab, v0, 0
	v_add_nc_u32_e32 v2, 0xffffff88, v2
	s_delay_alu instid0(VALU_DEP_1) | instskip(NEXT) | instid1(VALU_DEP_3)
	v_cmp_lt_u32_e32 vcc_lo, 63, v2
	v_mad_co_u64_u32 v[8:9], null, 0x3c439041, v0, v[6:7]
	s_wait_alu 0xfffd
	v_cndmask_b32_e64 v13, 0, 0xffffffc0, vcc_lo
	s_delay_alu instid0(VALU_DEP_2) | instskip(NEXT) | instid1(VALU_DEP_2)
	v_mov_b32_e32 v6, v9
	v_add_nc_u32_e32 v2, v13, v2
	s_delay_alu instid0(VALU_DEP_2) | instskip(NEXT) | instid1(VALU_DEP_2)
	v_mad_co_u64_u32 v[9:10], null, 0xdb629599, v0, v[6:7]
	v_cmp_lt_u32_e64 s0, 31, v2
	s_wait_alu 0xf1ff
	s_delay_alu instid0(VALU_DEP_1) | instskip(NEXT) | instid1(VALU_DEP_3)
	v_cndmask_b32_e64 v14, 0, 0xffffffe0, s0
	v_dual_mov_b32 v6, v10 :: v_dual_cndmask_b32 v5, v9, v5
	s_delay_alu instid0(VALU_DEP_2) | instskip(NEXT) | instid1(VALU_DEP_2)
	v_add_nc_u32_e32 v2, v14, v2
	v_mad_co_u64_u32 v[10:11], null, 0xf534ddc0, v0, v[6:7]
	s_delay_alu instid0(VALU_DEP_2) | instskip(NEXT) | instid1(VALU_DEP_2)
	v_cmp_lt_u32_e64 s1, 31, v2
	v_mov_b32_e32 v6, v11
	s_delay_alu instid0(VALU_DEP_1) | instskip(NEXT) | instid1(VALU_DEP_1)
	v_mad_co_u64_u32 v[11:12], null, 0xfc2757d1, v0, v[6:7]
	v_mov_b32_e32 v6, v12
	s_delay_alu instid0(VALU_DEP_1) | instskip(NEXT) | instid1(VALU_DEP_1)
	v_mad_co_u64_u32 v[12:13], null, 0x4e441529, v0, v[6:7]
	v_dual_mov_b32 v6, v13 :: v_dual_cndmask_b32 v13, v12, v10
	s_delay_alu instid0(VALU_DEP_1) | instskip(SKIP_2) | instid1(VALU_DEP_1)
	v_mad_co_u64_u32 v[6:7], null, 0xa2f9836e, v0, v[6:7]
	s_wait_alu 0xf1ff
	v_cndmask_b32_e64 v0, 0, 0xffffffe0, s1
	v_add_nc_u32_e32 v0, v0, v2
	s_delay_alu instid0(VALU_DEP_3) | instskip(SKIP_1) | instid1(VALU_DEP_3)
	v_dual_cndmask_b32 v6, v6, v11 :: v_dual_cndmask_b32 v7, v7, v12
	v_dual_cndmask_b32 v11, v11, v9 :: v_dual_cndmask_b32 v2, v10, v8
	v_sub_nc_u32_e32 v10, 32, v0
	s_delay_alu instid0(VALU_DEP_3) | instskip(NEXT) | instid1(VALU_DEP_4)
	v_cndmask_b32_e64 v8, v6, v13, s0
	v_cndmask_b32_e64 v6, v7, v6, s0
	s_delay_alu instid0(VALU_DEP_4)
	v_cndmask_b32_e64 v7, v13, v11, s0
	v_cndmask_b32_e64 v11, v11, v2, s0
	v_cmp_eq_u32_e32 vcc_lo, 0, v0
	v_cndmask_b32_e64 v2, v2, v5, s0
	v_cndmask_b32_e64 v6, v6, v8, s1
	v_cndmask_b32_e64 v8, v8, v7, s1
	v_cndmask_b32_e64 v7, v7, v11, s1
	s_delay_alu instid0(VALU_DEP_4) | instskip(NEXT) | instid1(VALU_DEP_3)
	v_cndmask_b32_e64 v2, v11, v2, s1
	v_alignbit_b32 v12, v6, v8, v10
	s_delay_alu instid0(VALU_DEP_3) | instskip(NEXT) | instid1(VALU_DEP_3)
	v_alignbit_b32 v9, v8, v7, v10
	v_alignbit_b32 v10, v7, v2, v10
	s_wait_alu 0xfffd
	s_delay_alu instid0(VALU_DEP_2) | instskip(NEXT) | instid1(VALU_DEP_2)
	v_dual_cndmask_b32 v0, v12, v6 :: v_dual_cndmask_b32 v5, v9, v8
	v_cndmask_b32_e32 v7, v10, v7, vcc_lo
	s_delay_alu instid0(VALU_DEP_2) | instskip(NEXT) | instid1(VALU_DEP_3)
	v_bfe_u32 v6, v0, 29, 1
	v_alignbit_b32 v8, v0, v5, 30
	s_delay_alu instid0(VALU_DEP_3) | instskip(SKIP_1) | instid1(VALU_DEP_4)
	v_alignbit_b32 v5, v5, v7, 30
	v_alignbit_b32 v2, v7, v2, 30
	v_sub_nc_u32_e32 v9, 0, v6
	s_delay_alu instid0(VALU_DEP_1) | instskip(NEXT) | instid1(VALU_DEP_4)
	v_xor_b32_e32 v8, v8, v9
	v_xor_b32_e32 v5, v5, v9
	s_delay_alu instid0(VALU_DEP_4) | instskip(SKIP_1) | instid1(VALU_DEP_4)
	v_xor_b32_e32 v2, v2, v9
	v_lshrrev_b32_e32 v9, 29, v0
	v_clz_i32_u32_e32 v10, v8
	s_delay_alu instid0(VALU_DEP_1) | instskip(NEXT) | instid1(VALU_DEP_1)
	v_min_u32_e32 v10, 32, v10
	v_sub_nc_u32_e32 v7, 31, v10
	v_lshlrev_b32_e32 v11, 23, v10
	s_delay_alu instid0(VALU_DEP_2) | instskip(SKIP_2) | instid1(VALU_DEP_2)
	v_alignbit_b32 v8, v8, v5, v7
	v_alignbit_b32 v2, v5, v2, v7
	v_lshlrev_b32_e32 v5, 31, v9
	v_alignbit_b32 v7, v8, v2, 9
	s_delay_alu instid0(VALU_DEP_2) | instskip(SKIP_2) | instid1(VALU_DEP_4)
	v_or_b32_e32 v9, 0.5, v5
	v_lshrrev_b32_e32 v8, 9, v8
	v_or_b32_e32 v5, 0x33000000, v5
	v_clz_i32_u32_e32 v12, v7
	s_delay_alu instid0(VALU_DEP_4) | instskip(NEXT) | instid1(VALU_DEP_2)
	v_sub_nc_u32_e32 v9, v9, v11
	v_min_u32_e32 v11, 32, v12
	s_delay_alu instid0(VALU_DEP_2) | instskip(NEXT) | instid1(VALU_DEP_2)
	v_or_b32_e32 v8, v8, v9
	v_not_b32_e32 v9, v11
	v_add_lshl_u32 v10, v11, v10, 23
	s_delay_alu instid0(VALU_DEP_2) | instskip(NEXT) | instid1(VALU_DEP_2)
	v_alignbit_b32 v2, v7, v2, v9
	v_sub_nc_u32_e32 v5, v5, v10
	s_delay_alu instid0(VALU_DEP_2) | instskip(NEXT) | instid1(VALU_DEP_1)
	v_lshrrev_b32_e32 v2, 9, v2
	v_or_b32_e32 v2, v5, v2
	v_mul_f32_e32 v12, 0x3fc90fda, v8
	s_delay_alu instid0(VALU_DEP_1) | instskip(NEXT) | instid1(VALU_DEP_1)
	v_fma_f32 v7, 0x3fc90fda, v8, -v12
	v_fmamk_f32 v7, v8, 0x33a22168, v7
	s_delay_alu instid0(VALU_DEP_1) | instskip(SKIP_1) | instid1(VALU_DEP_2)
	v_fmac_f32_e32 v7, 0x3fc90fda, v2
	v_lshrrev_b32_e32 v2, 30, v0
	v_add_f32_e32 v0, v12, v7
	s_delay_alu instid0(VALU_DEP_2)
	v_add_nc_u32_e32 v2, v6, v2
	s_and_not1_saveexec_b32 s0, s7
	s_branch .LBB57_43
.LBB57_40:
	s_wait_alu 0xfffe
	s_and_not1_saveexec_b32 s0, s2
	s_cbranch_execz .LBB57_78
.LBB57_41:
	v_mul_f32_e32 v0, 0x3fb8aa3b, v4
	v_cmp_ngt_f32_e32 vcc_lo, 0xc2ce8ed0, v4
	s_delay_alu instid0(VALU_DEP_2) | instskip(SKIP_1) | instid1(VALU_DEP_2)
	v_rndne_f32_e32 v2, v0
	v_fma_f32 v3, 0x3fb8aa3b, v4, -v0
	v_sub_f32_e32 v0, v0, v2
	s_delay_alu instid0(VALU_DEP_2) | instskip(SKIP_1) | instid1(VALU_DEP_2)
	v_fmamk_f32 v3, v4, 0x32a5705f, v3
	v_cvt_i32_f32_e32 v2, v2
	v_add_f32_e32 v0, v0, v3
	s_delay_alu instid0(VALU_DEP_1) | instskip(NEXT) | instid1(TRANS32_DEP_1)
	v_exp_f32_e32 v0, v0
	v_ldexp_f32 v0, v0, v2
	s_wait_alu 0xfffd
	s_delay_alu instid0(VALU_DEP_1) | instskip(SKIP_2) | instid1(VALU_DEP_2)
	v_cndmask_b32_e32 v0, 0, v0, vcc_lo
	v_cmp_nlt_f32_e32 vcc_lo, 0x42b17218, v4
	s_wait_alu 0xfffd
	v_cndmask_b32_e32 v0, 0x7f800000, v0, vcc_lo
	s_wait_alu 0xfffe
	s_or_b32 exec_lo, exec_lo, s0
	s_setpc_b64 s[30:31]
.LBB57_42:
	s_wait_alu 0xfffe
	s_and_not1_saveexec_b32 s0, s7
.LBB57_43:
	v_mul_f32_e64 v0, 0x3f22f983, |v1|
	s_delay_alu instid0(VALU_DEP_1) | instskip(NEXT) | instid1(VALU_DEP_1)
	v_rndne_f32_e32 v2, v0
	v_fma_f32 v0, 0xbfc90fda, v2, |v1|
	s_delay_alu instid0(VALU_DEP_1) | instskip(NEXT) | instid1(VALU_DEP_1)
	v_fmamk_f32 v0, v2, 0xb3a22168, v0
	v_fmamk_f32 v0, v2, 0xa7c234c4, v0
	v_cvt_i32_f32_e32 v2, v2
; %bb.44:
	s_wait_alu 0xfffe
	s_or_b32 exec_lo, exec_lo, s0
                                        ; implicit-def: $vgpr6
                                        ; implicit-def: $vgpr5
	s_and_saveexec_b32 s0, s6
	s_wait_alu 0xfffe
	s_xor_b32 s6, exec_lo, s0
	s_cbranch_execz .LBB57_46
; %bb.45:
	s_mov_b32 s0, 0x7fffff
	v_mov_b32_e32 v7, 0
	s_wait_alu 0xfffe
	v_and_or_b32 v14, v3, s0, 0x800000
	v_lshrrev_b32_e32 v12, 23, v3
	s_delay_alu instid0(VALU_DEP_2) | instskip(NEXT) | instid1(VALU_DEP_2)
	v_mad_co_u64_u32 v[5:6], null, 0xfe5163ab, v14, 0
	v_add_nc_u32_e32 v13, 0xffffff88, v12
	s_delay_alu instid0(VALU_DEP_1) | instskip(NEXT) | instid1(VALU_DEP_3)
	v_cmp_lt_u32_e32 vcc_lo, 63, v13
	v_mad_co_u64_u32 v[8:9], null, 0x3c439041, v14, v[6:7]
	s_wait_alu 0xfffd
	v_cndmask_b32_e64 v15, 0, 0xffffffc0, vcc_lo
	s_delay_alu instid0(VALU_DEP_1) | instskip(NEXT) | instid1(VALU_DEP_1)
	v_dual_mov_b32 v6, v9 :: v_dual_add_nc_u32 v15, v15, v13
	v_mad_co_u64_u32 v[9:10], null, 0xdb629599, v14, v[6:7]
	s_delay_alu instid0(VALU_DEP_2) | instskip(SKIP_1) | instid1(VALU_DEP_1)
	v_cmp_lt_u32_e64 s0, 31, v15
	s_wait_alu 0xf1ff
	v_cndmask_b32_e64 v16, 0, 0xffffffe0, s0
	s_delay_alu instid0(VALU_DEP_3) | instskip(NEXT) | instid1(VALU_DEP_1)
	v_mov_b32_e32 v6, v10
	v_mad_co_u64_u32 v[10:11], null, 0xf534ddc0, v14, v[6:7]
	s_delay_alu instid0(VALU_DEP_1) | instskip(NEXT) | instid1(VALU_DEP_2)
	v_mov_b32_e32 v6, v11
	v_cndmask_b32_e32 v8, v10, v8, vcc_lo
	s_delay_alu instid0(VALU_DEP_2) | instskip(NEXT) | instid1(VALU_DEP_1)
	v_mad_co_u64_u32 v[11:12], null, 0xfc2757d1, v14, v[6:7]
	v_mov_b32_e32 v6, v12
	s_delay_alu instid0(VALU_DEP_1) | instskip(NEXT) | instid1(VALU_DEP_1)
	v_mad_co_u64_u32 v[12:13], null, 0x4e441529, v14, v[6:7]
	v_dual_mov_b32 v6, v13 :: v_dual_add_nc_u32 v13, v16, v15
	s_delay_alu instid0(VALU_DEP_1) | instskip(NEXT) | instid1(VALU_DEP_2)
	v_mad_co_u64_u32 v[6:7], null, 0xa2f9836e, v14, v[6:7]
	v_cmp_lt_u32_e64 s1, 31, v13
	s_delay_alu instid0(VALU_DEP_4) | instskip(SKIP_1) | instid1(VALU_DEP_2)
	v_cndmask_b32_e32 v15, v12, v10, vcc_lo
	s_wait_alu 0xf1ff
	v_cndmask_b32_e64 v14, 0, 0xffffffe0, s1
	s_delay_alu instid0(VALU_DEP_4) | instskip(SKIP_1) | instid1(VALU_DEP_3)
	v_dual_cndmask_b32 v6, v6, v11 :: v_dual_cndmask_b32 v7, v7, v12
	v_cndmask_b32_e32 v11, v11, v9, vcc_lo
	v_add_nc_u32_e32 v12, v14, v13
	s_delay_alu instid0(VALU_DEP_3) | instskip(NEXT) | instid1(VALU_DEP_4)
	v_cndmask_b32_e64 v10, v6, v15, s0
	v_cndmask_b32_e64 v6, v7, v6, s0
	s_delay_alu instid0(VALU_DEP_4) | instskip(SKIP_2) | instid1(VALU_DEP_4)
	v_cndmask_b32_e64 v7, v15, v11, s0
	v_cndmask_b32_e64 v11, v11, v8, s0
	v_sub_nc_u32_e32 v13, 32, v12
	v_cndmask_b32_e64 v6, v6, v10, s1
	s_delay_alu instid0(VALU_DEP_4) | instskip(NEXT) | instid1(VALU_DEP_4)
	v_cndmask_b32_e64 v10, v10, v7, s1
	v_cndmask_b32_e64 v7, v7, v11, s1
	s_delay_alu instid0(VALU_DEP_2) | instskip(SKIP_2) | instid1(VALU_DEP_4)
	v_alignbit_b32 v14, v6, v10, v13
	v_cndmask_b32_e32 v5, v9, v5, vcc_lo
	v_cmp_eq_u32_e32 vcc_lo, 0, v12
	v_alignbit_b32 v9, v10, v7, v13
	s_wait_alu 0xfffd
	v_cndmask_b32_e32 v6, v14, v6, vcc_lo
	v_cndmask_b32_e64 v5, v8, v5, s0
	s_delay_alu instid0(VALU_DEP_1) | instskip(NEXT) | instid1(VALU_DEP_1)
	v_cndmask_b32_e64 v5, v11, v5, s1
	v_alignbit_b32 v12, v7, v5, v13
	v_cndmask_b32_e32 v8, v9, v10, vcc_lo
	v_bfe_u32 v9, v6, 29, 1
	s_delay_alu instid0(VALU_DEP_3) | instskip(NEXT) | instid1(VALU_DEP_3)
	v_cndmask_b32_e32 v7, v12, v7, vcc_lo
	v_alignbit_b32 v10, v6, v8, 30
	s_delay_alu instid0(VALU_DEP_3) | instskip(NEXT) | instid1(VALU_DEP_3)
	v_sub_nc_u32_e32 v11, 0, v9
	v_alignbit_b32 v8, v8, v7, 30
	v_alignbit_b32 v5, v7, v5, 30
	s_delay_alu instid0(VALU_DEP_3) | instskip(NEXT) | instid1(VALU_DEP_3)
	v_xor_b32_e32 v10, v10, v11
	v_xor_b32_e32 v7, v8, v11
	s_delay_alu instid0(VALU_DEP_3) | instskip(NEXT) | instid1(VALU_DEP_3)
	v_xor_b32_e32 v5, v5, v11
	v_clz_i32_u32_e32 v12, v10
	v_lshrrev_b32_e32 v11, 29, v6
	v_lshrrev_b32_e32 v6, 30, v6
	s_delay_alu instid0(VALU_DEP_3) | instskip(NEXT) | instid1(VALU_DEP_2)
	v_min_u32_e32 v12, 32, v12
	v_add_nc_u32_e32 v6, v9, v6
	s_delay_alu instid0(VALU_DEP_2) | instskip(SKIP_1) | instid1(VALU_DEP_2)
	v_sub_nc_u32_e32 v8, 31, v12
	v_lshlrev_b32_e32 v13, 23, v12
	v_alignbit_b32 v10, v10, v7, v8
	v_alignbit_b32 v5, v7, v5, v8
	v_lshlrev_b32_e32 v7, 31, v11
	s_delay_alu instid0(VALU_DEP_2) | instskip(NEXT) | instid1(VALU_DEP_2)
	v_alignbit_b32 v8, v10, v5, 9
	v_or_b32_e32 v11, 0.5, v7
	v_lshrrev_b32_e32 v10, 9, v10
	s_delay_alu instid0(VALU_DEP_3) | instskip(NEXT) | instid1(VALU_DEP_3)
	v_clz_i32_u32_e32 v14, v8
	v_sub_nc_u32_e32 v11, v11, v13
	s_delay_alu instid0(VALU_DEP_2) | instskip(NEXT) | instid1(VALU_DEP_2)
	v_min_u32_e32 v13, 32, v14
	v_or_b32_e32 v10, v10, v11
	s_delay_alu instid0(VALU_DEP_2) | instskip(NEXT) | instid1(VALU_DEP_2)
	v_not_b32_e32 v11, v13
	v_mul_f32_e32 v14, 0x3fc90fda, v10
	v_or_b32_e32 v7, 0x33000000, v7
	v_add_lshl_u32 v12, v13, v12, 23
	s_delay_alu instid0(VALU_DEP_4) | instskip(NEXT) | instid1(VALU_DEP_4)
	v_alignbit_b32 v5, v8, v5, v11
	v_fma_f32 v8, 0x3fc90fda, v10, -v14
	s_delay_alu instid0(VALU_DEP_3) | instskip(NEXT) | instid1(VALU_DEP_3)
	v_sub_nc_u32_e32 v7, v7, v12
	v_lshrrev_b32_e32 v5, 9, v5
	s_delay_alu instid0(VALU_DEP_3) | instskip(NEXT) | instid1(VALU_DEP_2)
	v_fmamk_f32 v8, v10, 0x33a22168, v8
	v_or_b32_e32 v5, v7, v5
	s_delay_alu instid0(VALU_DEP_1) | instskip(NEXT) | instid1(VALU_DEP_1)
	v_fmac_f32_e32 v8, 0x3fc90fda, v5
	v_add_f32_e32 v5, v14, v8
	s_and_not1_saveexec_b32 s0, s6
	s_cbranch_execnz .LBB57_47
	s_branch .LBB57_48
.LBB57_46:
	s_wait_alu 0xfffe
	s_and_not1_saveexec_b32 s0, s6
.LBB57_47:
	v_mul_f32_e64 v5, 0x3f22f983, |v1|
	s_delay_alu instid0(VALU_DEP_1) | instskip(NEXT) | instid1(VALU_DEP_1)
	v_rndne_f32_e32 v6, v5
	v_fma_f32 v5, 0xbfc90fda, v6, |v1|
	s_delay_alu instid0(VALU_DEP_1) | instskip(NEXT) | instid1(VALU_DEP_1)
	v_fmamk_f32 v5, v6, 0xb3a22168, v5
	v_fmamk_f32 v5, v6, 0xa7c234c4, v5
	v_cvt_i32_f32_e32 v6, v6
.LBB57_48:
	s_wait_alu 0xfffe
	s_or_b32 exec_lo, exec_lo, s0
	v_mul_f32_e32 v7, 0x3fb8aa3b, v4
	v_dual_mul_f32 v8, v0, v0 :: v_dual_and_b32 v11, 1, v2
	v_lshlrev_b32_e32 v2, 30, v2
	s_mov_b32 s1, 0x37d75334
	s_delay_alu instid0(VALU_DEP_3) | instskip(SKIP_4) | instid1(VALU_DEP_2)
	v_rndne_f32_e32 v9, v7
	v_fma_f32 v10, 0x3fb8aa3b, v4, -v7
	s_mov_b32 s0, 0xb94c1982
	s_wait_alu 0xfffe
	v_dual_mul_f32 v12, v5, v5 :: v_dual_fmaak_f32 v13, s0, v8, 0x3c0881c4
	v_dual_sub_f32 v7, v7, v9 :: v_dual_fmamk_f32 v10, v4, 0x32a5705f, v10
	v_fmaak_f32 v14, s1, v8, 0xbab64f3b
	v_cvt_i32_f32_e32 v9, v9
	v_cmp_eq_u32_e32 vcc_lo, 0, v11
	v_and_b32_e32 v2, 0x80000000, v2
	v_dual_add_f32 v7, v7, v10 :: v_dual_fmaak_f32 v10, v8, v13, 0xbe2aaa9d
	s_delay_alu instid0(VALU_DEP_1) | instskip(NEXT) | instid1(TRANS32_DEP_1)
	v_exp_f32_e32 v7, v7
	v_ldexp_f32 v7, v7, v9
	v_fmaak_f32 v13, v8, v14, 0x3d2aabf7
	v_and_b32_e32 v9, 1, v6
	v_dual_fmaak_f32 v15, s0, v12, 0x3c0881c4 :: v_dual_mul_f32 v10, v8, v10
	v_cmp_nlt_f32_e64 s0, 0x42b17218, v4
	s_delay_alu instid0(VALU_DEP_4) | instskip(NEXT) | instid1(VALU_DEP_3)
	v_dual_fmaak_f32 v13, v8, v13, 0xbf000004 :: v_dual_lshlrev_b32 v6, 30, v6
	v_fmac_f32_e32 v0, v0, v10
	s_delay_alu instid0(VALU_DEP_2) | instskip(NEXT) | instid1(VALU_DEP_3)
	v_fma_f32 v8, v8, v13, 1.0
	v_and_or_b32 v3, 0x80000000, v6, v3
	s_wait_alu 0xfffd
	s_delay_alu instid0(VALU_DEP_2) | instskip(SKIP_2) | instid1(VALU_DEP_3)
	v_cndmask_b32_e64 v0, -v0, v8, vcc_lo
	v_cmp_eq_u32_e32 vcc_lo, 0, v9
	v_fmaak_f32 v14, v12, v15, 0xbe2aaa9d
	v_xor_b32_e32 v0, v2, v0
	s_delay_alu instid0(VALU_DEP_2) | instskip(NEXT) | instid1(VALU_DEP_1)
	v_mul_f32_e32 v14, v12, v14
	v_dual_fmaak_f32 v16, s1, v12, 0xbab64f3b :: v_dual_fmac_f32 v5, v5, v14
	s_delay_alu instid0(VALU_DEP_1) | instskip(NEXT) | instid1(VALU_DEP_1)
	v_fmaak_f32 v15, v12, v16, 0x3d2aabf7
	v_fmaak_f32 v15, v12, v15, 0xbf000004
	s_delay_alu instid0(VALU_DEP_1) | instskip(SKIP_1) | instid1(VALU_DEP_1)
	v_fma_f32 v10, v12, v15, 1.0
	s_wait_alu 0xfffd
	v_cndmask_b32_e32 v5, v10, v5, vcc_lo
	v_cmp_ngt_f32_e32 vcc_lo, 0xc2ce8ed0, v4
                                        ; implicit-def: $vgpr4
	s_wait_alu 0xfffd
	v_cndmask_b32_e32 v6, 0, v7, vcc_lo
	v_cmp_class_f32_e64 vcc_lo, v1, 0x1f8
	v_xor3_b32 v1, v3, v5, v1
                                        ; implicit-def: $vgpr3
	s_wait_alu 0xf1ff
	s_delay_alu instid0(VALU_DEP_3) | instskip(SKIP_2) | instid1(VALU_DEP_1)
	v_cndmask_b32_e64 v2, 0x7f800000, v6, s0
	s_wait_alu 0xfffd
	v_cndmask_b32_e32 v0, 0x7fc00000, v0, vcc_lo
	v_dual_cndmask_b32 v1, 0x7fc00000, v1 :: v_dual_mul_f32 v0, v2, v0
	s_delay_alu instid0(VALU_DEP_1)
	v_mul_f32_e32 v1, v2, v1
.LBB57_49:
	s_wait_alu 0xfffe
	s_and_not1_saveexec_b32 s5, s5
	s_cbranch_execz .LBB57_52
; %bb.50:
	s_delay_alu instid0(VALU_DEP_1)
	v_cmp_ngt_f32_e64 s6, 0x48000000, |v1|
                                        ; implicit-def: $vgpr2
                                        ; implicit-def: $vgpr0
	s_and_saveexec_b32 s0, s6
	s_wait_alu 0xfffe
	s_xor_b32 s7, exec_lo, s0
	s_cbranch_execz .LBB57_53
; %bb.51:
	s_mov_b32 s0, 0x7fffff
	v_mov_b32_e32 v7, 0
	s_wait_alu 0xfffe
	v_and_or_b32 v0, v3, s0, 0x800000
	v_lshrrev_b32_e32 v2, 23, v3
	s_delay_alu instid0(VALU_DEP_2) | instskip(NEXT) | instid1(VALU_DEP_2)
	v_mad_co_u64_u32 v[5:6], null, 0xfe5163ab, v0, 0
	v_add_nc_u32_e32 v2, 0xffffff88, v2
	s_delay_alu instid0(VALU_DEP_1) | instskip(NEXT) | instid1(VALU_DEP_3)
	v_cmp_lt_u32_e32 vcc_lo, 63, v2
	v_mad_co_u64_u32 v[8:9], null, 0x3c439041, v0, v[6:7]
	s_wait_alu 0xfffd
	v_cndmask_b32_e64 v13, 0, 0xffffffc0, vcc_lo
	s_delay_alu instid0(VALU_DEP_2) | instskip(NEXT) | instid1(VALU_DEP_2)
	v_mov_b32_e32 v6, v9
	v_add_nc_u32_e32 v2, v13, v2
	s_delay_alu instid0(VALU_DEP_2) | instskip(NEXT) | instid1(VALU_DEP_2)
	v_mad_co_u64_u32 v[9:10], null, 0xdb629599, v0, v[6:7]
	v_cmp_lt_u32_e64 s0, 31, v2
	s_wait_alu 0xf1ff
	s_delay_alu instid0(VALU_DEP_1) | instskip(NEXT) | instid1(VALU_DEP_3)
	v_cndmask_b32_e64 v14, 0, 0xffffffe0, s0
	v_dual_mov_b32 v6, v10 :: v_dual_cndmask_b32 v5, v9, v5
	s_delay_alu instid0(VALU_DEP_2) | instskip(NEXT) | instid1(VALU_DEP_2)
	v_add_nc_u32_e32 v2, v14, v2
	v_mad_co_u64_u32 v[10:11], null, 0xf534ddc0, v0, v[6:7]
	s_delay_alu instid0(VALU_DEP_2) | instskip(NEXT) | instid1(VALU_DEP_2)
	v_cmp_lt_u32_e64 s1, 31, v2
	v_mov_b32_e32 v6, v11
	s_delay_alu instid0(VALU_DEP_1) | instskip(NEXT) | instid1(VALU_DEP_1)
	v_mad_co_u64_u32 v[11:12], null, 0xfc2757d1, v0, v[6:7]
	v_mov_b32_e32 v6, v12
	s_delay_alu instid0(VALU_DEP_1) | instskip(NEXT) | instid1(VALU_DEP_1)
	v_mad_co_u64_u32 v[12:13], null, 0x4e441529, v0, v[6:7]
	v_dual_mov_b32 v6, v13 :: v_dual_cndmask_b32 v13, v12, v10
	s_delay_alu instid0(VALU_DEP_1) | instskip(SKIP_2) | instid1(VALU_DEP_1)
	v_mad_co_u64_u32 v[6:7], null, 0xa2f9836e, v0, v[6:7]
	s_wait_alu 0xf1ff
	v_cndmask_b32_e64 v0, 0, 0xffffffe0, s1
	v_add_nc_u32_e32 v0, v0, v2
	s_delay_alu instid0(VALU_DEP_3) | instskip(SKIP_1) | instid1(VALU_DEP_3)
	v_dual_cndmask_b32 v6, v6, v11 :: v_dual_cndmask_b32 v7, v7, v12
	v_dual_cndmask_b32 v11, v11, v9 :: v_dual_cndmask_b32 v2, v10, v8
	v_sub_nc_u32_e32 v10, 32, v0
	s_delay_alu instid0(VALU_DEP_3) | instskip(NEXT) | instid1(VALU_DEP_4)
	v_cndmask_b32_e64 v8, v6, v13, s0
	v_cndmask_b32_e64 v6, v7, v6, s0
	s_delay_alu instid0(VALU_DEP_4)
	v_cndmask_b32_e64 v7, v13, v11, s0
	v_cndmask_b32_e64 v11, v11, v2, s0
	v_cmp_eq_u32_e32 vcc_lo, 0, v0
	v_cndmask_b32_e64 v2, v2, v5, s0
	v_cndmask_b32_e64 v6, v6, v8, s1
	;; [unrolled: 1-line block ×4, first 2 shown]
	s_delay_alu instid0(VALU_DEP_4) | instskip(NEXT) | instid1(VALU_DEP_3)
	v_cndmask_b32_e64 v2, v11, v2, s1
	v_alignbit_b32 v12, v6, v8, v10
	s_delay_alu instid0(VALU_DEP_3) | instskip(NEXT) | instid1(VALU_DEP_3)
	v_alignbit_b32 v9, v8, v7, v10
	v_alignbit_b32 v10, v7, v2, v10
	s_wait_alu 0xfffd
	s_delay_alu instid0(VALU_DEP_2) | instskip(NEXT) | instid1(VALU_DEP_2)
	v_dual_cndmask_b32 v0, v12, v6 :: v_dual_cndmask_b32 v5, v9, v8
	v_cndmask_b32_e32 v7, v10, v7, vcc_lo
	s_delay_alu instid0(VALU_DEP_2) | instskip(NEXT) | instid1(VALU_DEP_3)
	v_bfe_u32 v6, v0, 29, 1
	v_alignbit_b32 v8, v0, v5, 30
	s_delay_alu instid0(VALU_DEP_3) | instskip(SKIP_1) | instid1(VALU_DEP_4)
	v_alignbit_b32 v5, v5, v7, 30
	v_alignbit_b32 v2, v7, v2, 30
	v_sub_nc_u32_e32 v9, 0, v6
	s_delay_alu instid0(VALU_DEP_1) | instskip(NEXT) | instid1(VALU_DEP_4)
	v_xor_b32_e32 v8, v8, v9
	v_xor_b32_e32 v5, v5, v9
	s_delay_alu instid0(VALU_DEP_4) | instskip(SKIP_1) | instid1(VALU_DEP_4)
	v_xor_b32_e32 v2, v2, v9
	v_lshrrev_b32_e32 v9, 29, v0
	v_clz_i32_u32_e32 v10, v8
	s_delay_alu instid0(VALU_DEP_1) | instskip(NEXT) | instid1(VALU_DEP_1)
	v_min_u32_e32 v10, 32, v10
	v_sub_nc_u32_e32 v7, 31, v10
	v_lshlrev_b32_e32 v11, 23, v10
	s_delay_alu instid0(VALU_DEP_2) | instskip(SKIP_2) | instid1(VALU_DEP_2)
	v_alignbit_b32 v8, v8, v5, v7
	v_alignbit_b32 v2, v5, v2, v7
	v_lshlrev_b32_e32 v5, 31, v9
	v_alignbit_b32 v7, v8, v2, 9
	s_delay_alu instid0(VALU_DEP_2) | instskip(SKIP_2) | instid1(VALU_DEP_4)
	v_or_b32_e32 v9, 0.5, v5
	v_lshrrev_b32_e32 v8, 9, v8
	v_or_b32_e32 v5, 0x33000000, v5
	v_clz_i32_u32_e32 v12, v7
	s_delay_alu instid0(VALU_DEP_4) | instskip(NEXT) | instid1(VALU_DEP_2)
	v_sub_nc_u32_e32 v9, v9, v11
	v_min_u32_e32 v11, 32, v12
	s_delay_alu instid0(VALU_DEP_2) | instskip(NEXT) | instid1(VALU_DEP_2)
	v_or_b32_e32 v8, v8, v9
	v_not_b32_e32 v9, v11
	v_add_lshl_u32 v10, v11, v10, 23
	s_delay_alu instid0(VALU_DEP_2) | instskip(NEXT) | instid1(VALU_DEP_2)
	v_alignbit_b32 v2, v7, v2, v9
	v_sub_nc_u32_e32 v5, v5, v10
	s_delay_alu instid0(VALU_DEP_2) | instskip(NEXT) | instid1(VALU_DEP_1)
	v_lshrrev_b32_e32 v2, 9, v2
	v_or_b32_e32 v2, v5, v2
	v_mul_f32_e32 v12, 0x3fc90fda, v8
	s_delay_alu instid0(VALU_DEP_1) | instskip(NEXT) | instid1(VALU_DEP_1)
	v_fma_f32 v7, 0x3fc90fda, v8, -v12
	v_fmamk_f32 v7, v8, 0x33a22168, v7
	s_delay_alu instid0(VALU_DEP_1) | instskip(SKIP_1) | instid1(VALU_DEP_2)
	v_fmac_f32_e32 v7, 0x3fc90fda, v2
	v_lshrrev_b32_e32 v2, 30, v0
	v_add_f32_e32 v0, v12, v7
	s_delay_alu instid0(VALU_DEP_2)
	v_add_nc_u32_e32 v2, v6, v2
	s_and_not1_saveexec_b32 s0, s7
	s_branch .LBB57_54
.LBB57_52:
	s_wait_alu 0xfffe
	s_or_b32 exec_lo, exec_lo, s5
                                        ; implicit-def: $vgpr4
                                        ; implicit-def: $vgpr2
	s_and_not1_saveexec_b32 s0, s4
	s_cbranch_execnz .LBB57_61
	s_branch .LBB57_66
.LBB57_53:
	s_wait_alu 0xfffe
	s_and_not1_saveexec_b32 s0, s7
.LBB57_54:
	v_mul_f32_e64 v0, 0x3f22f983, |v1|
	s_delay_alu instid0(VALU_DEP_1) | instskip(NEXT) | instid1(VALU_DEP_1)
	v_rndne_f32_e32 v2, v0
	v_fma_f32 v0, 0xbfc90fda, v2, |v1|
	s_delay_alu instid0(VALU_DEP_1) | instskip(NEXT) | instid1(VALU_DEP_1)
	v_fmamk_f32 v0, v2, 0xb3a22168, v0
	v_fmamk_f32 v0, v2, 0xa7c234c4, v0
	v_cvt_i32_f32_e32 v2, v2
; %bb.55:
	s_wait_alu 0xfffe
	s_or_b32 exec_lo, exec_lo, s0
                                        ; implicit-def: $vgpr6
                                        ; implicit-def: $vgpr5
	s_and_saveexec_b32 s0, s6
	s_wait_alu 0xfffe
	s_xor_b32 s6, exec_lo, s0
	s_cbranch_execz .LBB57_57
; %bb.56:
	s_mov_b32 s0, 0x7fffff
	v_mov_b32_e32 v7, 0
	s_wait_alu 0xfffe
	v_and_or_b32 v14, v3, s0, 0x800000
	v_lshrrev_b32_e32 v12, 23, v3
	s_delay_alu instid0(VALU_DEP_2) | instskip(NEXT) | instid1(VALU_DEP_2)
	v_mad_co_u64_u32 v[5:6], null, 0xfe5163ab, v14, 0
	v_add_nc_u32_e32 v13, 0xffffff88, v12
	s_delay_alu instid0(VALU_DEP_1) | instskip(NEXT) | instid1(VALU_DEP_3)
	v_cmp_lt_u32_e32 vcc_lo, 63, v13
	v_mad_co_u64_u32 v[8:9], null, 0x3c439041, v14, v[6:7]
	s_wait_alu 0xfffd
	v_cndmask_b32_e64 v15, 0, 0xffffffc0, vcc_lo
	s_delay_alu instid0(VALU_DEP_1) | instskip(NEXT) | instid1(VALU_DEP_1)
	v_dual_mov_b32 v6, v9 :: v_dual_add_nc_u32 v15, v15, v13
	v_mad_co_u64_u32 v[9:10], null, 0xdb629599, v14, v[6:7]
	s_delay_alu instid0(VALU_DEP_2) | instskip(SKIP_1) | instid1(VALU_DEP_1)
	v_cmp_lt_u32_e64 s0, 31, v15
	s_wait_alu 0xf1ff
	v_cndmask_b32_e64 v16, 0, 0xffffffe0, s0
	s_delay_alu instid0(VALU_DEP_3) | instskip(NEXT) | instid1(VALU_DEP_1)
	v_mov_b32_e32 v6, v10
	v_mad_co_u64_u32 v[10:11], null, 0xf534ddc0, v14, v[6:7]
	s_delay_alu instid0(VALU_DEP_1) | instskip(NEXT) | instid1(VALU_DEP_2)
	v_mov_b32_e32 v6, v11
	v_cndmask_b32_e32 v8, v10, v8, vcc_lo
	s_delay_alu instid0(VALU_DEP_2) | instskip(NEXT) | instid1(VALU_DEP_1)
	v_mad_co_u64_u32 v[11:12], null, 0xfc2757d1, v14, v[6:7]
	v_mov_b32_e32 v6, v12
	s_delay_alu instid0(VALU_DEP_1) | instskip(NEXT) | instid1(VALU_DEP_1)
	v_mad_co_u64_u32 v[12:13], null, 0x4e441529, v14, v[6:7]
	v_dual_mov_b32 v6, v13 :: v_dual_add_nc_u32 v13, v16, v15
	s_delay_alu instid0(VALU_DEP_1) | instskip(NEXT) | instid1(VALU_DEP_2)
	v_mad_co_u64_u32 v[6:7], null, 0xa2f9836e, v14, v[6:7]
	v_cmp_lt_u32_e64 s1, 31, v13
	s_delay_alu instid0(VALU_DEP_4) | instskip(SKIP_1) | instid1(VALU_DEP_2)
	v_cndmask_b32_e32 v15, v12, v10, vcc_lo
	s_wait_alu 0xf1ff
	v_cndmask_b32_e64 v14, 0, 0xffffffe0, s1
	s_delay_alu instid0(VALU_DEP_4) | instskip(SKIP_1) | instid1(VALU_DEP_3)
	v_dual_cndmask_b32 v6, v6, v11 :: v_dual_cndmask_b32 v7, v7, v12
	v_cndmask_b32_e32 v11, v11, v9, vcc_lo
	v_add_nc_u32_e32 v12, v14, v13
	s_delay_alu instid0(VALU_DEP_3) | instskip(NEXT) | instid1(VALU_DEP_4)
	v_cndmask_b32_e64 v10, v6, v15, s0
	v_cndmask_b32_e64 v6, v7, v6, s0
	s_delay_alu instid0(VALU_DEP_4) | instskip(SKIP_2) | instid1(VALU_DEP_4)
	v_cndmask_b32_e64 v7, v15, v11, s0
	v_cndmask_b32_e64 v11, v11, v8, s0
	v_sub_nc_u32_e32 v13, 32, v12
	v_cndmask_b32_e64 v6, v6, v10, s1
	s_delay_alu instid0(VALU_DEP_4) | instskip(NEXT) | instid1(VALU_DEP_4)
	v_cndmask_b32_e64 v10, v10, v7, s1
	v_cndmask_b32_e64 v7, v7, v11, s1
	s_delay_alu instid0(VALU_DEP_2) | instskip(SKIP_2) | instid1(VALU_DEP_4)
	v_alignbit_b32 v14, v6, v10, v13
	v_cndmask_b32_e32 v5, v9, v5, vcc_lo
	v_cmp_eq_u32_e32 vcc_lo, 0, v12
	v_alignbit_b32 v9, v10, v7, v13
	s_wait_alu 0xfffd
	v_cndmask_b32_e32 v6, v14, v6, vcc_lo
	v_cndmask_b32_e64 v5, v8, v5, s0
	s_delay_alu instid0(VALU_DEP_1) | instskip(NEXT) | instid1(VALU_DEP_1)
	v_cndmask_b32_e64 v5, v11, v5, s1
	v_alignbit_b32 v12, v7, v5, v13
	v_cndmask_b32_e32 v8, v9, v10, vcc_lo
	v_bfe_u32 v9, v6, 29, 1
	s_delay_alu instid0(VALU_DEP_3) | instskip(NEXT) | instid1(VALU_DEP_3)
	v_cndmask_b32_e32 v7, v12, v7, vcc_lo
	v_alignbit_b32 v10, v6, v8, 30
	s_delay_alu instid0(VALU_DEP_3) | instskip(NEXT) | instid1(VALU_DEP_3)
	v_sub_nc_u32_e32 v11, 0, v9
	v_alignbit_b32 v8, v8, v7, 30
	v_alignbit_b32 v5, v7, v5, 30
	s_delay_alu instid0(VALU_DEP_3) | instskip(NEXT) | instid1(VALU_DEP_3)
	v_xor_b32_e32 v10, v10, v11
	v_xor_b32_e32 v7, v8, v11
	s_delay_alu instid0(VALU_DEP_3) | instskip(NEXT) | instid1(VALU_DEP_3)
	v_xor_b32_e32 v5, v5, v11
	v_clz_i32_u32_e32 v12, v10
	v_lshrrev_b32_e32 v11, 29, v6
	v_lshrrev_b32_e32 v6, 30, v6
	s_delay_alu instid0(VALU_DEP_3) | instskip(NEXT) | instid1(VALU_DEP_2)
	v_min_u32_e32 v12, 32, v12
	v_add_nc_u32_e32 v6, v9, v6
	s_delay_alu instid0(VALU_DEP_2) | instskip(SKIP_1) | instid1(VALU_DEP_2)
	v_sub_nc_u32_e32 v8, 31, v12
	v_lshlrev_b32_e32 v13, 23, v12
	v_alignbit_b32 v10, v10, v7, v8
	v_alignbit_b32 v5, v7, v5, v8
	v_lshlrev_b32_e32 v7, 31, v11
	s_delay_alu instid0(VALU_DEP_2) | instskip(NEXT) | instid1(VALU_DEP_2)
	v_alignbit_b32 v8, v10, v5, 9
	v_or_b32_e32 v11, 0.5, v7
	v_lshrrev_b32_e32 v10, 9, v10
	s_delay_alu instid0(VALU_DEP_3) | instskip(NEXT) | instid1(VALU_DEP_3)
	v_clz_i32_u32_e32 v14, v8
	v_sub_nc_u32_e32 v11, v11, v13
	s_delay_alu instid0(VALU_DEP_2) | instskip(NEXT) | instid1(VALU_DEP_2)
	v_min_u32_e32 v13, 32, v14
	v_or_b32_e32 v10, v10, v11
	s_delay_alu instid0(VALU_DEP_2) | instskip(NEXT) | instid1(VALU_DEP_2)
	v_not_b32_e32 v11, v13
	v_mul_f32_e32 v14, 0x3fc90fda, v10
	v_or_b32_e32 v7, 0x33000000, v7
	v_add_lshl_u32 v12, v13, v12, 23
	s_delay_alu instid0(VALU_DEP_4) | instskip(NEXT) | instid1(VALU_DEP_4)
	v_alignbit_b32 v5, v8, v5, v11
	v_fma_f32 v8, 0x3fc90fda, v10, -v14
	s_delay_alu instid0(VALU_DEP_3) | instskip(NEXT) | instid1(VALU_DEP_3)
	v_sub_nc_u32_e32 v7, v7, v12
	v_lshrrev_b32_e32 v5, 9, v5
	s_delay_alu instid0(VALU_DEP_3) | instskip(NEXT) | instid1(VALU_DEP_2)
	v_fmamk_f32 v8, v10, 0x33a22168, v8
	v_or_b32_e32 v5, v7, v5
	s_delay_alu instid0(VALU_DEP_1) | instskip(NEXT) | instid1(VALU_DEP_1)
	v_fmac_f32_e32 v8, 0x3fc90fda, v5
	v_add_f32_e32 v5, v14, v8
	s_and_not1_saveexec_b32 s0, s6
	s_cbranch_execnz .LBB57_58
	s_branch .LBB57_59
.LBB57_57:
	s_wait_alu 0xfffe
	s_and_not1_saveexec_b32 s0, s6
.LBB57_58:
	v_mul_f32_e64 v5, 0x3f22f983, |v1|
	s_delay_alu instid0(VALU_DEP_1) | instskip(NEXT) | instid1(VALU_DEP_1)
	v_rndne_f32_e32 v6, v5
	v_fma_f32 v5, 0xbfc90fda, v6, |v1|
	s_delay_alu instid0(VALU_DEP_1) | instskip(NEXT) | instid1(VALU_DEP_1)
	v_fmamk_f32 v5, v6, 0xb3a22168, v5
	v_fmamk_f32 v5, v6, 0xa7c234c4, v5
	v_cvt_i32_f32_e32 v6, v6
.LBB57_59:
	s_wait_alu 0xfffe
	s_or_b32 exec_lo, exec_lo, s0
	v_add_f32_e32 v4, 0xc322e3bc, v4
	v_mul_f32_e32 v10, v0, v0
	s_mov_b32 s0, 0x37d75334
	s_mov_b32 s1, 0xb94c1982
	v_mul_f32_e32 v11, v5, v5
	v_mul_f32_e32 v7, 0x3fb8aa3b, v4
	s_wait_alu 0xfffe
	s_delay_alu instid0(VALU_DEP_2) | instskip(NEXT) | instid1(VALU_DEP_2)
	v_fmaak_f32 v14, s1, v11, 0x3c0881c4
	v_fma_f32 v8, 0x3fb8aa3b, v4, -v7
	v_rndne_f32_e32 v9, v7
	s_delay_alu instid0(VALU_DEP_3) | instskip(NEXT) | instid1(VALU_DEP_2)
	v_fmaak_f32 v14, v11, v14, 0xbe2aaa9d
	v_dual_sub_f32 v7, v7, v9 :: v_dual_fmamk_f32 v8, v4, 0x32a5705f, v8
	v_cvt_i32_f32_e32 v9, v9
	v_cmp_ngt_f32_e32 vcc_lo, 0xc2ce8ed0, v4
	s_delay_alu instid0(VALU_DEP_4) | instskip(NEXT) | instid1(VALU_DEP_4)
	v_mul_f32_e32 v14, v11, v14
	v_dual_add_f32 v7, v7, v8 :: v_dual_lshlrev_b32 v8, 30, v2
	v_and_b32_e32 v2, 1, v2
	s_delay_alu instid0(VALU_DEP_3) | instskip(NEXT) | instid1(VALU_DEP_3)
	v_fmac_f32_e32 v5, v5, v14
	v_exp_f32_e32 v7, v7
	s_delay_alu instid0(VALU_DEP_3) | instskip(NEXT) | instid1(TRANS32_DEP_1)
	v_and_b32_e32 v8, 0x80000000, v8
	v_ldexp_f32 v7, v7, v9
	v_and_b32_e32 v9, 1, v6
	v_lshlrev_b32_e32 v6, 30, v6
	v_fmaak_f32 v12, s0, v10, 0xbab64f3b
	v_fmaak_f32 v13, s1, v10, 0x3c0881c4
	s_wait_alu 0xfffd
	v_cndmask_b32_e32 v7, 0, v7, vcc_lo
	v_cmp_nlt_f32_e32 vcc_lo, 0x42b17218, v4
	v_and_or_b32 v3, 0x80000000, v6, v3
	s_wait_alu 0xfffd
	s_delay_alu instid0(VALU_DEP_3)
	v_cndmask_b32_e32 v4, 0x7f800000, v7, vcc_lo
	v_fmaak_f32 v7, s0, v11, 0xbab64f3b
	v_fmaak_f32 v6, v10, v12, 0x3d2aabf7
	;; [unrolled: 1-line block ×3, first 2 shown]
	v_cmp_eq_u32_e32 vcc_lo, 0, v2
	s_mov_b32 s0, 0x7fffff
	v_fmaak_f32 v7, v11, v7, 0x3d2aabf7
	s_delay_alu instid0(VALU_DEP_1) | instskip(NEXT) | instid1(VALU_DEP_1)
	v_dual_fmaak_f32 v6, v10, v6, 0xbf000004 :: v_dual_fmaak_f32 v7, v11, v7, 0xbf000004
	v_fma_f32 v6, v10, v6, 1.0
	s_delay_alu instid0(VALU_DEP_2) | instskip(SKIP_1) | instid1(VALU_DEP_1)
	v_fma_f32 v7, v11, v7, 1.0
	v_mul_f32_e32 v12, v10, v12
	v_fmac_f32_e32 v0, v0, v12
	s_wait_alu 0xfffd
	s_delay_alu instid0(VALU_DEP_1) | instskip(SKIP_1) | instid1(VALU_DEP_2)
	v_cndmask_b32_e64 v0, -v0, v6, vcc_lo
	v_cmp_eq_u32_e32 vcc_lo, 0, v9
	v_xor_b32_e32 v0, v8, v0
	s_wait_alu 0xfffd
	v_cndmask_b32_e32 v5, v7, v5, vcc_lo
	v_cmp_class_f32_e64 vcc_lo, v1, 0x1f8
	s_delay_alu instid0(VALU_DEP_2) | instskip(SKIP_4) | instid1(VALU_DEP_1)
	v_xor3_b32 v3, v3, v5, v1
	s_wait_alu 0xfffd
	v_cndmask_b32_e32 v0, 0x7fc00000, v0, vcc_lo
	s_wait_alu 0xfffe
	v_and_or_b32 v1, v4, s0, 0x7f000000
	v_dual_cndmask_b32 v3, 0x7fc00000, v3 :: v_dual_mul_f32 v0, v0, v1
	s_delay_alu instid0(VALU_DEP_1) | instskip(SKIP_1) | instid1(VALU_DEP_1)
	v_mul_f32_e32 v1, v3, v1
	v_lshrrev_b32_e32 v13, 23, v4
	v_subrev_nc_u32_e32 v13, 19, v13
	s_delay_alu instid0(VALU_DEP_1) | instskip(NEXT) | instid1(VALU_DEP_1)
	v_lshrrev_b16 v10, 15, v13
	v_add_nc_u16 v2, v13, v10
	s_delay_alu instid0(VALU_DEP_1) | instskip(NEXT) | instid1(VALU_DEP_1)
	v_ashrrev_i16 v2, 1, v2
	v_bfe_i32 v2, v2, 0, 16
	s_delay_alu instid0(VALU_DEP_1) | instskip(SKIP_1) | instid1(VALU_DEP_2)
	v_lshl_add_u32 v4, v2, 23, 1.0
	v_sub_nc_u32_e32 v2, v13, v2
	v_mul_f32_e32 v0, v0, v4
	s_delay_alu instid0(VALU_DEP_2) | instskip(NEXT) | instid1(VALU_DEP_1)
	v_lshl_add_u32 v2, v2, 23, 1.0
	v_dual_mul_f32 v1, v1, v4 :: v_dual_mul_f32 v0, v0, v2
	s_delay_alu instid0(VALU_DEP_1)
	v_mul_f32_e32 v1, v1, v2
	s_or_b32 exec_lo, exec_lo, s5
                                        ; implicit-def: $vgpr4
                                        ; implicit-def: $vgpr2
.LBB57_60:
	s_wait_alu 0xfffe
	s_and_not1_saveexec_b32 s0, s4
	s_cbranch_execz .LBB57_66
.LBB57_61:
	v_sub_f32_e32 v1, v1, v1
	s_mov_b32 s1, exec_lo
	v_cmpx_ne_u32_e32 0x7f800000, v2
	s_wait_alu 0xfffe
	s_xor_b32 s1, exec_lo, s1
; %bb.62:
                                        ; implicit-def: $vgpr4
; %bb.63:
	s_wait_alu 0xfffe
	s_or_saveexec_b32 s1, s1
	v_mov_b32_e32 v0, v1
	s_wait_alu 0xfffe
	s_xor_b32 exec_lo, exec_lo, s1
; %bb.64:
	v_cmp_lt_i32_e32 vcc_lo, -1, v4
	s_wait_alu 0xfffd
	v_dual_cndmask_b32 v0, 0, v4 :: v_dual_cndmask_b32 v1, 0, v1
; %bb.65:
	s_or_b32 exec_lo, exec_lo, s1
.LBB57_66:
	s_wait_alu 0xfffe
	s_or_b32 exec_lo, exec_lo, s0
                                        ; implicit-def: $vgpr3
.LBB57_67:
	s_wait_alu 0xfffe
	s_and_not1_saveexec_b32 s3, s3
	s_cbranch_execz .LBB57_77
; %bb.68:
	v_cmp_ngt_f32_e64 s4, 0x48000000, |v1|
	v_lshrrev_b32_e32 v4, 23, v3
                                        ; implicit-def: $vgpr2
                                        ; implicit-def: $vgpr0
	s_and_saveexec_b32 s0, s4
	s_wait_alu 0xfffe
	s_xor_b32 s5, exec_lo, s0
	s_cbranch_execz .LBB57_70
; %bb.69:
	s_mov_b32 s0, 0x7fffff
	v_mov_b32_e32 v7, 0
	s_wait_alu 0xfffe
	v_and_or_b32 v0, v3, s0, 0x800000
	s_delay_alu instid0(VALU_DEP_1) | instskip(NEXT) | instid1(VALU_DEP_1)
	v_mad_co_u64_u32 v[5:6], null, 0xfe5163ab, v0, 0
	v_mad_co_u64_u32 v[8:9], null, 0x3c439041, v0, v[6:7]
	s_delay_alu instid0(VALU_DEP_1) | instskip(NEXT) | instid1(VALU_DEP_1)
	v_mov_b32_e32 v6, v9
	v_mad_co_u64_u32 v[9:10], null, 0xdb629599, v0, v[6:7]
	v_add_nc_u32_e32 v2, 0xffffff88, v4
	s_delay_alu instid0(VALU_DEP_1) | instskip(NEXT) | instid1(VALU_DEP_3)
	v_cmp_lt_u32_e32 vcc_lo, 63, v2
	v_mov_b32_e32 v6, v10
	s_wait_alu 0xfffd
	v_cndmask_b32_e64 v13, 0, 0xffffffc0, vcc_lo
	s_delay_alu instid0(VALU_DEP_2) | instskip(SKIP_1) | instid1(VALU_DEP_3)
	v_mad_co_u64_u32 v[10:11], null, 0xf534ddc0, v0, v[6:7]
	v_cndmask_b32_e32 v5, v9, v5, vcc_lo
	v_add_nc_u32_e32 v2, v13, v2
	s_delay_alu instid0(VALU_DEP_3) | instskip(NEXT) | instid1(VALU_DEP_2)
	v_mov_b32_e32 v6, v11
	v_cmp_lt_u32_e64 s0, 31, v2
	s_delay_alu instid0(VALU_DEP_2) | instskip(SKIP_1) | instid1(VALU_DEP_2)
	v_mad_co_u64_u32 v[11:12], null, 0xfc2757d1, v0, v[6:7]
	s_wait_alu 0xf1ff
	v_cndmask_b32_e64 v14, 0, 0xffffffe0, s0
	s_delay_alu instid0(VALU_DEP_1) | instskip(NEXT) | instid1(VALU_DEP_3)
	v_add_nc_u32_e32 v2, v14, v2
	v_mov_b32_e32 v6, v12
	s_delay_alu instid0(VALU_DEP_2) | instskip(NEXT) | instid1(VALU_DEP_2)
	v_cmp_lt_u32_e64 s1, 31, v2
	v_mad_co_u64_u32 v[12:13], null, 0x4e441529, v0, v[6:7]
	s_delay_alu instid0(VALU_DEP_1) | instskip(NEXT) | instid1(VALU_DEP_1)
	v_dual_mov_b32 v6, v13 :: v_dual_cndmask_b32 v13, v12, v10
	v_mad_co_u64_u32 v[6:7], null, 0xa2f9836e, v0, v[6:7]
	s_wait_alu 0xf1ff
	v_cndmask_b32_e64 v0, 0, 0xffffffe0, s1
	s_delay_alu instid0(VALU_DEP_1) | instskip(NEXT) | instid1(VALU_DEP_3)
	v_add_nc_u32_e32 v0, v0, v2
	v_dual_cndmask_b32 v6, v6, v11 :: v_dual_cndmask_b32 v7, v7, v12
	v_dual_cndmask_b32 v11, v11, v9 :: v_dual_cndmask_b32 v2, v10, v8
	s_delay_alu instid0(VALU_DEP_3) | instskip(NEXT) | instid1(VALU_DEP_3)
	v_sub_nc_u32_e32 v10, 32, v0
	v_cndmask_b32_e64 v8, v6, v13, s0
	s_delay_alu instid0(VALU_DEP_4) | instskip(NEXT) | instid1(VALU_DEP_4)
	v_cndmask_b32_e64 v6, v7, v6, s0
	v_cndmask_b32_e64 v7, v13, v11, s0
	;; [unrolled: 1-line block ×3, first 2 shown]
	v_cmp_eq_u32_e32 vcc_lo, 0, v0
	v_cndmask_b32_e64 v2, v2, v5, s0
	v_cndmask_b32_e64 v6, v6, v8, s1
	;; [unrolled: 1-line block ×4, first 2 shown]
	s_delay_alu instid0(VALU_DEP_4) | instskip(NEXT) | instid1(VALU_DEP_3)
	v_cndmask_b32_e64 v2, v11, v2, s1
	v_alignbit_b32 v12, v6, v8, v10
	s_delay_alu instid0(VALU_DEP_3) | instskip(NEXT) | instid1(VALU_DEP_3)
	v_alignbit_b32 v9, v8, v7, v10
	v_alignbit_b32 v10, v7, v2, v10
	s_wait_alu 0xfffd
	s_delay_alu instid0(VALU_DEP_2) | instskip(NEXT) | instid1(VALU_DEP_2)
	v_dual_cndmask_b32 v0, v12, v6 :: v_dual_cndmask_b32 v5, v9, v8
	v_cndmask_b32_e32 v7, v10, v7, vcc_lo
	s_delay_alu instid0(VALU_DEP_2) | instskip(NEXT) | instid1(VALU_DEP_3)
	v_bfe_u32 v6, v0, 29, 1
	v_alignbit_b32 v8, v0, v5, 30
	s_delay_alu instid0(VALU_DEP_3) | instskip(SKIP_1) | instid1(VALU_DEP_4)
	v_alignbit_b32 v5, v5, v7, 30
	v_alignbit_b32 v2, v7, v2, 30
	v_sub_nc_u32_e32 v9, 0, v6
	s_delay_alu instid0(VALU_DEP_1) | instskip(NEXT) | instid1(VALU_DEP_4)
	v_xor_b32_e32 v8, v8, v9
	v_xor_b32_e32 v5, v5, v9
	s_delay_alu instid0(VALU_DEP_4) | instskip(SKIP_1) | instid1(VALU_DEP_4)
	v_xor_b32_e32 v2, v2, v9
	v_lshrrev_b32_e32 v9, 29, v0
	v_clz_i32_u32_e32 v10, v8
	s_delay_alu instid0(VALU_DEP_1) | instskip(NEXT) | instid1(VALU_DEP_1)
	v_min_u32_e32 v10, 32, v10
	v_sub_nc_u32_e32 v7, 31, v10
	v_lshlrev_b32_e32 v11, 23, v10
	s_delay_alu instid0(VALU_DEP_2) | instskip(SKIP_2) | instid1(VALU_DEP_2)
	v_alignbit_b32 v8, v8, v5, v7
	v_alignbit_b32 v2, v5, v2, v7
	v_lshlrev_b32_e32 v5, 31, v9
	v_alignbit_b32 v7, v8, v2, 9
	s_delay_alu instid0(VALU_DEP_2) | instskip(SKIP_2) | instid1(VALU_DEP_4)
	v_or_b32_e32 v9, 0.5, v5
	v_lshrrev_b32_e32 v8, 9, v8
	v_or_b32_e32 v5, 0x33000000, v5
	v_clz_i32_u32_e32 v12, v7
	s_delay_alu instid0(VALU_DEP_4) | instskip(NEXT) | instid1(VALU_DEP_2)
	v_sub_nc_u32_e32 v9, v9, v11
	v_min_u32_e32 v11, 32, v12
	s_delay_alu instid0(VALU_DEP_2) | instskip(NEXT) | instid1(VALU_DEP_2)
	v_or_b32_e32 v8, v8, v9
	v_not_b32_e32 v9, v11
	v_add_lshl_u32 v10, v11, v10, 23
	s_delay_alu instid0(VALU_DEP_2) | instskip(NEXT) | instid1(VALU_DEP_2)
	v_alignbit_b32 v2, v7, v2, v9
	v_sub_nc_u32_e32 v5, v5, v10
	s_delay_alu instid0(VALU_DEP_2) | instskip(NEXT) | instid1(VALU_DEP_1)
	v_lshrrev_b32_e32 v2, 9, v2
	v_or_b32_e32 v2, v5, v2
	v_mul_f32_e32 v12, 0x3fc90fda, v8
	s_delay_alu instid0(VALU_DEP_1) | instskip(NEXT) | instid1(VALU_DEP_1)
	v_fma_f32 v7, 0x3fc90fda, v8, -v12
	v_fmamk_f32 v7, v8, 0x33a22168, v7
	s_delay_alu instid0(VALU_DEP_1) | instskip(SKIP_1) | instid1(VALU_DEP_2)
	v_fmac_f32_e32 v7, 0x3fc90fda, v2
	v_lshrrev_b32_e32 v2, 30, v0
	v_add_f32_e32 v0, v12, v7
	s_delay_alu instid0(VALU_DEP_2)
	v_add_nc_u32_e32 v2, v6, v2
	s_or_saveexec_b32 s0, s5
	v_mul_f32_e64 v7, 0x3f22f983, |v1|
	s_wait_alu 0xfffe
	s_xor_b32 exec_lo, exec_lo, s0
	s_branch .LBB57_71
.LBB57_70:
	s_wait_alu 0xfffe
	s_or_saveexec_b32 s0, s5
	v_mul_f32_e64 v7, 0x3f22f983, |v1|
	s_wait_alu 0xfffe
	s_xor_b32 exec_lo, exec_lo, s0
.LBB57_71:
	s_delay_alu instid0(VALU_DEP_1) | instskip(NEXT) | instid1(VALU_DEP_1)
	v_rndne_f32_e32 v2, v7
	v_fma_f32 v0, 0xbfc90fda, v2, |v1|
	s_delay_alu instid0(VALU_DEP_1) | instskip(NEXT) | instid1(VALU_DEP_1)
	v_fmamk_f32 v0, v2, 0xb3a22168, v0
	v_fmamk_f32 v0, v2, 0xa7c234c4, v0
	v_cvt_i32_f32_e32 v2, v2
; %bb.72:
	s_or_b32 exec_lo, exec_lo, s0
                                        ; implicit-def: $vgpr6
                                        ; implicit-def: $vgpr5
	s_and_saveexec_b32 s0, s4
	s_wait_alu 0xfffe
	s_xor_b32 s4, exec_lo, s0
	s_cbranch_execz .LBB57_74
; %bb.73:
	s_mov_b32 s0, 0x7fffff
	v_mov_b32_e32 v7, 0
	s_wait_alu 0xfffe
	v_and_or_b32 v14, v3, s0, 0x800000
	s_delay_alu instid0(VALU_DEP_1) | instskip(NEXT) | instid1(VALU_DEP_1)
	v_mad_co_u64_u32 v[5:6], null, 0xfe5163ab, v14, 0
	v_mad_co_u64_u32 v[8:9], null, 0x3c439041, v14, v[6:7]
	s_delay_alu instid0(VALU_DEP_1) | instskip(NEXT) | instid1(VALU_DEP_1)
	v_mov_b32_e32 v6, v9
	v_mad_co_u64_u32 v[9:10], null, 0xdb629599, v14, v[6:7]
	v_add_nc_u32_e32 v4, 0xffffff88, v4
	s_delay_alu instid0(VALU_DEP_1) | instskip(NEXT) | instid1(VALU_DEP_3)
	v_cmp_lt_u32_e32 vcc_lo, 63, v4
	v_mov_b32_e32 v6, v10
	s_wait_alu 0xfffd
	v_cndmask_b32_e64 v13, 0, 0xffffffc0, vcc_lo
	s_delay_alu instid0(VALU_DEP_2) | instskip(SKIP_1) | instid1(VALU_DEP_3)
	v_mad_co_u64_u32 v[10:11], null, 0xf534ddc0, v14, v[6:7]
	v_cndmask_b32_e32 v5, v9, v5, vcc_lo
	v_add_nc_u32_e32 v4, v13, v4
	s_delay_alu instid0(VALU_DEP_3) | instskip(NEXT) | instid1(VALU_DEP_2)
	v_mov_b32_e32 v6, v11
	v_cmp_lt_u32_e64 s0, 31, v4
	v_cndmask_b32_e32 v8, v10, v8, vcc_lo
	s_delay_alu instid0(VALU_DEP_3) | instskip(SKIP_1) | instid1(VALU_DEP_3)
	v_mad_co_u64_u32 v[11:12], null, 0xfc2757d1, v14, v[6:7]
	s_wait_alu 0xf1ff
	v_cndmask_b32_e64 v15, 0, 0xffffffe0, s0
	s_delay_alu instid0(VALU_DEP_3) | instskip(NEXT) | instid1(VALU_DEP_2)
	v_cndmask_b32_e64 v5, v8, v5, s0
	v_add_nc_u32_e32 v4, v15, v4
	s_delay_alu instid0(VALU_DEP_4) | instskip(NEXT) | instid1(VALU_DEP_2)
	v_mov_b32_e32 v6, v12
	v_cmp_lt_u32_e64 s1, 31, v4
	s_delay_alu instid0(VALU_DEP_2) | instskip(NEXT) | instid1(VALU_DEP_1)
	v_mad_co_u64_u32 v[12:13], null, 0x4e441529, v14, v[6:7]
	v_mov_b32_e32 v6, v13
	s_wait_alu 0xf1ff
	s_delay_alu instid0(VALU_DEP_3) | instskip(NEXT) | instid1(VALU_DEP_2)
	v_cndmask_b32_e64 v13, 0, 0xffffffe0, s1
	v_mad_co_u64_u32 v[6:7], null, 0xa2f9836e, v14, v[6:7]
	s_delay_alu instid0(VALU_DEP_4) | instskip(NEXT) | instid1(VALU_DEP_3)
	v_cndmask_b32_e32 v14, v12, v10, vcc_lo
	v_add_nc_u32_e32 v4, v13, v4
	s_delay_alu instid0(VALU_DEP_3) | instskip(SKIP_1) | instid1(VALU_DEP_3)
	v_dual_cndmask_b32 v6, v6, v11 :: v_dual_cndmask_b32 v7, v7, v12
	v_cndmask_b32_e32 v11, v11, v9, vcc_lo
	v_sub_nc_u32_e32 v12, 32, v4
	v_cmp_eq_u32_e32 vcc_lo, 0, v4
	s_delay_alu instid0(VALU_DEP_4) | instskip(SKIP_3) | instid1(VALU_DEP_3)
	v_cndmask_b32_e64 v10, v6, v14, s0
	v_cndmask_b32_e64 v6, v7, v6, s0
	;; [unrolled: 1-line block ×5, first 2 shown]
	s_delay_alu instid0(VALU_DEP_3) | instskip(NEXT) | instid1(VALU_DEP_3)
	v_cndmask_b32_e64 v10, v10, v7, s1
	v_cndmask_b32_e64 v7, v7, v11, s1
	;; [unrolled: 1-line block ×3, first 2 shown]
	s_delay_alu instid0(VALU_DEP_3) | instskip(NEXT) | instid1(VALU_DEP_3)
	v_alignbit_b32 v13, v6, v10, v12
	v_alignbit_b32 v9, v10, v7, v12
	s_delay_alu instid0(VALU_DEP_3) | instskip(SKIP_1) | instid1(VALU_DEP_3)
	v_alignbit_b32 v11, v7, v5, v12
	s_wait_alu 0xfffd
	v_cndmask_b32_e32 v4, v13, v6, vcc_lo
	s_delay_alu instid0(VALU_DEP_2) | instskip(NEXT) | instid1(VALU_DEP_2)
	v_dual_cndmask_b32 v6, v9, v10 :: v_dual_cndmask_b32 v7, v11, v7
	v_bfe_u32 v8, v4, 29, 1
	s_delay_alu instid0(VALU_DEP_2) | instskip(NEXT) | instid1(VALU_DEP_3)
	v_alignbit_b32 v9, v4, v6, 30
	v_alignbit_b32 v6, v6, v7, 30
	;; [unrolled: 1-line block ×3, first 2 shown]
	s_delay_alu instid0(VALU_DEP_4) | instskip(NEXT) | instid1(VALU_DEP_1)
	v_sub_nc_u32_e32 v10, 0, v8
	v_xor_b32_e32 v9, v9, v10
	s_delay_alu instid0(VALU_DEP_4) | instskip(NEXT) | instid1(VALU_DEP_4)
	v_xor_b32_e32 v6, v6, v10
	v_xor_b32_e32 v5, v5, v10
	v_lshrrev_b32_e32 v10, 29, v4
	v_lshrrev_b32_e32 v4, 30, v4
	v_clz_i32_u32_e32 v11, v9
	s_delay_alu instid0(VALU_DEP_1) | instskip(NEXT) | instid1(VALU_DEP_1)
	v_min_u32_e32 v11, 32, v11
	v_sub_nc_u32_e32 v7, 31, v11
	v_lshlrev_b32_e32 v12, 23, v11
	s_delay_alu instid0(VALU_DEP_2) | instskip(SKIP_2) | instid1(VALU_DEP_2)
	v_alignbit_b32 v9, v9, v6, v7
	v_alignbit_b32 v5, v6, v5, v7
	v_lshlrev_b32_e32 v6, 31, v10
	v_alignbit_b32 v7, v9, v5, 9
	s_delay_alu instid0(VALU_DEP_2) | instskip(SKIP_2) | instid1(VALU_DEP_4)
	v_or_b32_e32 v10, 0.5, v6
	v_lshrrev_b32_e32 v9, 9, v9
	v_or_b32_e32 v6, 0x33000000, v6
	v_clz_i32_u32_e32 v13, v7
	s_delay_alu instid0(VALU_DEP_4) | instskip(NEXT) | instid1(VALU_DEP_2)
	v_sub_nc_u32_e32 v10, v10, v12
	v_min_u32_e32 v12, 32, v13
	s_delay_alu instid0(VALU_DEP_2) | instskip(NEXT) | instid1(VALU_DEP_2)
	v_or_b32_e32 v9, v9, v10
	v_not_b32_e32 v10, v12
	s_delay_alu instid0(VALU_DEP_2) | instskip(SKIP_1) | instid1(VALU_DEP_3)
	v_mul_f32_e32 v13, 0x3fc90fda, v9
	v_add_lshl_u32 v11, v12, v11, 23
	v_alignbit_b32 v5, v7, v5, v10
	s_delay_alu instid0(VALU_DEP_3) | instskip(NEXT) | instid1(VALU_DEP_3)
	v_fma_f32 v7, 0x3fc90fda, v9, -v13
	v_sub_nc_u32_e32 v6, v6, v11
	s_delay_alu instid0(VALU_DEP_3) | instskip(NEXT) | instid1(VALU_DEP_3)
	v_lshrrev_b32_e32 v5, 9, v5
	v_fmamk_f32 v7, v9, 0x33a22168, v7
	s_delay_alu instid0(VALU_DEP_2) | instskip(NEXT) | instid1(VALU_DEP_1)
	v_or_b32_e32 v5, v6, v5
	v_dual_fmac_f32 v7, 0x3fc90fda, v5 :: v_dual_add_nc_u32 v6, v8, v4
	s_delay_alu instid0(VALU_DEP_1)
	v_add_f32_e32 v5, v13, v7
                                        ; implicit-def: $vgpr7
	s_and_not1_saveexec_b32 s0, s4
	s_cbranch_execnz .LBB57_75
	s_branch .LBB57_76
.LBB57_74:
	s_wait_alu 0xfffe
	s_and_not1_saveexec_b32 s0, s4
.LBB57_75:
	v_rndne_f32_e32 v4, v7
	s_delay_alu instid0(VALU_DEP_1) | instskip(SKIP_1) | instid1(VALU_DEP_2)
	v_fma_f32 v5, 0xbfc90fda, v4, |v1|
	v_cvt_i32_f32_e32 v6, v4
	v_fmamk_f32 v5, v4, 0xb3a22168, v5
	s_delay_alu instid0(VALU_DEP_1)
	v_fmamk_f32 v5, v4, 0xa7c234c4, v5
.LBB57_76:
	s_wait_alu 0xfffe
	s_or_b32 exec_lo, exec_lo, s0
	s_delay_alu instid0(VALU_DEP_1) | instskip(SKIP_3) | instid1(VALU_DEP_1)
	v_dual_mul_f32 v4, v0, v0 :: v_dual_mul_f32 v7, v5, v5
	s_mov_b32 s0, 0xb94c1982
	s_mov_b32 s1, 0x37d75334
	s_wait_alu 0xfffe
	v_dual_fmaak_f32 v9, s1, v4, 0xbab64f3b :: v_dual_and_b32 v10, 1, v2
	v_dual_fmaak_f32 v8, s0, v4, 0x3c0881c4 :: v_dual_fmaak_f32 v11, s0, v7, 0x3c0881c4
	v_dual_fmaak_f32 v12, s1, v7, 0xbab64f3b :: v_dual_and_b32 v13, 1, v6
	s_delay_alu instid0(VALU_DEP_3) | instskip(NEXT) | instid1(VALU_DEP_3)
	v_dual_fmaak_f32 v9, v4, v9, 0x3d2aabf7 :: v_dual_lshlrev_b32 v2, 30, v2
	v_dual_fmaak_f32 v8, v4, v8, 0xbe2aaa9d :: v_dual_fmaak_f32 v11, v7, v11, 0xbe2aaa9d
	v_cmp_eq_u32_e32 vcc_lo, 0, v10
	v_lshlrev_b32_e32 v6, 30, v6
	s_delay_alu instid0(VALU_DEP_4) | instskip(NEXT) | instid1(VALU_DEP_4)
	v_and_b32_e32 v2, 0x80000000, v2
	v_dual_mul_f32 v8, v4, v8 :: v_dual_mul_f32 v11, v7, v11
	v_fmaak_f32 v12, v7, v12, 0x3d2aabf7
	s_delay_alu instid0(VALU_DEP_4) | instskip(NEXT) | instid1(VALU_DEP_3)
	v_and_or_b32 v3, 0x80000000, v6, v3
	v_dual_fmac_f32 v0, v0, v8 :: v_dual_fmac_f32 v5, v5, v11
	s_delay_alu instid0(VALU_DEP_3) | instskip(NEXT) | instid1(VALU_DEP_1)
	v_dual_fmaak_f32 v9, v4, v9, 0xbf000004 :: v_dual_fmaak_f32 v12, v7, v12, 0xbf000004
	v_fma_f32 v4, v4, v9, 1.0
	s_delay_alu instid0(VALU_DEP_2) | instskip(SKIP_1) | instid1(VALU_DEP_2)
	v_fma_f32 v7, v7, v12, 1.0
	s_wait_alu 0xfffd
	v_cndmask_b32_e64 v0, -v0, v4, vcc_lo
	v_cmp_eq_u32_e32 vcc_lo, 0, v13
	s_delay_alu instid0(VALU_DEP_2) | instskip(SKIP_3) | instid1(VALU_DEP_2)
	v_xor_b32_e32 v0, v2, v0
	s_wait_alu 0xfffd
	v_cndmask_b32_e32 v4, v7, v5, vcc_lo
	v_cmp_class_f32_e64 vcc_lo, v1, 0x1f8
	v_xor3_b32 v2, v3, v4, v1
	s_wait_alu 0xfffd
	v_cndmask_b32_e32 v0, 0x7fc00000, v0, vcc_lo
	s_delay_alu instid0(VALU_DEP_2)
	v_cndmask_b32_e32 v1, 0x7fc00000, v2, vcc_lo
.LBB57_77:
	s_wait_alu 0xfffe
	s_or_b32 exec_lo, exec_lo, s3
                                        ; implicit-def: $vgpr4
	s_and_not1_saveexec_b32 s0, s2
	s_cbranch_execnz .LBB57_41
.LBB57_78:
	s_wait_alu 0xfffe
	s_or_b32 exec_lo, exec_lo, s0
	s_setpc_b64 s[30:31]
.Lfunc_end57:
	.size	_ZN2at6native12_GLOBAL__N_14pow_IfEEN3c107complexIT_EES6_S6_, .Lfunc_end57-_ZN2at6native12_GLOBAL__N_14pow_IfEEN3c107complexIT_EES6_S6_
                                        ; -- End function
	.set .L_ZN2at6native12_GLOBAL__N_14pow_IfEEN3c107complexIT_EES6_S6_.num_vgpr, 23
	.set .L_ZN2at6native12_GLOBAL__N_14pow_IfEEN3c107complexIT_EES6_S6_.num_agpr, 0
	.set .L_ZN2at6native12_GLOBAL__N_14pow_IfEEN3c107complexIT_EES6_S6_.numbered_sgpr, 32
	.set .L_ZN2at6native12_GLOBAL__N_14pow_IfEEN3c107complexIT_EES6_S6_.num_named_barrier, 0
	.set .L_ZN2at6native12_GLOBAL__N_14pow_IfEEN3c107complexIT_EES6_S6_.private_seg_size, 0
	.set .L_ZN2at6native12_GLOBAL__N_14pow_IfEEN3c107complexIT_EES6_S6_.uses_vcc, 1
	.set .L_ZN2at6native12_GLOBAL__N_14pow_IfEEN3c107complexIT_EES6_S6_.uses_flat_scratch, 0
	.set .L_ZN2at6native12_GLOBAL__N_14pow_IfEEN3c107complexIT_EES6_S6_.has_dyn_sized_stack, 0
	.set .L_ZN2at6native12_GLOBAL__N_14pow_IfEEN3c107complexIT_EES6_S6_.has_recursion, 0
	.set .L_ZN2at6native12_GLOBAL__N_14pow_IfEEN3c107complexIT_EES6_S6_.has_indirect_call, 0
	.section	.AMDGPU.csdata,"",@progbits
; Function info:
; codeLenInByte = 12808
; TotalNumSgprs: 34
; NumVgprs: 23
; ScratchSize: 0
; MemoryBound: 0
	.section	.text._ZN2at6native12_GLOBAL__N_125multi_tensor_apply_kernelINS1_18TensorListMetadataILi1EEENS1_21BinaryOpScalarFunctorIN3c107complexIfEELi1ELi1ELi0EEEJNS1_13power_functorIS8_EES8_EEEvT_T0_DpT1_,"axG",@progbits,_ZN2at6native12_GLOBAL__N_125multi_tensor_apply_kernelINS1_18TensorListMetadataILi1EEENS1_21BinaryOpScalarFunctorIN3c107complexIfEELi1ELi1ELi0EEEJNS1_13power_functorIS8_EES8_EEEvT_T0_DpT1_,comdat
	.globl	_ZN2at6native12_GLOBAL__N_125multi_tensor_apply_kernelINS1_18TensorListMetadataILi1EEENS1_21BinaryOpScalarFunctorIN3c107complexIfEELi1ELi1ELi0EEEJNS1_13power_functorIS8_EES8_EEEvT_T0_DpT1_ ; -- Begin function _ZN2at6native12_GLOBAL__N_125multi_tensor_apply_kernelINS1_18TensorListMetadataILi1EEENS1_21BinaryOpScalarFunctorIN3c107complexIfEELi1ELi1ELi0EEEJNS1_13power_functorIS8_EES8_EEEvT_T0_DpT1_
	.p2align	8
	.type	_ZN2at6native12_GLOBAL__N_125multi_tensor_apply_kernelINS1_18TensorListMetadataILi1EEENS1_21BinaryOpScalarFunctorIN3c107complexIfEELi1ELi1ELi0EEEJNS1_13power_functorIS8_EES8_EEEvT_T0_DpT1_,@function
_ZN2at6native12_GLOBAL__N_125multi_tensor_apply_kernelINS1_18TensorListMetadataILi1EEENS1_21BinaryOpScalarFunctorIN3c107complexIfEELi1ELi1ELi0EEEJNS1_13power_functorIS8_EES8_EEEvT_T0_DpT1_: ; @_ZN2at6native12_GLOBAL__N_125multi_tensor_apply_kernelINS1_18TensorListMetadataILi1EEENS1_21BinaryOpScalarFunctorIN3c107complexIfEELi1ELi1ELi0EEEJNS1_13power_functorIS8_EES8_EEEvT_T0_DpT1_
; %bb.0:
	s_mov_b64 s[16:17], s[0:1]
	s_mov_b32 s0, ttmp9
	s_load_u8 s6, s[16:17], ttmp9 offset:0x6e0
	s_mov_b32 s1, 0
	v_mov_b32_e32 v23, v0
	s_mul_u64 s[2:3], s[0:1], 3
	s_add_nc_u64 s[4:5], s[16:17], s[0:1]
	s_mov_b32 s32, 16
	s_add_nc_u64 s[2:3], s[4:5], s[2:3]
	s_load_b32 s2, s[2:3], 0x820
	s_wait_kmcnt 0x0
	s_lshl_b32 s0, s6, 3
	s_clause 0x2
	s_load_b64 s[4:5], s[16:17], s0 offset:0x0
	s_load_b64 s[6:7], s[16:17], s0 offset:0x370
	s_load_b64 s[22:23], s[16:17], 0xd30
	s_ashr_i32 s3, s2, 31
	s_delay_alu instid0(SALU_CYCLE_1)
	s_lshl_b64 s[8:9], s[2:3], 19
	s_lshl_b64 s[2:3], s[2:3], 16
	s_wait_kmcnt 0x0
	s_add_nc_u64 s[24:25], s[4:5], s[8:9]
	s_and_b32 s4, s6, 3
	s_and_b32 s0, s24, 31
	s_mov_b32 s5, s1
	s_sub_nc_u64 s[26:27], s[6:7], s[2:3]
	s_or_b64 s[0:1], s[0:1], s[4:5]
	s_delay_alu instid0(SALU_CYCLE_1)
	s_cmp_eq_u64 s[0:1], 0
	s_cbranch_scc1 .LBB58_19
; %bb.1:
	v_cmp_lt_i64_e64 s0, s[26:27], 1
	s_and_b32 vcc_lo, exec_lo, s0
	s_cbranch_vccnz .LBB58_18
; %bb.2:
	s_load_b32 s0, s[16:17], 0xd44
	v_cmp_gt_i64_e64 s1, 0x10000, s[26:27]
	v_mov_b32_e32 v30, 0
	v_cmp_gt_u64_e64 s2, 0x10000, s[26:27]
	s_mov_b64 s[28:29], src_private_base
	s_mov_b32 s35, 0
	s_mov_b64 s[40:41], 0
	v_mov_b32_e32 v31, v30
	s_and_b32 s1, s1, exec_lo
	s_cselect_b32 s37, s27, 0
	s_cselect_b32 s36, s26, 0x10000
	s_wait_kmcnt 0x0
	s_and_b32 s28, s0, 0xffff
	s_and_b32 s0, s2, exec_lo
	s_cselect_b32 s39, s27, 0
	s_cselect_b32 s38, s26, 0x10000
	s_lshl_b32 s33, s28, 1
	s_mul_i32 s44, s28, 3
	s_lshl_b32 s34, s28, 2
	s_branch .LBB58_4
.LBB58_3:                               ;   in Loop: Header=BB58_4 Depth=1
	s_wait_alu 0xfffe
	s_or_b32 exec_lo, exec_lo, s0
	s_add_nc_u64 s[40:41], s[40:41], s[34:35]
	s_wait_alu 0xfffe
	v_cmp_lt_i64_e64 s0, s[40:41], s[36:37]
	s_and_b32 vcc_lo, exec_lo, s0
	s_wait_alu 0xfffe
	s_cbranch_vccz .LBB58_18
.LBB58_4:                               ; =>This Inner Loop Header: Depth=1
	v_add_co_u32 v0, s0, s40, v23
	s_wait_alu 0xf1ff
	v_add_co_ci_u32_e64 v1, null, s41, 0, s0
	v_dual_mov_b32 v29, 0 :: v_dual_mov_b32 v28, 0
	s_delay_alu instid0(VALU_DEP_2)
	v_cmp_gt_u64_e64 s18, s[38:39], v[0:1]
	v_lshlrev_b64_e32 v[34:35], 3, v[0:1]
	s_and_saveexec_b32 s0, s18
	s_cbranch_execz .LBB58_6
; %bb.5:                                ;   in Loop: Header=BB58_4 Depth=1
	s_delay_alu instid0(VALU_DEP_1) | instskip(SKIP_1) | instid1(VALU_DEP_2)
	v_add_co_u32 v2, vcc_lo, s24, v34
	s_wait_alu 0xfffd
	v_add_co_ci_u32_e64 v3, null, s25, v35, vcc_lo
	global_load_b64 v[28:29], v[2:3], off
.LBB58_6:                               ;   in Loop: Header=BB58_4 Depth=1
	s_wait_alu 0xfffe
	s_or_b32 exec_lo, exec_lo, s0
	v_add_co_u32 v2, vcc_lo, v0, s28
	s_wait_alu 0xfffd
	v_add_co_ci_u32_e64 v3, null, 0, v1, vcc_lo
	v_dual_mov_b32 v27, 0 :: v_dual_mov_b32 v26, 0
	s_delay_alu instid0(VALU_DEP_2)
	v_cmp_gt_u64_e64 s20, s[38:39], v[2:3]
	v_lshlrev_b64_e32 v[36:37], 3, v[2:3]
	s_and_saveexec_b32 s0, s20
	s_cbranch_execz .LBB58_8
; %bb.7:                                ;   in Loop: Header=BB58_4 Depth=1
	s_delay_alu instid0(VALU_DEP_1) | instskip(SKIP_1) | instid1(VALU_DEP_2)
	v_add_co_u32 v2, vcc_lo, s24, v36
	s_wait_alu 0xfffd
	v_add_co_ci_u32_e64 v3, null, s25, v37, vcc_lo
	global_load_b64 v[26:27], v[2:3], off
.LBB58_8:                               ;   in Loop: Header=BB58_4 Depth=1
	s_wait_alu 0xfffe
	s_or_b32 exec_lo, exec_lo, s0
	v_add_co_u32 v2, vcc_lo, v0, s33
	s_wait_alu 0xfffd
	v_add_co_ci_u32_e64 v3, null, 0, v1, vcc_lo
	v_mov_b32_e32 v24, 0
	v_mov_b32_e32 v25, 0
	s_delay_alu instid0(VALU_DEP_3)
	v_cmp_gt_u64_e64 s21, s[38:39], v[2:3]
	v_lshlrev_b64_e32 v[32:33], 3, v[2:3]
	s_and_saveexec_b32 s0, s21
	s_cbranch_execz .LBB58_10
; %bb.9:                                ;   in Loop: Header=BB58_4 Depth=1
	s_delay_alu instid0(VALU_DEP_1) | instskip(SKIP_1) | instid1(VALU_DEP_2)
	v_add_co_u32 v2, vcc_lo, s24, v32
	s_wait_alu 0xfffd
	v_add_co_ci_u32_e64 v3, null, s25, v33, vcc_lo
	global_load_b64 v[24:25], v[2:3], off
.LBB58_10:                              ;   in Loop: Header=BB58_4 Depth=1
	s_wait_alu 0xfffe
	s_or_b32 exec_lo, exec_lo, s0
	v_add_co_u32 v0, vcc_lo, v0, s44
	s_wait_alu 0xfffd
	v_add_co_ci_u32_e64 v1, null, 0, v1, vcc_lo
	scratch_store_b64 off, v[30:31], off
	s_getpc_b64 s[42:43]
	s_wait_alu 0xfffe
	s_sext_i32_i16 s43, s43
	s_add_co_u32 s42, s42, _ZN2at6native12_GLOBAL__N_14pow_IfEEN3c107complexIT_EES6_S6_@rel32@lo+12
	s_wait_alu 0xfffe
	s_add_co_ci_u32 s43, s43, _ZN2at6native12_GLOBAL__N_14pow_IfEEN3c107complexIT_EES6_S6_@rel32@hi+24
	v_lshlrev_b64_e32 v[2:3], 3, v[0:1]
	v_cmp_gt_u64_e64 s19, s[38:39], v[0:1]
	s_delay_alu instid0(VALU_DEP_2) | instskip(SKIP_1) | instid1(VALU_DEP_3)
	v_add_co_u32 v38, vcc_lo, s24, v2
	s_wait_alu 0xfffd
	v_add_co_ci_u32_e64 v39, null, s25, v3, vcc_lo
	v_dual_mov_b32 v2, s22 :: v_dual_mov_b32 v3, s23
	s_wait_alu 0xf1ff
	v_cndmask_b32_e64 v0, 0, v38, s19
	s_delay_alu instid0(VALU_DEP_3)
	v_cndmask_b32_e64 v1, s29, v39, s19
	flat_load_b64 v[0:1], v[0:1]
	s_wait_alu 0xfffe
	s_swappc_b64 s[30:31], s[42:43]
	scratch_store_b64 off, v[0:1], off
	s_and_saveexec_b32 s45, s18
	s_cbranch_execnz .LBB58_14
; %bb.11:                               ;   in Loop: Header=BB58_4 Depth=1
	s_wait_alu 0xfffe
	s_or_b32 exec_lo, exec_lo, s45
	s_and_saveexec_b32 s18, s20
	s_cbranch_execnz .LBB58_15
.LBB58_12:                              ;   in Loop: Header=BB58_4 Depth=1
	s_wait_alu 0xfffe
	s_or_b32 exec_lo, exec_lo, s18
	s_and_saveexec_b32 s18, s21
	s_cbranch_execnz .LBB58_16
.LBB58_13:                              ;   in Loop: Header=BB58_4 Depth=1
	s_wait_alu 0xfffe
	s_or_b32 exec_lo, exec_lo, s18
	s_and_saveexec_b32 s0, s19
	s_cbranch_execz .LBB58_3
	s_branch .LBB58_17
.LBB58_14:                              ;   in Loop: Header=BB58_4 Depth=1
	v_dual_mov_b32 v0, v28 :: v_dual_mov_b32 v1, v29
	v_dual_mov_b32 v2, s22 :: v_dual_mov_b32 v3, s23
	s_wait_alu 0xfffe
	s_swappc_b64 s[30:31], s[42:43]
	v_add_co_u32 v2, vcc_lo, s24, v34
	s_wait_alu 0xfffd
	v_add_co_ci_u32_e64 v3, null, s25, v35, vcc_lo
	global_store_b64 v[2:3], v[0:1], off
	s_or_b32 exec_lo, exec_lo, s45
	s_and_saveexec_b32 s18, s20
	s_cbranch_execz .LBB58_12
.LBB58_15:                              ;   in Loop: Header=BB58_4 Depth=1
	v_dual_mov_b32 v0, v26 :: v_dual_mov_b32 v1, v27
	v_dual_mov_b32 v2, s22 :: v_dual_mov_b32 v3, s23
	s_getpc_b64 s[0:1]
	s_wait_alu 0xfffe
	s_sext_i32_i16 s1, s1
	s_add_co_u32 s0, s0, _ZN2at6native12_GLOBAL__N_14pow_IfEEN3c107complexIT_EES6_S6_@rel32@lo+12
	s_wait_alu 0xfffe
	s_add_co_ci_u32 s1, s1, _ZN2at6native12_GLOBAL__N_14pow_IfEEN3c107complexIT_EES6_S6_@rel32@hi+24
	s_wait_alu 0xfffe
	s_swappc_b64 s[30:31], s[0:1]
	v_add_co_u32 v2, vcc_lo, s24, v36
	s_wait_alu 0xfffd
	v_add_co_ci_u32_e64 v3, null, s25, v37, vcc_lo
	global_store_b64 v[2:3], v[0:1], off
	s_or_b32 exec_lo, exec_lo, s18
	s_and_saveexec_b32 s18, s21
	s_cbranch_execz .LBB58_13
.LBB58_16:                              ;   in Loop: Header=BB58_4 Depth=1
	v_dual_mov_b32 v0, v24 :: v_dual_mov_b32 v1, v25
	v_dual_mov_b32 v2, s22 :: v_dual_mov_b32 v3, s23
	s_getpc_b64 s[0:1]
	s_wait_alu 0xfffe
	s_sext_i32_i16 s1, s1
	s_add_co_u32 s0, s0, _ZN2at6native12_GLOBAL__N_14pow_IfEEN3c107complexIT_EES6_S6_@rel32@lo+12
	s_wait_alu 0xfffe
	s_add_co_ci_u32 s1, s1, _ZN2at6native12_GLOBAL__N_14pow_IfEEN3c107complexIT_EES6_S6_@rel32@hi+24
	s_wait_alu 0xfffe
	s_swappc_b64 s[30:31], s[0:1]
	v_add_co_u32 v2, vcc_lo, s24, v32
	s_wait_alu 0xfffd
	v_add_co_ci_u32_e64 v3, null, s25, v33, vcc_lo
	global_store_b64 v[2:3], v[0:1], off
	s_or_b32 exec_lo, exec_lo, s18
	s_and_saveexec_b32 s0, s19
	s_cbranch_execz .LBB58_3
.LBB58_17:                              ;   in Loop: Header=BB58_4 Depth=1
	scratch_load_b64 v[0:1], off, off
	s_wait_loadcnt 0x0
	global_store_b64 v[38:39], v[0:1], off
	s_branch .LBB58_3
.LBB58_18:
	s_cbranch_execz .LBB58_20
	s_branch .LBB58_23
.LBB58_19:
.LBB58_20:
	v_cmp_gt_i64_e64 s0, 0x10000, s[26:27]
	v_dual_mov_b32 v1, 0 :: v_dual_lshlrev_b32 v0, 2, v23
	s_mov_b32 s20, 0
	s_and_b32 s0, s0, exec_lo
	s_cselect_b32 s19, s27, 0
	s_cselect_b32 s18, s26, 0x10000
	s_mov_b32 s0, exec_lo
	s_wait_alu 0xfffe
	v_cmpx_gt_i64_e64 s[18:19], v[0:1]
	s_cbranch_execz .LBB58_23
; %bb.21:
	s_load_b32 s0, s[16:17], 0xd44
	v_lshlrev_b32_e32 v0, 5, v23
	v_mov_b32_e32 v24, v1
	s_delay_alu instid0(VALU_DEP_2)
	v_add_co_u32 v33, s1, s24, v0
	s_wait_alu 0xf1ff
	v_add_co_ci_u32_e64 v34, null, s25, 0, s1
	s_wait_kmcnt 0x0
	s_and_b32 s16, s0, 0xffff
	s_wait_alu 0xfffe
	s_lshl_b32 s17, s16, 5
.LBB58_22:                              ; =>This Inner Loop Header: Depth=1
	s_clause 0x1
	global_load_b128 v[25:28], v[33:34], off
	global_load_b128 v[29:32], v[33:34], off offset:16
	v_mov_b32_e32 v2, s22
	s_getpc_b64 s[24:25]
	s_wait_alu 0xfffe
	s_sext_i32_i16 s25, s25
	s_add_co_u32 s24, s24, _ZN2at6native12_GLOBAL__N_14pow_IfEEN3c107complexIT_EES6_S6_@rel32@lo+12
	s_wait_alu 0xfffe
	s_add_co_ci_u32 s25, s25, _ZN2at6native12_GLOBAL__N_14pow_IfEEN3c107complexIT_EES6_S6_@rel32@hi+24
	s_wait_loadcnt 0x1
	v_dual_mov_b32 v3, s23 :: v_dual_mov_b32 v0, v25
	v_mov_b32_e32 v1, v26
	s_wait_alu 0xfffe
	s_swappc_b64 s[30:31], s[24:25]
	s_delay_alu instid0(VALU_DEP_1) | instskip(SKIP_4) | instid1(VALU_DEP_2)
	v_dual_mov_b32 v25, v0 :: v_dual_mov_b32 v26, v1
	v_dual_mov_b32 v0, v27 :: v_dual_mov_b32 v1, v28
	;; [unrolled: 1-line block ×3, first 2 shown]
	s_wait_alu 0xfffe
	s_swappc_b64 s[30:31], s[24:25]
	v_dual_mov_b32 v27, v0 :: v_dual_mov_b32 v28, v1
	v_dual_mov_b32 v0, v29 :: v_dual_mov_b32 v1, v30
	v_dual_mov_b32 v2, s22 :: v_dual_mov_b32 v3, s23
	s_wait_alu 0xfffe
	s_swappc_b64 s[30:31], s[24:25]
	s_delay_alu instid0(VALU_DEP_2)
	v_dual_mov_b32 v29, v0 :: v_dual_mov_b32 v30, v1
	v_dual_mov_b32 v0, v31 :: v_dual_mov_b32 v1, v32
	;; [unrolled: 1-line block ×3, first 2 shown]
	s_wait_alu 0xfffe
	s_swappc_b64 s[30:31], s[24:25]
	v_add_co_u32 v23, vcc_lo, v23, s16
	s_wait_alu 0xfffd
	v_add_co_ci_u32_e64 v24, null, 0, v24, vcc_lo
	v_dual_mov_b32 v31, v0 :: v_dual_mov_b32 v32, v1
	s_clause 0x1
	global_store_b128 v[33:34], v[25:28], off
	global_store_b128 v[33:34], v[29:32], off offset:16
	v_lshlrev_b64_e32 v[0:1], 2, v[23:24]
	v_add_co_u32 v33, s0, v33, s17
	s_wait_alu 0xf1ff
	v_add_co_ci_u32_e64 v34, null, 0, v34, s0
	scratch_store_b64 off, v[31:32], off
	v_cmp_le_i64_e32 vcc_lo, s[18:19], v[0:1]
	s_or_b32 s20, vcc_lo, s20
	s_wait_alu 0xfffe
	s_and_not1_b32 exec_lo, exec_lo, s20
	s_cbranch_execnz .LBB58_22
.LBB58_23:
	s_endpgm
	.section	.rodata,"a",@progbits
	.p2align	6, 0x0
	.amdhsa_kernel _ZN2at6native12_GLOBAL__N_125multi_tensor_apply_kernelINS1_18TensorListMetadataILi1EEENS1_21BinaryOpScalarFunctorIN3c107complexIfEELi1ELi1ELi0EEEJNS1_13power_functorIS8_EES8_EEEvT_T0_DpT1_
		.amdhsa_group_segment_fixed_size 0
		.amdhsa_private_segment_fixed_size 16
		.amdhsa_kernarg_size 3640
		.amdhsa_user_sgpr_count 2
		.amdhsa_user_sgpr_dispatch_ptr 0
		.amdhsa_user_sgpr_queue_ptr 0
		.amdhsa_user_sgpr_kernarg_segment_ptr 1
		.amdhsa_user_sgpr_dispatch_id 0
		.amdhsa_user_sgpr_private_segment_size 0
		.amdhsa_wavefront_size32 1
		.amdhsa_uses_dynamic_stack 0
		.amdhsa_enable_private_segment 1
		.amdhsa_system_sgpr_workgroup_id_x 1
		.amdhsa_system_sgpr_workgroup_id_y 0
		.amdhsa_system_sgpr_workgroup_id_z 0
		.amdhsa_system_sgpr_workgroup_info 0
		.amdhsa_system_vgpr_workitem_id 0
		.amdhsa_next_free_vgpr 40
		.amdhsa_next_free_sgpr 46
		.amdhsa_reserve_vcc 1
		.amdhsa_float_round_mode_32 0
		.amdhsa_float_round_mode_16_64 0
		.amdhsa_float_denorm_mode_32 3
		.amdhsa_float_denorm_mode_16_64 3
		.amdhsa_fp16_overflow 0
		.amdhsa_workgroup_processor_mode 1
		.amdhsa_memory_ordered 1
		.amdhsa_forward_progress 1
		.amdhsa_inst_pref_size 13
		.amdhsa_round_robin_scheduling 0
		.amdhsa_exception_fp_ieee_invalid_op 0
		.amdhsa_exception_fp_denorm_src 0
		.amdhsa_exception_fp_ieee_div_zero 0
		.amdhsa_exception_fp_ieee_overflow 0
		.amdhsa_exception_fp_ieee_underflow 0
		.amdhsa_exception_fp_ieee_inexact 0
		.amdhsa_exception_int_div_zero 0
	.end_amdhsa_kernel
	.section	.text._ZN2at6native12_GLOBAL__N_125multi_tensor_apply_kernelINS1_18TensorListMetadataILi1EEENS1_21BinaryOpScalarFunctorIN3c107complexIfEELi1ELi1ELi0EEEJNS1_13power_functorIS8_EES8_EEEvT_T0_DpT1_,"axG",@progbits,_ZN2at6native12_GLOBAL__N_125multi_tensor_apply_kernelINS1_18TensorListMetadataILi1EEENS1_21BinaryOpScalarFunctorIN3c107complexIfEELi1ELi1ELi0EEEJNS1_13power_functorIS8_EES8_EEEvT_T0_DpT1_,comdat
.Lfunc_end58:
	.size	_ZN2at6native12_GLOBAL__N_125multi_tensor_apply_kernelINS1_18TensorListMetadataILi1EEENS1_21BinaryOpScalarFunctorIN3c107complexIfEELi1ELi1ELi0EEEJNS1_13power_functorIS8_EES8_EEEvT_T0_DpT1_, .Lfunc_end58-_ZN2at6native12_GLOBAL__N_125multi_tensor_apply_kernelINS1_18TensorListMetadataILi1EEENS1_21BinaryOpScalarFunctorIN3c107complexIfEELi1ELi1ELi0EEEJNS1_13power_functorIS8_EES8_EEEvT_T0_DpT1_
                                        ; -- End function
	.set _ZN2at6native12_GLOBAL__N_125multi_tensor_apply_kernelINS1_18TensorListMetadataILi1EEENS1_21BinaryOpScalarFunctorIN3c107complexIfEELi1ELi1ELi0EEEJNS1_13power_functorIS8_EES8_EEEvT_T0_DpT1_.num_vgpr, max(40, .L_ZN2at6native12_GLOBAL__N_14pow_IfEEN3c107complexIT_EES6_S6_.num_vgpr)
	.set _ZN2at6native12_GLOBAL__N_125multi_tensor_apply_kernelINS1_18TensorListMetadataILi1EEENS1_21BinaryOpScalarFunctorIN3c107complexIfEELi1ELi1ELi0EEEJNS1_13power_functorIS8_EES8_EEEvT_T0_DpT1_.num_agpr, max(0, .L_ZN2at6native12_GLOBAL__N_14pow_IfEEN3c107complexIT_EES6_S6_.num_agpr)
	.set _ZN2at6native12_GLOBAL__N_125multi_tensor_apply_kernelINS1_18TensorListMetadataILi1EEENS1_21BinaryOpScalarFunctorIN3c107complexIfEELi1ELi1ELi0EEEJNS1_13power_functorIS8_EES8_EEEvT_T0_DpT1_.numbered_sgpr, max(46, .L_ZN2at6native12_GLOBAL__N_14pow_IfEEN3c107complexIT_EES6_S6_.numbered_sgpr)
	.set _ZN2at6native12_GLOBAL__N_125multi_tensor_apply_kernelINS1_18TensorListMetadataILi1EEENS1_21BinaryOpScalarFunctorIN3c107complexIfEELi1ELi1ELi0EEEJNS1_13power_functorIS8_EES8_EEEvT_T0_DpT1_.num_named_barrier, max(0, .L_ZN2at6native12_GLOBAL__N_14pow_IfEEN3c107complexIT_EES6_S6_.num_named_barrier)
	.set _ZN2at6native12_GLOBAL__N_125multi_tensor_apply_kernelINS1_18TensorListMetadataILi1EEENS1_21BinaryOpScalarFunctorIN3c107complexIfEELi1ELi1ELi0EEEJNS1_13power_functorIS8_EES8_EEEvT_T0_DpT1_.private_seg_size, 16+max(.L_ZN2at6native12_GLOBAL__N_14pow_IfEEN3c107complexIT_EES6_S6_.private_seg_size)
	.set _ZN2at6native12_GLOBAL__N_125multi_tensor_apply_kernelINS1_18TensorListMetadataILi1EEENS1_21BinaryOpScalarFunctorIN3c107complexIfEELi1ELi1ELi0EEEJNS1_13power_functorIS8_EES8_EEEvT_T0_DpT1_.uses_vcc, or(1, .L_ZN2at6native12_GLOBAL__N_14pow_IfEEN3c107complexIT_EES6_S6_.uses_vcc)
	.set _ZN2at6native12_GLOBAL__N_125multi_tensor_apply_kernelINS1_18TensorListMetadataILi1EEENS1_21BinaryOpScalarFunctorIN3c107complexIfEELi1ELi1ELi0EEEJNS1_13power_functorIS8_EES8_EEEvT_T0_DpT1_.uses_flat_scratch, or(0, .L_ZN2at6native12_GLOBAL__N_14pow_IfEEN3c107complexIT_EES6_S6_.uses_flat_scratch)
	.set _ZN2at6native12_GLOBAL__N_125multi_tensor_apply_kernelINS1_18TensorListMetadataILi1EEENS1_21BinaryOpScalarFunctorIN3c107complexIfEELi1ELi1ELi0EEEJNS1_13power_functorIS8_EES8_EEEvT_T0_DpT1_.has_dyn_sized_stack, or(0, .L_ZN2at6native12_GLOBAL__N_14pow_IfEEN3c107complexIT_EES6_S6_.has_dyn_sized_stack)
	.set _ZN2at6native12_GLOBAL__N_125multi_tensor_apply_kernelINS1_18TensorListMetadataILi1EEENS1_21BinaryOpScalarFunctorIN3c107complexIfEELi1ELi1ELi0EEEJNS1_13power_functorIS8_EES8_EEEvT_T0_DpT1_.has_recursion, or(0, .L_ZN2at6native12_GLOBAL__N_14pow_IfEEN3c107complexIT_EES6_S6_.has_recursion)
	.set _ZN2at6native12_GLOBAL__N_125multi_tensor_apply_kernelINS1_18TensorListMetadataILi1EEENS1_21BinaryOpScalarFunctorIN3c107complexIfEELi1ELi1ELi0EEEJNS1_13power_functorIS8_EES8_EEEvT_T0_DpT1_.has_indirect_call, or(0, .L_ZN2at6native12_GLOBAL__N_14pow_IfEEN3c107complexIT_EES6_S6_.has_indirect_call)
	.section	.AMDGPU.csdata,"",@progbits
; Kernel info:
; codeLenInByte = 1552
; TotalNumSgprs: 48
; NumVgprs: 40
; ScratchSize: 16
; MemoryBound: 0
; FloatMode: 240
; IeeeMode: 1
; LDSByteSize: 0 bytes/workgroup (compile time only)
; SGPRBlocks: 0
; VGPRBlocks: 4
; NumSGPRsForWavesPerEU: 48
; NumVGPRsForWavesPerEU: 40
; Occupancy: 16
; WaveLimiterHint : 0
; COMPUTE_PGM_RSRC2:SCRATCH_EN: 1
; COMPUTE_PGM_RSRC2:USER_SGPR: 2
; COMPUTE_PGM_RSRC2:TRAP_HANDLER: 0
; COMPUTE_PGM_RSRC2:TGID_X_EN: 1
; COMPUTE_PGM_RSRC2:TGID_Y_EN: 0
; COMPUTE_PGM_RSRC2:TGID_Z_EN: 0
; COMPUTE_PGM_RSRC2:TIDIG_COMP_CNT: 0
	.section	.text._ZN2at6native12_GLOBAL__N_125multi_tensor_apply_kernelINS1_18TensorListMetadataILi1EEENS1_21BinaryOpScalarFunctorIN3c104HalfELi1ELi1ELi0EEEJNS1_13power_functorIfEEfEEEvT_T0_DpT1_,"axG",@progbits,_ZN2at6native12_GLOBAL__N_125multi_tensor_apply_kernelINS1_18TensorListMetadataILi1EEENS1_21BinaryOpScalarFunctorIN3c104HalfELi1ELi1ELi0EEEJNS1_13power_functorIfEEfEEEvT_T0_DpT1_,comdat
	.globl	_ZN2at6native12_GLOBAL__N_125multi_tensor_apply_kernelINS1_18TensorListMetadataILi1EEENS1_21BinaryOpScalarFunctorIN3c104HalfELi1ELi1ELi0EEEJNS1_13power_functorIfEEfEEEvT_T0_DpT1_ ; -- Begin function _ZN2at6native12_GLOBAL__N_125multi_tensor_apply_kernelINS1_18TensorListMetadataILi1EEENS1_21BinaryOpScalarFunctorIN3c104HalfELi1ELi1ELi0EEEJNS1_13power_functorIfEEfEEEvT_T0_DpT1_
	.p2align	8
	.type	_ZN2at6native12_GLOBAL__N_125multi_tensor_apply_kernelINS1_18TensorListMetadataILi1EEENS1_21BinaryOpScalarFunctorIN3c104HalfELi1ELi1ELi0EEEJNS1_13power_functorIfEEfEEEvT_T0_DpT1_,@function
_ZN2at6native12_GLOBAL__N_125multi_tensor_apply_kernelINS1_18TensorListMetadataILi1EEENS1_21BinaryOpScalarFunctorIN3c104HalfELi1ELi1ELi0EEEJNS1_13power_functorIfEEfEEEvT_T0_DpT1_: ; @_ZN2at6native12_GLOBAL__N_125multi_tensor_apply_kernelINS1_18TensorListMetadataILi1EEENS1_21BinaryOpScalarFunctorIN3c104HalfELi1ELi1ELi0EEEJNS1_13power_functorIfEEfEEEvT_T0_DpT1_
; %bb.0:
	s_load_u8 s8, s[0:1], ttmp9 offset:0x6e0
	s_mov_b32 s2, ttmp9
	s_mov_b32 s3, 0
	s_delay_alu instid0(SALU_CYCLE_1)
	s_mul_u64 s[4:5], s[2:3], 3
	s_add_nc_u64 s[6:7], s[0:1], s[2:3]
	s_mov_b32 s13, s3
	s_add_nc_u64 s[4:5], s[6:7], s[4:5]
	s_load_b32 s4, s[4:5], 0x820
	s_wait_kmcnt 0x0
	s_lshl_b32 s2, s8, 3
	s_clause 0x2
	s_load_b64 s[8:9], s[0:1], s2 offset:0x0
	s_load_b64 s[6:7], s[0:1], s2 offset:0x370
	s_load_b32 s24, s[0:1], 0xd2c
	s_ashr_i32 s5, s4, 31
	s_delay_alu instid0(SALU_CYCLE_1) | instskip(SKIP_4) | instid1(SALU_CYCLE_1)
	s_lshl_b64 s[10:11], s[4:5], 17
	s_lshl_b64 s[4:5], s[4:5], 16
	s_wait_kmcnt 0x0
	s_and_b32 s2, s8, 7
	s_and_b32 s12, s6, 3
	s_or_b64 s[2:3], s[2:3], s[12:13]
	s_sub_nc_u64 s[12:13], s[6:7], s[4:5]
	s_cmp_eq_u64 s[2:3], 0
	s_cbranch_scc1 .LBB59_21
; %bb.1:
	v_cmp_lt_i64_e64 s2, s[12:13], 1
	s_and_b32 vcc_lo, exec_lo, s2
	s_cbranch_vccnz .LBB59_20
; %bb.2:
	s_load_b32 s2, s[0:1], 0xd3c
	v_cmp_gt_i64_e64 s6, 0x10000, s[12:13]
	s_mov_b32 s3, 0
	v_cmp_gt_u64_e64 s7, 0x10000, s[12:13]
	s_mov_b32 s15, s3
	v_lshlrev_b32_e32 v1, 1, v0
	s_add_nc_u64 s[4:5], s[8:9], s[10:11]
	s_and_b32 s6, s6, exec_lo
	s_cselect_b32 s17, s13, 0
	s_cselect_b32 s16, s12, 0x10000
	v_add_co_u32 v1, s14, s4, v1
	s_delay_alu instid0(VALU_DEP_1)
	v_add_co_ci_u32_e64 v2, null, s5, 0, s14
	s_mov_b64 s[22:23], 0
	s_mov_b32 s25, 0x3e76c4e1
	s_wait_kmcnt 0x0
	s_and_b32 s2, s2, 0xffff
	s_and_b32 s6, s7, exec_lo
	s_mul_u64 s[20:21], s[2:3], 6
	v_add_co_u32 v5, s3, v0, s2
	s_cselect_b32 s19, s13, 0
	s_cselect_b32 s18, s12, 0x10000
	s_lshl_b32 s6, s2, 1
	v_lshlrev_b32_e32 v3, 1, v5
	s_mul_i32 s7, s2, 3
	v_add_co_ci_u32_e64 v8, null, 0, 0, s3
	v_add_co_u32 v9, s3, s6, v0
	v_add_co_u32 v6, s7, s7, v0
	s_wait_alu 0xf1ff
	v_add_co_ci_u32_e64 v10, null, 0, 0, s3
	v_add_co_u32 v3, s3, s4, v3
	v_add_co_ci_u32_e64 v7, null, 0, 0, s7
	s_wait_alu 0xf1ff
	v_add_co_ci_u32_e64 v4, null, s5, 0, s3
	s_lshl_b32 s14, s2, 2
	s_lshl_b32 s7, s2, 3
	s_branch .LBB59_4
.LBB59_3:                               ;   in Loop: Header=BB59_4 Depth=1
	s_wait_alu 0xfffe
	s_or_b32 exec_lo, exec_lo, s5
	s_add_nc_u64 s[22:23], s[22:23], s[14:15]
	v_add_co_u32 v1, vcc_lo, v1, s7
	s_wait_alu 0xfffe
	v_cmp_lt_i64_e64 s2, s[22:23], s[16:17]
	s_wait_alu 0xfffd
	v_add_co_ci_u32_e64 v2, null, 0, v2, vcc_lo
	v_add_co_u32 v3, vcc_lo, v3, s7
	s_wait_alu 0xfffd
	v_add_co_ci_u32_e64 v4, null, 0, v4, vcc_lo
	s_and_b32 vcc_lo, exec_lo, s2
	s_wait_alu 0xfffe
	s_cbranch_vccz .LBB59_20
.LBB59_4:                               ; =>This Inner Loop Header: Depth=1
	s_wait_loadcnt 0x0
	v_add_co_u32 v11, s2, v0, s22
	s_wait_alu 0xf1ff
	v_add_co_ci_u32_e64 v12, null, 0, s23, s2
	v_mov_b32_e32 v14, 0
	s_delay_alu instid0(VALU_DEP_2)
	v_cmp_gt_u64_e64 s4, s[18:19], v[11:12]
	s_and_saveexec_b32 s2, s4
	s_cbranch_execz .LBB59_6
; %bb.5:                                ;   in Loop: Header=BB59_4 Depth=1
	global_load_u16 v14, v[1:2], off
.LBB59_6:                               ;   in Loop: Header=BB59_4 Depth=1
	s_wait_alu 0xfffe
	s_or_b32 exec_lo, exec_lo, s2
	v_add_co_u32 v11, vcc_lo, v5, s22
	s_wait_alu 0xfffd
	v_add_co_ci_u32_e64 v12, null, s23, v8, vcc_lo
	v_mov_b32_e32 v13, 0
	s_delay_alu instid0(VALU_DEP_2)
	v_cmp_gt_u64_e64 s3, s[18:19], v[11:12]
	v_mov_b32_e32 v12, 0
	s_and_saveexec_b32 s2, s3
	s_cbranch_execz .LBB59_8
; %bb.7:                                ;   in Loop: Header=BB59_4 Depth=1
	global_load_u16 v13, v[3:4], off
.LBB59_8:                               ;   in Loop: Header=BB59_4 Depth=1
	s_wait_alu 0xfffe
	s_or_b32 exec_lo, exec_lo, s2
	v_add_co_u32 v15, vcc_lo, v9, s22
	s_wait_alu 0xfffd
	v_add_co_ci_u32_e64 v16, null, s23, v10, vcc_lo
	s_delay_alu instid0(VALU_DEP_1)
	v_cmp_gt_u64_e64 s2, s[18:19], v[15:16]
	s_and_saveexec_b32 s5, s2
	s_cbranch_execz .LBB59_10
; %bb.9:                                ;   in Loop: Header=BB59_4 Depth=1
	v_add_co_u32 v11, vcc_lo, v1, s14
	s_wait_alu 0xfffd
	v_add_co_ci_u32_e64 v12, null, 0, v2, vcc_lo
	global_load_u16 v12, v[11:12], off
.LBB59_10:                              ;   in Loop: Header=BB59_4 Depth=1
	s_wait_alu 0xfffe
	s_or_b32 exec_lo, exec_lo, s5
	v_add_co_u32 v15, vcc_lo, v6, s22
	s_wait_alu 0xfffd
	v_add_co_ci_u32_e64 v16, null, s23, v7, vcc_lo
	v_mov_b32_e32 v11, 0
	s_delay_alu instid0(VALU_DEP_2)
	v_cmp_gt_u64_e32 vcc_lo, s[18:19], v[15:16]
	s_and_saveexec_b32 s6, vcc_lo
	s_cbranch_execnz .LBB59_15
; %bb.11:                               ;   in Loop: Header=BB59_4 Depth=1
	s_wait_alu 0xfffe
	s_or_b32 exec_lo, exec_lo, s6
	s_and_saveexec_b32 s26, s4
	s_cbranch_execnz .LBB59_16
.LBB59_12:                              ;   in Loop: Header=BB59_4 Depth=1
	s_wait_alu 0xfffe
	s_or_b32 exec_lo, exec_lo, s26
	s_and_saveexec_b32 s26, s3
	s_cbranch_execnz .LBB59_17
.LBB59_13:                              ;   in Loop: Header=BB59_4 Depth=1
	s_wait_alu 0xfffe
	s_or_b32 exec_lo, exec_lo, s26
	s_and_saveexec_b32 s6, s2
	s_cbranch_execnz .LBB59_18
.LBB59_14:                              ;   in Loop: Header=BB59_4 Depth=1
	s_wait_alu 0xfffe
	s_or_b32 exec_lo, exec_lo, s6
	s_and_saveexec_b32 s5, vcc_lo
	s_cbranch_execz .LBB59_3
	s_branch .LBB59_19
.LBB59_15:                              ;   in Loop: Header=BB59_4 Depth=1
	v_add_co_u32 v15, s5, v1, s20
	s_wait_alu 0xf1ff
	v_add_co_ci_u32_e64 v16, null, s21, v2, s5
	global_load_u16 v11, v[15:16], off
	s_wait_alu 0xfffe
	s_or_b32 exec_lo, exec_lo, s6
	s_and_saveexec_b32 s26, s4
	s_cbranch_execz .LBB59_12
.LBB59_16:                              ;   in Loop: Header=BB59_4 Depth=1
	s_wait_loadcnt 0x0
	v_cmp_neq_f16_e64 s4, 1.0, v14
	v_cvt_f32_f16_e32 v14, v14
	s_wait_alu 0xf1ff
	s_delay_alu instid0(VALU_DEP_2) | instskip(NEXT) | instid1(VALU_DEP_1)
	v_cndmask_b32_e64 v16, 1.0, s24, s4
	v_cmp_neq_f32_e64 s4, 0, v16
	v_cmp_neq_f32_e64 s27, v16, |v16|
	s_wait_alu 0xf1ff
	s_delay_alu instid0(VALU_DEP_2) | instskip(NEXT) | instid1(VALU_DEP_1)
	v_cndmask_b32_e64 v17, 1.0, v14, s4
	v_cvt_f64_f32_e64 v[14:15], |v17|
	v_cmp_lt_f32_e64 s28, |v17|, 1.0
	v_cmp_eq_f32_e64 s6, 0, v17
	s_xor_b32 s27, s27, s28
	v_frexp_exp_i32_f64_e32 v14, v[14:15]
	v_frexp_mant_f32_e64 v15, |v17|
	s_delay_alu instid0(VALU_DEP_1) | instskip(SKIP_1) | instid1(VALU_DEP_1)
	v_cmp_gt_f32_e64 s4, 0x3f2aaaab, v15
	s_wait_alu 0xf1ff
	v_cndmask_b32_e64 v18, 1.0, 2.0, s4
	s_delay_alu instid0(VALU_DEP_1) | instskip(NEXT) | instid1(VALU_DEP_1)
	v_mul_f32_e32 v15, v15, v18
	v_add_f32_e32 v18, 1.0, v15
	v_add_f32_e32 v20, -1.0, v15
	s_delay_alu instid0(VALU_DEP_2) | instskip(NEXT) | instid1(VALU_DEP_1)
	v_add_f32_e32 v22, -1.0, v18
	v_sub_f32_e32 v15, v15, v22
	v_rcp_f32_e32 v19, v18
	v_subrev_co_ci_u32_e64 v14, null, 0, v14, s4
	s_delay_alu instid0(TRANS32_DEP_1) | instskip(NEXT) | instid1(VALU_DEP_2)
	v_mul_f32_e32 v21, v20, v19
	v_cvt_f32_i32_e32 v14, v14
	s_delay_alu instid0(VALU_DEP_2) | instskip(NEXT) | instid1(VALU_DEP_1)
	v_mul_f32_e32 v23, v18, v21
	v_fma_f32 v18, v21, v18, -v23
	s_delay_alu instid0(VALU_DEP_1) | instskip(NEXT) | instid1(VALU_DEP_1)
	v_fmac_f32_e32 v18, v21, v15
	v_add_f32_e32 v15, v23, v18
	s_delay_alu instid0(VALU_DEP_1) | instskip(NEXT) | instid1(VALU_DEP_1)
	v_sub_f32_e32 v23, v15, v23
	v_sub_f32_e32 v18, v23, v18
	;; [unrolled: 1-line block ×3, first 2 shown]
	s_delay_alu instid0(VALU_DEP_1) | instskip(NEXT) | instid1(VALU_DEP_1)
	v_sub_f32_e32 v20, v20, v22
	v_sub_f32_e32 v15, v20, v15
	s_delay_alu instid0(VALU_DEP_1) | instskip(NEXT) | instid1(VALU_DEP_1)
	v_add_f32_e32 v15, v18, v15
	v_add_f32_e32 v15, v22, v15
	s_delay_alu instid0(VALU_DEP_1) | instskip(NEXT) | instid1(VALU_DEP_1)
	v_mul_f32_e32 v15, v19, v15
	v_add_f32_e32 v18, v21, v15
	s_delay_alu instid0(VALU_DEP_1) | instskip(NEXT) | instid1(VALU_DEP_1)
	v_sub_f32_e32 v19, v18, v21
	v_dual_mul_f32 v20, v18, v18 :: v_dual_sub_f32 v15, v15, v19
	s_delay_alu instid0(VALU_DEP_1) | instskip(NEXT) | instid1(VALU_DEP_2)
	v_fma_f32 v19, v18, v18, -v20
	v_add_f32_e32 v21, v15, v15
	s_delay_alu instid0(VALU_DEP_1) | instskip(NEXT) | instid1(VALU_DEP_1)
	v_fmac_f32_e32 v19, v18, v21
	v_add_f32_e32 v21, v20, v19
	s_delay_alu instid0(VALU_DEP_1) | instskip(SKIP_1) | instid1(VALU_DEP_1)
	v_fmaak_f32 v22, s25, v21, 0x3e91f4c4
	v_sub_f32_e32 v20, v21, v20
	v_dual_fmaak_f32 v22, v21, v22, 0x3ecccdef :: v_dual_sub_f32 v19, v19, v20
	s_delay_alu instid0(VALU_DEP_1) | instskip(NEXT) | instid1(VALU_DEP_1)
	v_mul_f32_e32 v23, v21, v22
	v_fma_f32 v20, v21, v22, -v23
	s_delay_alu instid0(VALU_DEP_1) | instskip(NEXT) | instid1(VALU_DEP_1)
	v_fmac_f32_e32 v20, v19, v22
	v_add_f32_e32 v22, v23, v20
	s_delay_alu instid0(VALU_DEP_1) | instskip(NEXT) | instid1(VALU_DEP_1)
	v_dual_sub_f32 v23, v22, v23 :: v_dual_add_f32 v24, 0x3f2aaaaa, v22
	v_dual_sub_f32 v20, v20, v23 :: v_dual_add_f32 v23, 0xbf2aaaaa, v24
	s_delay_alu instid0(VALU_DEP_1) | instskip(NEXT) | instid1(VALU_DEP_2)
	v_dual_add_f32 v20, 0x31739010, v20 :: v_dual_mul_f32 v25, v18, v21
	v_sub_f32_e32 v22, v22, v23
	s_delay_alu instid0(VALU_DEP_2) | instskip(NEXT) | instid1(VALU_DEP_2)
	v_fma_f32 v26, v21, v18, -v25
	v_add_f32_e32 v20, v20, v22
	s_delay_alu instid0(VALU_DEP_2) | instskip(SKIP_1) | instid1(VALU_DEP_2)
	v_fmac_f32_e32 v26, v21, v15
	v_ldexp_f32 v15, v15, 1
	v_dual_fmac_f32 v26, v19, v18 :: v_dual_add_f32 v19, v24, v20
	v_ldexp_f32 v18, v18, 1
	s_delay_alu instid0(VALU_DEP_2) | instskip(NEXT) | instid1(VALU_DEP_1)
	v_dual_add_f32 v21, v25, v26 :: v_dual_sub_f32 v22, v24, v19
	v_dual_mul_f32 v23, v21, v19 :: v_dual_add_f32 v20, v20, v22
	v_sub_f32_e32 v24, v21, v25
	s_delay_alu instid0(VALU_DEP_2) | instskip(NEXT) | instid1(VALU_DEP_2)
	v_fma_f32 v22, v21, v19, -v23
	v_sub_f32_e32 v24, v26, v24
	s_delay_alu instid0(VALU_DEP_2) | instskip(NEXT) | instid1(VALU_DEP_1)
	v_fmac_f32_e32 v22, v21, v20
	v_fmac_f32_e32 v22, v24, v19
	s_delay_alu instid0(VALU_DEP_1) | instskip(NEXT) | instid1(VALU_DEP_1)
	v_add_f32_e32 v19, v23, v22
	v_add_f32_e32 v21, v18, v19
	v_dual_sub_f32 v20, v19, v23 :: v_dual_mul_f32 v23, 0x3f317218, v14
	s_delay_alu instid0(VALU_DEP_2) | instskip(NEXT) | instid1(VALU_DEP_2)
	v_sub_f32_e32 v18, v21, v18
	v_sub_f32_e32 v20, v22, v20
	s_delay_alu instid0(VALU_DEP_3) | instskip(NEXT) | instid1(VALU_DEP_3)
	v_fma_f32 v22, 0x3f317218, v14, -v23
	v_sub_f32_e32 v18, v19, v18
	s_delay_alu instid0(VALU_DEP_2) | instskip(NEXT) | instid1(VALU_DEP_1)
	v_dual_add_f32 v15, v15, v20 :: v_dual_fmac_f32 v22, 0xb102e308, v14
	v_add_f32_e32 v14, v15, v18
	s_delay_alu instid0(VALU_DEP_2) | instskip(NEXT) | instid1(VALU_DEP_1)
	v_add_f32_e32 v15, v23, v22
	v_dual_add_f32 v18, v21, v14 :: v_dual_sub_f32 v23, v15, v23
	s_delay_alu instid0(VALU_DEP_1) | instskip(NEXT) | instid1(VALU_DEP_1)
	v_add_f32_e32 v19, v15, v18
	v_dual_sub_f32 v21, v18, v21 :: v_dual_sub_f32 v20, v19, v15
	s_delay_alu instid0(VALU_DEP_1) | instskip(SKIP_1) | instid1(VALU_DEP_2)
	v_sub_f32_e32 v24, v19, v20
	v_sub_f32_e32 v18, v18, v20
	v_dual_sub_f32 v15, v15, v24 :: v_dual_sub_f32 v22, v22, v23
	s_delay_alu instid0(VALU_DEP_1) | instskip(SKIP_1) | instid1(VALU_DEP_1)
	v_add_f32_e32 v15, v18, v15
	v_sub_f32_e32 v14, v14, v21
	v_add_f32_e32 v20, v22, v14
	s_delay_alu instid0(VALU_DEP_1) | instskip(NEXT) | instid1(VALU_DEP_1)
	v_add_f32_e32 v15, v20, v15
	v_dual_sub_f32 v18, v20, v22 :: v_dual_add_f32 v21, v19, v15
	s_delay_alu instid0(VALU_DEP_1) | instskip(NEXT) | instid1(VALU_DEP_1)
	v_dual_sub_f32 v20, v20, v18 :: v_dual_sub_f32 v19, v21, v19
	v_dual_sub_f32 v15, v15, v19 :: v_dual_sub_f32 v14, v14, v18
	s_delay_alu instid0(VALU_DEP_2) | instskip(NEXT) | instid1(VALU_DEP_1)
	v_sub_f32_e32 v18, v22, v20
	v_add_f32_e32 v14, v14, v18
	s_delay_alu instid0(VALU_DEP_1) | instskip(NEXT) | instid1(VALU_DEP_1)
	v_add_f32_e32 v14, v14, v15
	v_add_f32_e32 v15, v21, v14
	s_delay_alu instid0(VALU_DEP_1) | instskip(NEXT) | instid1(VALU_DEP_1)
	v_dual_sub_f32 v18, v15, v21 :: v_dual_mul_f32 v19, v16, v15
	v_sub_f32_e32 v14, v14, v18
	s_delay_alu instid0(VALU_DEP_2) | instskip(SKIP_1) | instid1(VALU_DEP_2)
	v_fma_f32 v15, v16, v15, -v19
	v_cmp_class_f32_e64 s4, v19, 0x204
	v_fmac_f32_e32 v15, v16, v14
	s_delay_alu instid0(VALU_DEP_1) | instskip(SKIP_1) | instid1(VALU_DEP_1)
	v_add_f32_e32 v14, v19, v15
	s_wait_alu 0xf1ff
	v_cndmask_b32_e64 v18, v14, v19, s4
	s_delay_alu instid0(VALU_DEP_1) | instskip(SKIP_1) | instid1(VALU_DEP_1)
	v_cmp_eq_f32_e64 s4, 0x42b17218, v18
	s_wait_alu 0xf1ff
	v_cndmask_b32_e64 v20, 0, 0x37000000, s4
	v_cmp_neq_f32_e64 s4, 0x7f800000, |v18|
	s_delay_alu instid0(VALU_DEP_2) | instskip(SKIP_1) | instid1(VALU_DEP_2)
	v_sub_f32_e32 v21, v18, v20
	v_sub_f32_e32 v14, v14, v19
	v_mul_f32_e32 v22, 0x3fb8aa3b, v21
	s_delay_alu instid0(VALU_DEP_2) | instskip(SKIP_2) | instid1(VALU_DEP_4)
	v_sub_f32_e32 v14, v15, v14
	v_trunc_f32_e32 v15, v16
	v_cmp_nlt_f32_e64 s5, 0x42b17218, v21
	v_fma_f32 v23, 0x3fb8aa3b, v21, -v22
	v_rndne_f32_e32 v24, v22
	s_wait_alu 0xf1ff
	v_cndmask_b32_e64 v14, 0, v14, s4
	v_cmp_ngt_f32_e64 s4, 0xc2ce8ed0, v21
	s_delay_alu instid0(VALU_DEP_3) | instskip(SKIP_1) | instid1(VALU_DEP_4)
	v_dual_fmac_f32 v23, 0x32a5705f, v21 :: v_dual_sub_f32 v22, v22, v24
	v_cvt_i32_f32_e32 v19, v24
	v_add_f32_e32 v14, v20, v14
	s_delay_alu instid0(VALU_DEP_3) | instskip(NEXT) | instid1(VALU_DEP_1)
	v_add_f32_e32 v22, v22, v23
	v_exp_f32_e32 v22, v22
	s_delay_alu instid0(TRANS32_DEP_1) | instskip(SKIP_2) | instid1(VALU_DEP_2)
	v_ldexp_f32 v19, v22, v19
	v_mul_f32_e32 v22, 0.5, v16
	s_wait_alu 0xf1ff
	v_cndmask_b32_e64 v18, 0, v19, s4
	s_delay_alu instid0(VALU_DEP_2) | instskip(SKIP_1) | instid1(VALU_DEP_3)
	v_trunc_f32_e32 v19, v22
	v_cmp_eq_f32_e64 s4, v15, v16
	v_cndmask_b32_e64 v15, 0x7f800000, v18, s5
	s_delay_alu instid0(VALU_DEP_3) | instskip(NEXT) | instid1(VALU_DEP_2)
	v_cmp_neq_f32_e64 s5, v19, v22
	v_fma_f32 v14, v15, v14, v15
	s_and_b32 s5, s4, s5
	s_wait_alu 0xfffe
	v_cndmask_b32_e64 v18, 0, v17, s5
	v_cndmask_b32_e64 v19, 1.0, v17, s5
	v_cmp_class_f32_e64 s5, v15, 0x204
	s_wait_alu 0xf1ff
	s_delay_alu instid0(VALU_DEP_1) | instskip(SKIP_2) | instid1(VALU_DEP_3)
	v_cndmask_b32_e64 v14, v14, v15, s5
	v_cmp_gt_f32_e64 s5, 0, v16
	v_cndmask_b32_e64 v15, 0x7f800000, 0, s27
	v_bfi_b32 v14, 0x7fffffff, v14, v19
	s_delay_alu instid0(VALU_DEP_1)
	v_cndmask_b32_e64 v19, 0x7fc00000, v14, s4
	s_xor_b32 s4, s5, s6
	v_cmp_class_f32_e64 s5, v17, 0x204
	s_wait_alu 0xfffe
	v_cndmask_b32_e64 v20, 0x7f800000, 0, s4
	v_cmp_neq_f32_e64 s4, |v17|, 1.0
	s_delay_alu instid0(VALU_DEP_2) | instskip(SKIP_1) | instid1(VALU_DEP_2)
	v_bfi_b32 v18, 0x7fffffff, v20, v18
	s_wait_alu 0xf1ff
	v_cndmask_b32_e64 v15, 1.0, v15, s4
	v_cmp_gt_f32_e64 s4, 0, v17
	s_wait_alu 0xf1ff
	s_delay_alu instid0(VALU_DEP_1) | instskip(SKIP_2) | instid1(VALU_DEP_1)
	v_cndmask_b32_e64 v14, v14, v19, s4
	v_cmp_class_f32_e64 s4, v16, 0x204
	s_wait_alu 0xf1ff
	v_cndmask_b32_e64 v14, v14, v15, s4
	s_or_b32 s4, s6, s5
	s_wait_alu 0xfffe
	s_delay_alu instid0(VALU_DEP_1) | instskip(SKIP_2) | instid1(VALU_DEP_1)
	v_cndmask_b32_e64 v14, v14, v18, s4
	v_cmp_o_f32_e64 s4, v17, v16
	s_wait_alu 0xf1ff
	v_cndmask_b32_e64 v14, 0x7fc00000, v14, s4
	s_delay_alu instid0(VALU_DEP_1)
	v_cvt_f16_f32_e32 v14, v14
	global_store_b16 v[1:2], v14, off
	s_or_b32 exec_lo, exec_lo, s26
	s_and_saveexec_b32 s26, s3
	s_cbranch_execz .LBB59_13
.LBB59_17:                              ;   in Loop: Header=BB59_4 Depth=1
	s_wait_loadcnt 0x0
	v_cmp_neq_f16_e64 s3, 1.0, v13
	v_cvt_f32_f16_e32 v13, v13
	s_wait_alu 0xf1ff
	s_delay_alu instid0(VALU_DEP_2) | instskip(NEXT) | instid1(VALU_DEP_1)
	v_cndmask_b32_e64 v15, 1.0, s24, s3
	v_cmp_neq_f32_e64 s3, 0, v15
	v_cmp_neq_f32_e64 s27, v15, |v15|
	s_wait_alu 0xf1ff
	s_delay_alu instid0(VALU_DEP_2) | instskip(NEXT) | instid1(VALU_DEP_1)
	v_cndmask_b32_e64 v16, 1.0, v13, s3
	v_frexp_mant_f32_e64 v13, |v16|
	v_cmp_lt_f32_e64 s28, |v16|, 1.0
	v_cmp_eq_f32_e64 s6, 0, v16
	s_delay_alu instid0(VALU_DEP_3) | instskip(SKIP_2) | instid1(VALU_DEP_1)
	v_cmp_gt_f32_e64 s3, 0x3f2aaaab, v13
	s_xor_b32 s27, s27, s28
	v_cndmask_b32_e64 v14, 1.0, 2.0, s3
	v_mul_f32_e32 v13, v13, v14
	s_delay_alu instid0(VALU_DEP_1) | instskip(SKIP_1) | instid1(VALU_DEP_2)
	v_add_f32_e32 v14, 1.0, v13
	v_add_f32_e32 v18, -1.0, v13
	v_add_f32_e32 v20, -1.0, v14
	s_delay_alu instid0(VALU_DEP_1) | instskip(SKIP_1) | instid1(TRANS32_DEP_1)
	v_sub_f32_e32 v13, v13, v20
	v_rcp_f32_e32 v17, v14
	v_mul_f32_e32 v19, v18, v17
	s_delay_alu instid0(VALU_DEP_1) | instskip(NEXT) | instid1(VALU_DEP_1)
	v_mul_f32_e32 v21, v14, v19
	v_fma_f32 v14, v19, v14, -v21
	s_delay_alu instid0(VALU_DEP_1) | instskip(NEXT) | instid1(VALU_DEP_1)
	v_fmac_f32_e32 v14, v19, v13
	v_add_f32_e32 v13, v21, v14
	s_delay_alu instid0(VALU_DEP_1) | instskip(NEXT) | instid1(VALU_DEP_1)
	v_sub_f32_e32 v20, v18, v13
	v_dual_sub_f32 v21, v13, v21 :: v_dual_sub_f32 v18, v18, v20
	s_delay_alu instid0(VALU_DEP_1) | instskip(NEXT) | instid1(VALU_DEP_1)
	v_dual_sub_f32 v14, v21, v14 :: v_dual_sub_f32 v13, v18, v13
	v_add_f32_e32 v13, v14, v13
	s_delay_alu instid0(VALU_DEP_1) | instskip(NEXT) | instid1(VALU_DEP_1)
	v_add_f32_e32 v13, v20, v13
	v_mul_f32_e32 v13, v17, v13
	s_delay_alu instid0(VALU_DEP_1) | instskip(NEXT) | instid1(VALU_DEP_1)
	v_add_f32_e32 v17, v19, v13
	v_sub_f32_e32 v14, v17, v19
	s_delay_alu instid0(VALU_DEP_1) | instskip(NEXT) | instid1(VALU_DEP_1)
	v_sub_f32_e32 v19, v13, v14
	v_dual_mul_f32 v18, v17, v17 :: v_dual_add_f32 v13, v19, v19
	s_delay_alu instid0(VALU_DEP_1) | instskip(NEXT) | instid1(VALU_DEP_1)
	v_fma_f32 v20, v17, v17, -v18
	v_fmac_f32_e32 v20, v17, v13
	v_cvt_f64_f32_e64 v[13:14], |v16|
	s_delay_alu instid0(VALU_DEP_2) | instskip(NEXT) | instid1(VALU_DEP_1)
	v_add_f32_e32 v21, v18, v20
	v_fmaak_f32 v22, s25, v21, 0x3e91f4c4
	v_sub_f32_e32 v18, v21, v18
	s_delay_alu instid0(VALU_DEP_2) | instskip(NEXT) | instid1(VALU_DEP_2)
	v_fmaak_f32 v22, v21, v22, 0x3ecccdef
	v_sub_f32_e32 v18, v20, v18
	s_delay_alu instid0(VALU_DEP_2) | instskip(NEXT) | instid1(VALU_DEP_1)
	v_mul_f32_e32 v23, v21, v22
	v_fma_f32 v20, v21, v22, -v23
	s_delay_alu instid0(VALU_DEP_1) | instskip(NEXT) | instid1(VALU_DEP_1)
	v_dual_fmac_f32 v20, v18, v22 :: v_dual_mul_f32 v25, v17, v21
	v_add_f32_e32 v22, v23, v20
	v_frexp_exp_i32_f64_e32 v13, v[13:14]
	s_delay_alu instid0(VALU_DEP_2) | instskip(NEXT) | instid1(VALU_DEP_1)
	v_sub_f32_e32 v23, v22, v23
	v_sub_f32_e32 v14, v20, v23
	v_fma_f32 v23, v21, v17, -v25
	s_delay_alu instid0(VALU_DEP_1) | instskip(NEXT) | instid1(VALU_DEP_1)
	v_dual_add_f32 v24, 0x3f2aaaaa, v22 :: v_dual_fmac_f32 v23, v21, v19
	v_add_f32_e32 v20, 0xbf2aaaaa, v24
	v_ldexp_f32 v19, v19, 1
	s_delay_alu instid0(VALU_DEP_3) | instskip(NEXT) | instid1(VALU_DEP_3)
	v_dual_fmac_f32 v23, v18, v17 :: v_dual_add_f32 v14, 0x31739010, v14
	v_sub_f32_e32 v20, v22, v20
	s_delay_alu instid0(VALU_DEP_1) | instskip(NEXT) | instid1(VALU_DEP_1)
	v_add_f32_e32 v14, v14, v20
	v_add_f32_e32 v18, v24, v14
	s_delay_alu instid0(VALU_DEP_1) | instskip(SKIP_1) | instid1(VALU_DEP_2)
	v_sub_f32_e32 v21, v24, v18
	v_subrev_co_ci_u32_e64 v13, null, 0, v13, s3
	v_add_f32_e32 v14, v14, v21
	s_delay_alu instid0(VALU_DEP_2) | instskip(SKIP_1) | instid1(VALU_DEP_1)
	v_cvt_f32_i32_e32 v13, v13
	v_add_f32_e32 v20, v25, v23
	v_mul_f32_e32 v22, v20, v18
	v_sub_f32_e32 v24, v20, v25
	s_delay_alu instid0(VALU_DEP_2) | instskip(NEXT) | instid1(VALU_DEP_2)
	v_fma_f32 v21, v20, v18, -v22
	v_sub_f32_e32 v23, v23, v24
	s_delay_alu instid0(VALU_DEP_2) | instskip(SKIP_1) | instid1(VALU_DEP_2)
	v_fmac_f32_e32 v21, v20, v14
	v_ldexp_f32 v14, v17, 1
	v_fmac_f32_e32 v21, v23, v18
	s_delay_alu instid0(VALU_DEP_1) | instskip(NEXT) | instid1(VALU_DEP_1)
	v_add_f32_e32 v17, v22, v21
	v_add_f32_e32 v18, v14, v17
	v_sub_f32_e32 v20, v17, v22
	v_mul_f32_e32 v22, 0x3f317218, v13
	s_delay_alu instid0(VALU_DEP_3) | instskip(NEXT) | instid1(VALU_DEP_3)
	v_sub_f32_e32 v14, v18, v14
	v_sub_f32_e32 v20, v21, v20
	s_delay_alu instid0(VALU_DEP_3) | instskip(NEXT) | instid1(VALU_DEP_2)
	v_fma_f32 v21, 0x3f317218, v13, -v22
	v_dual_sub_f32 v14, v17, v14 :: v_dual_add_f32 v17, v19, v20
	s_delay_alu instid0(VALU_DEP_2) | instskip(NEXT) | instid1(VALU_DEP_2)
	v_fmac_f32_e32 v21, 0xb102e308, v13
	v_add_f32_e32 v13, v17, v14
	s_delay_alu instid0(VALU_DEP_1) | instskip(NEXT) | instid1(VALU_DEP_1)
	v_add_f32_e32 v17, v18, v13
	v_sub_f32_e32 v18, v17, v18
	s_delay_alu instid0(VALU_DEP_1) | instskip(NEXT) | instid1(VALU_DEP_1)
	v_dual_sub_f32 v13, v13, v18 :: v_dual_add_f32 v14, v22, v21
	v_sub_f32_e32 v22, v14, v22
	s_delay_alu instid0(VALU_DEP_1) | instskip(SKIP_1) | instid1(VALU_DEP_2)
	v_sub_f32_e32 v21, v21, v22
	v_add_f32_e32 v19, v14, v17
	v_add_f32_e32 v18, v21, v13
	s_delay_alu instid0(VALU_DEP_2) | instskip(NEXT) | instid1(VALU_DEP_1)
	v_sub_f32_e32 v20, v19, v14
	v_sub_f32_e32 v23, v19, v20
	s_delay_alu instid0(VALU_DEP_1) | instskip(NEXT) | instid1(VALU_DEP_1)
	v_dual_sub_f32 v17, v17, v20 :: v_dual_sub_f32 v14, v14, v23
	v_dual_add_f32 v14, v17, v14 :: v_dual_sub_f32 v17, v18, v21
	s_delay_alu instid0(VALU_DEP_1) | instskip(NEXT) | instid1(VALU_DEP_2)
	v_add_f32_e32 v14, v18, v14
	v_sub_f32_e32 v18, v18, v17
	s_delay_alu instid0(VALU_DEP_2) | instskip(NEXT) | instid1(VALU_DEP_1)
	v_dual_sub_f32 v13, v13, v17 :: v_dual_add_f32 v20, v19, v14
	v_dual_sub_f32 v17, v21, v18 :: v_dual_sub_f32 v18, v20, v19
	s_delay_alu instid0(VALU_DEP_1) | instskip(NEXT) | instid1(VALU_DEP_1)
	v_dual_add_f32 v13, v13, v17 :: v_dual_sub_f32 v14, v14, v18
	v_add_f32_e32 v13, v13, v14
	s_delay_alu instid0(VALU_DEP_1) | instskip(NEXT) | instid1(VALU_DEP_1)
	v_add_f32_e32 v14, v20, v13
	v_dual_sub_f32 v17, v14, v20 :: v_dual_mul_f32 v18, v15, v14
	s_delay_alu instid0(VALU_DEP_1) | instskip(NEXT) | instid1(VALU_DEP_2)
	v_sub_f32_e32 v13, v13, v17
	v_fma_f32 v14, v15, v14, -v18
	v_cmp_class_f32_e64 s3, v18, 0x204
	s_delay_alu instid0(VALU_DEP_2) | instskip(NEXT) | instid1(VALU_DEP_1)
	v_fmac_f32_e32 v14, v15, v13
	v_add_f32_e32 v13, v18, v14
	s_wait_alu 0xf1ff
	s_delay_alu instid0(VALU_DEP_1) | instskip(NEXT) | instid1(VALU_DEP_1)
	v_cndmask_b32_e64 v17, v13, v18, s3
	v_cmp_eq_f32_e64 s3, 0x42b17218, v17
	s_wait_alu 0xf1ff
	s_delay_alu instid0(VALU_DEP_1) | instskip(SKIP_1) | instid1(VALU_DEP_2)
	v_cndmask_b32_e64 v19, 0, 0x37000000, s3
	v_cmp_neq_f32_e64 s3, 0x7f800000, |v17|
	v_sub_f32_e32 v20, v17, v19
	v_sub_f32_e32 v13, v13, v18
	v_trunc_f32_e32 v17, v15
	s_delay_alu instid0(VALU_DEP_3) | instskip(NEXT) | instid1(VALU_DEP_3)
	v_mul_f32_e32 v21, 0x3fb8aa3b, v20
	v_sub_f32_e32 v13, v14, v13
	s_delay_alu instid0(VALU_DEP_2) | instskip(SKIP_2) | instid1(VALU_DEP_3)
	v_fma_f32 v22, 0x3fb8aa3b, v20, -v21
	v_rndne_f32_e32 v23, v21
	s_wait_alu 0xf1ff
	v_cndmask_b32_e64 v13, 0, v13, s3
	v_cmp_ngt_f32_e64 s3, 0xc2ce8ed0, v20
	s_delay_alu instid0(VALU_DEP_3) | instskip(SKIP_1) | instid1(VALU_DEP_4)
	v_dual_fmac_f32 v22, 0x32a5705f, v20 :: v_dual_sub_f32 v21, v21, v23
	v_cvt_i32_f32_e32 v18, v23
	v_add_f32_e32 v13, v19, v13
	s_delay_alu instid0(VALU_DEP_3) | instskip(NEXT) | instid1(VALU_DEP_1)
	v_add_f32_e32 v21, v21, v22
	v_exp_f32_e32 v21, v21
	s_delay_alu instid0(TRANS32_DEP_1) | instskip(SKIP_2) | instid1(VALU_DEP_2)
	v_ldexp_f32 v14, v21, v18
	v_mul_f32_e32 v18, 0.5, v15
	s_wait_alu 0xf1ff
	v_cndmask_b32_e64 v14, 0, v14, s3
	v_cmp_nlt_f32_e64 s3, 0x42b17218, v20
	s_delay_alu instid0(VALU_DEP_3) | instskip(SKIP_1) | instid1(VALU_DEP_2)
	v_trunc_f32_e32 v21, v18
	s_wait_alu 0xf1ff
	v_cndmask_b32_e64 v14, 0x7f800000, v14, s3
	v_cmp_eq_f32_e64 s3, v17, v15
	s_delay_alu instid0(VALU_DEP_3) | instskip(NEXT) | instid1(VALU_DEP_3)
	v_cmp_neq_f32_e64 s4, v21, v18
	v_fma_f32 v13, v14, v13, v14
	v_cmp_class_f32_e64 s5, v14, 0x204
	s_and_b32 s4, s3, s4
	s_wait_alu 0xfffe
	v_cndmask_b32_e64 v17, 1.0, v16, s4
	v_cndmask_b32_e64 v13, v13, v14, s5
	v_cmp_gt_f32_e64 s5, 0, v15
	v_cndmask_b32_e64 v14, 0x7f800000, 0, s27
	s_delay_alu instid0(VALU_DEP_3) | instskip(NEXT) | instid1(VALU_DEP_1)
	v_bfi_b32 v13, 0x7fffffff, v13, v17
	v_cndmask_b32_e64 v17, 0x7fc00000, v13, s3
	s_xor_b32 s3, s5, s6
	s_wait_alu 0xfffe
	v_cndmask_b32_e64 v18, 0x7f800000, 0, s3
	v_cmp_neq_f32_e64 s3, |v16|, 1.0
	s_wait_alu 0xf1ff
	s_delay_alu instid0(VALU_DEP_1) | instskip(SKIP_2) | instid1(VALU_DEP_1)
	v_cndmask_b32_e64 v14, 1.0, v14, s3
	v_cmp_gt_f32_e64 s3, 0, v16
	s_wait_alu 0xf1ff
	v_cndmask_b32_e64 v13, v13, v17, s3
	v_cndmask_b32_e64 v17, 0, v16, s4
	v_cmp_class_f32_e64 s3, v15, 0x204
	v_cmp_class_f32_e64 s4, v16, 0x204
	s_wait_alu 0xf1ff
	s_delay_alu instid0(VALU_DEP_2) | instskip(SKIP_3) | instid1(VALU_DEP_1)
	v_cndmask_b32_e64 v13, v13, v14, s3
	v_bfi_b32 v14, 0x7fffffff, v18, v17
	s_or_b32 s3, s6, s4
	s_wait_alu 0xfffe
	v_cndmask_b32_e64 v13, v13, v14, s3
	v_cmp_o_f32_e64 s3, v16, v15
	s_wait_alu 0xf1ff
	s_delay_alu instid0(VALU_DEP_1) | instskip(NEXT) | instid1(VALU_DEP_1)
	v_cndmask_b32_e64 v13, 0x7fc00000, v13, s3
	v_cvt_f16_f32_e32 v13, v13
	global_store_b16 v[3:4], v13, off
	s_or_b32 exec_lo, exec_lo, s26
	s_and_saveexec_b32 s6, s2
	s_cbranch_execz .LBB59_14
.LBB59_18:                              ;   in Loop: Header=BB59_4 Depth=1
	s_wait_loadcnt 0x0
	v_cmp_neq_f16_e64 s2, 1.0, v12
	v_cvt_f32_f16_e32 v12, v12
	s_wait_alu 0xf1ff
	s_delay_alu instid0(VALU_DEP_2) | instskip(NEXT) | instid1(VALU_DEP_1)
	v_cndmask_b32_e64 v14, 1.0, s24, s2
	v_cmp_neq_f32_e64 s2, 0, v14
	v_cmp_neq_f32_e64 s26, v14, |v14|
	s_wait_alu 0xf1ff
	s_delay_alu instid0(VALU_DEP_2) | instskip(NEXT) | instid1(VALU_DEP_1)
	v_cndmask_b32_e64 v15, 1.0, v12, s2
	v_frexp_mant_f32_e64 v12, |v15|
	v_cmp_lt_f32_e64 s27, |v15|, 1.0
	v_cmp_eq_f32_e64 s5, 0, v15
	s_delay_alu instid0(VALU_DEP_3) | instskip(SKIP_2) | instid1(VALU_DEP_1)
	v_cmp_gt_f32_e64 s2, 0x3f2aaaab, v12
	s_xor_b32 s26, s26, s27
	v_cndmask_b32_e64 v13, 1.0, 2.0, s2
	v_mul_f32_e32 v12, v12, v13
	s_delay_alu instid0(VALU_DEP_1) | instskip(SKIP_1) | instid1(VALU_DEP_2)
	v_add_f32_e32 v13, 1.0, v12
	v_add_f32_e32 v17, -1.0, v12
	v_add_f32_e32 v19, -1.0, v13
	s_delay_alu instid0(VALU_DEP_1) | instskip(SKIP_1) | instid1(TRANS32_DEP_1)
	v_sub_f32_e32 v12, v12, v19
	v_rcp_f32_e32 v16, v13
	v_mul_f32_e32 v18, v17, v16
	s_delay_alu instid0(VALU_DEP_1) | instskip(NEXT) | instid1(VALU_DEP_1)
	v_mul_f32_e32 v20, v13, v18
	v_fma_f32 v13, v18, v13, -v20
	s_delay_alu instid0(VALU_DEP_1) | instskip(NEXT) | instid1(VALU_DEP_1)
	v_fmac_f32_e32 v13, v18, v12
	v_add_f32_e32 v12, v20, v13
	s_delay_alu instid0(VALU_DEP_1) | instskip(NEXT) | instid1(VALU_DEP_1)
	v_sub_f32_e32 v19, v17, v12
	v_dual_sub_f32 v20, v12, v20 :: v_dual_sub_f32 v17, v17, v19
	s_delay_alu instid0(VALU_DEP_1) | instskip(NEXT) | instid1(VALU_DEP_1)
	v_dual_sub_f32 v13, v20, v13 :: v_dual_sub_f32 v12, v17, v12
	v_add_f32_e32 v12, v13, v12
	s_delay_alu instid0(VALU_DEP_1) | instskip(NEXT) | instid1(VALU_DEP_1)
	v_add_f32_e32 v12, v19, v12
	v_mul_f32_e32 v12, v16, v12
	s_delay_alu instid0(VALU_DEP_1) | instskip(NEXT) | instid1(VALU_DEP_1)
	v_add_f32_e32 v16, v18, v12
	v_sub_f32_e32 v13, v16, v18
	s_delay_alu instid0(VALU_DEP_1) | instskip(NEXT) | instid1(VALU_DEP_1)
	v_sub_f32_e32 v18, v12, v13
	v_dual_mul_f32 v17, v16, v16 :: v_dual_add_f32 v12, v18, v18
	s_delay_alu instid0(VALU_DEP_1) | instskip(NEXT) | instid1(VALU_DEP_1)
	v_fma_f32 v19, v16, v16, -v17
	v_fmac_f32_e32 v19, v16, v12
	v_cvt_f64_f32_e64 v[12:13], |v15|
	s_delay_alu instid0(VALU_DEP_2) | instskip(NEXT) | instid1(VALU_DEP_1)
	v_add_f32_e32 v20, v17, v19
	v_fmaak_f32 v21, s25, v20, 0x3e91f4c4
	v_sub_f32_e32 v17, v20, v17
	s_delay_alu instid0(VALU_DEP_2) | instskip(NEXT) | instid1(VALU_DEP_2)
	v_fmaak_f32 v21, v20, v21, 0x3ecccdef
	v_sub_f32_e32 v17, v19, v17
	s_delay_alu instid0(VALU_DEP_2) | instskip(NEXT) | instid1(VALU_DEP_1)
	v_mul_f32_e32 v22, v20, v21
	v_fma_f32 v19, v20, v21, -v22
	s_delay_alu instid0(VALU_DEP_1) | instskip(NEXT) | instid1(VALU_DEP_1)
	v_dual_fmac_f32 v19, v17, v21 :: v_dual_mul_f32 v24, v16, v20
	v_add_f32_e32 v21, v22, v19
	v_frexp_exp_i32_f64_e32 v12, v[12:13]
	s_delay_alu instid0(VALU_DEP_2) | instskip(NEXT) | instid1(VALU_DEP_1)
	v_sub_f32_e32 v22, v21, v22
	v_sub_f32_e32 v13, v19, v22
	v_fma_f32 v22, v20, v16, -v24
	s_delay_alu instid0(VALU_DEP_1) | instskip(NEXT) | instid1(VALU_DEP_1)
	v_dual_add_f32 v23, 0x3f2aaaaa, v21 :: v_dual_fmac_f32 v22, v20, v18
	v_add_f32_e32 v19, 0xbf2aaaaa, v23
	v_ldexp_f32 v18, v18, 1
	s_delay_alu instid0(VALU_DEP_3) | instskip(NEXT) | instid1(VALU_DEP_3)
	v_dual_fmac_f32 v22, v17, v16 :: v_dual_add_f32 v13, 0x31739010, v13
	v_sub_f32_e32 v19, v21, v19
	s_delay_alu instid0(VALU_DEP_1) | instskip(NEXT) | instid1(VALU_DEP_1)
	v_add_f32_e32 v13, v13, v19
	v_add_f32_e32 v17, v23, v13
	s_delay_alu instid0(VALU_DEP_1) | instskip(SKIP_1) | instid1(VALU_DEP_2)
	v_sub_f32_e32 v20, v23, v17
	v_subrev_co_ci_u32_e64 v12, null, 0, v12, s2
	v_add_f32_e32 v13, v13, v20
	s_delay_alu instid0(VALU_DEP_2) | instskip(SKIP_1) | instid1(VALU_DEP_1)
	v_cvt_f32_i32_e32 v12, v12
	v_add_f32_e32 v19, v24, v22
	v_mul_f32_e32 v21, v19, v17
	v_sub_f32_e32 v23, v19, v24
	s_delay_alu instid0(VALU_DEP_2) | instskip(NEXT) | instid1(VALU_DEP_2)
	v_fma_f32 v20, v19, v17, -v21
	v_sub_f32_e32 v22, v22, v23
	s_delay_alu instid0(VALU_DEP_2) | instskip(SKIP_1) | instid1(VALU_DEP_2)
	v_fmac_f32_e32 v20, v19, v13
	v_ldexp_f32 v13, v16, 1
	v_fmac_f32_e32 v20, v22, v17
	s_delay_alu instid0(VALU_DEP_1) | instskip(NEXT) | instid1(VALU_DEP_1)
	v_add_f32_e32 v16, v21, v20
	v_add_f32_e32 v17, v13, v16
	v_sub_f32_e32 v19, v16, v21
	v_mul_f32_e32 v21, 0x3f317218, v12
	s_delay_alu instid0(VALU_DEP_3) | instskip(NEXT) | instid1(VALU_DEP_3)
	v_sub_f32_e32 v13, v17, v13
	v_sub_f32_e32 v19, v20, v19
	s_delay_alu instid0(VALU_DEP_3) | instskip(NEXT) | instid1(VALU_DEP_2)
	v_fma_f32 v20, 0x3f317218, v12, -v21
	v_dual_sub_f32 v13, v16, v13 :: v_dual_add_f32 v16, v18, v19
	s_delay_alu instid0(VALU_DEP_2) | instskip(NEXT) | instid1(VALU_DEP_2)
	v_fmac_f32_e32 v20, 0xb102e308, v12
	v_add_f32_e32 v12, v16, v13
	s_delay_alu instid0(VALU_DEP_1) | instskip(NEXT) | instid1(VALU_DEP_1)
	v_add_f32_e32 v16, v17, v12
	v_sub_f32_e32 v17, v16, v17
	s_delay_alu instid0(VALU_DEP_1) | instskip(NEXT) | instid1(VALU_DEP_1)
	v_dual_sub_f32 v12, v12, v17 :: v_dual_add_f32 v13, v21, v20
	v_sub_f32_e32 v21, v13, v21
	s_delay_alu instid0(VALU_DEP_1) | instskip(SKIP_1) | instid1(VALU_DEP_2)
	v_sub_f32_e32 v20, v20, v21
	v_add_f32_e32 v18, v13, v16
	v_add_f32_e32 v17, v20, v12
	s_delay_alu instid0(VALU_DEP_2) | instskip(NEXT) | instid1(VALU_DEP_1)
	v_sub_f32_e32 v19, v18, v13
	v_sub_f32_e32 v22, v18, v19
	s_delay_alu instid0(VALU_DEP_1) | instskip(NEXT) | instid1(VALU_DEP_1)
	v_dual_sub_f32 v16, v16, v19 :: v_dual_sub_f32 v13, v13, v22
	v_dual_add_f32 v13, v16, v13 :: v_dual_sub_f32 v16, v17, v20
	s_delay_alu instid0(VALU_DEP_1) | instskip(NEXT) | instid1(VALU_DEP_2)
	v_add_f32_e32 v13, v17, v13
	v_sub_f32_e32 v17, v17, v16
	s_delay_alu instid0(VALU_DEP_2) | instskip(NEXT) | instid1(VALU_DEP_1)
	v_dual_sub_f32 v12, v12, v16 :: v_dual_add_f32 v19, v18, v13
	v_dual_sub_f32 v16, v20, v17 :: v_dual_sub_f32 v17, v19, v18
	s_delay_alu instid0(VALU_DEP_1) | instskip(NEXT) | instid1(VALU_DEP_1)
	v_dual_add_f32 v12, v12, v16 :: v_dual_sub_f32 v13, v13, v17
	v_add_f32_e32 v12, v12, v13
	s_delay_alu instid0(VALU_DEP_1) | instskip(NEXT) | instid1(VALU_DEP_1)
	v_add_f32_e32 v13, v19, v12
	v_dual_sub_f32 v16, v13, v19 :: v_dual_mul_f32 v17, v14, v13
	s_delay_alu instid0(VALU_DEP_1) | instskip(NEXT) | instid1(VALU_DEP_2)
	v_sub_f32_e32 v12, v12, v16
	v_fma_f32 v13, v14, v13, -v17
	v_cmp_class_f32_e64 s2, v17, 0x204
	s_delay_alu instid0(VALU_DEP_2) | instskip(NEXT) | instid1(VALU_DEP_1)
	v_fmac_f32_e32 v13, v14, v12
	v_add_f32_e32 v12, v17, v13
	s_wait_alu 0xf1ff
	s_delay_alu instid0(VALU_DEP_1) | instskip(NEXT) | instid1(VALU_DEP_1)
	v_cndmask_b32_e64 v16, v12, v17, s2
	v_cmp_eq_f32_e64 s2, 0x42b17218, v16
	s_wait_alu 0xf1ff
	s_delay_alu instid0(VALU_DEP_1) | instskip(SKIP_1) | instid1(VALU_DEP_2)
	v_cndmask_b32_e64 v18, 0, 0x37000000, s2
	v_cmp_neq_f32_e64 s2, 0x7f800000, |v16|
	v_sub_f32_e32 v19, v16, v18
	v_sub_f32_e32 v12, v12, v17
	v_trunc_f32_e32 v16, v14
	s_delay_alu instid0(VALU_DEP_3) | instskip(NEXT) | instid1(VALU_DEP_3)
	v_mul_f32_e32 v20, 0x3fb8aa3b, v19
	v_sub_f32_e32 v12, v13, v12
	s_delay_alu instid0(VALU_DEP_2) | instskip(SKIP_2) | instid1(VALU_DEP_3)
	v_fma_f32 v21, 0x3fb8aa3b, v19, -v20
	v_rndne_f32_e32 v22, v20
	s_wait_alu 0xf1ff
	v_cndmask_b32_e64 v12, 0, v12, s2
	v_cmp_ngt_f32_e64 s2, 0xc2ce8ed0, v19
	s_delay_alu instid0(VALU_DEP_3) | instskip(SKIP_1) | instid1(VALU_DEP_4)
	v_dual_fmac_f32 v21, 0x32a5705f, v19 :: v_dual_sub_f32 v20, v20, v22
	v_cvt_i32_f32_e32 v17, v22
	v_add_f32_e32 v12, v18, v12
	s_delay_alu instid0(VALU_DEP_3) | instskip(NEXT) | instid1(VALU_DEP_1)
	v_add_f32_e32 v20, v20, v21
	v_exp_f32_e32 v20, v20
	s_delay_alu instid0(TRANS32_DEP_1) | instskip(SKIP_2) | instid1(VALU_DEP_2)
	v_ldexp_f32 v13, v20, v17
	v_mul_f32_e32 v17, 0.5, v14
	s_wait_alu 0xf1ff
	v_cndmask_b32_e64 v13, 0, v13, s2
	v_cmp_nlt_f32_e64 s2, 0x42b17218, v19
	s_delay_alu instid0(VALU_DEP_3) | instskip(SKIP_1) | instid1(VALU_DEP_2)
	v_trunc_f32_e32 v20, v17
	s_wait_alu 0xf1ff
	v_cndmask_b32_e64 v13, 0x7f800000, v13, s2
	v_cmp_eq_f32_e64 s2, v16, v14
	s_delay_alu instid0(VALU_DEP_3) | instskip(NEXT) | instid1(VALU_DEP_3)
	v_cmp_neq_f32_e64 s3, v20, v17
	v_fma_f32 v12, v13, v12, v13
	v_cmp_class_f32_e64 s4, v13, 0x204
	s_and_b32 s3, s2, s3
	s_wait_alu 0xfffe
	v_cndmask_b32_e64 v16, 1.0, v15, s3
	v_cndmask_b32_e64 v18, 0, v15, s3
	v_cndmask_b32_e64 v12, v12, v13, s4
	;; [unrolled: 1-line block ×3, first 2 shown]
	v_cmp_gt_f32_e64 s4, 0, v14
	v_cmp_class_f32_e64 s3, v15, 0x204
	s_delay_alu instid0(VALU_DEP_4) | instskip(SKIP_3) | instid1(VALU_DEP_2)
	v_bfi_b32 v12, 0x7fffffff, v12, v16
	s_xor_b32 s4, s4, s5
	s_wait_alu 0xfffe
	v_cndmask_b32_e64 v16, 0x7f800000, 0, s4
	v_cndmask_b32_e64 v17, 0x7fc00000, v12, s2
	v_cmp_neq_f32_e64 s2, |v15|, 1.0
	s_delay_alu instid0(VALU_DEP_3) | instskip(SKIP_1) | instid1(VALU_DEP_2)
	v_bfi_b32 v16, 0x7fffffff, v16, v18
	s_wait_alu 0xf1ff
	v_cndmask_b32_e64 v13, 1.0, v13, s2
	v_cmp_gt_f32_e64 s2, 0, v15
	s_wait_alu 0xf1ff
	s_delay_alu instid0(VALU_DEP_1) | instskip(SKIP_2) | instid1(VALU_DEP_1)
	v_cndmask_b32_e64 v12, v12, v17, s2
	v_cmp_class_f32_e64 s2, v14, 0x204
	s_wait_alu 0xf1ff
	v_cndmask_b32_e64 v12, v12, v13, s2
	s_or_b32 s2, s5, s3
	s_wait_alu 0xfffe
	s_delay_alu instid0(VALU_DEP_1) | instskip(SKIP_2) | instid1(VALU_DEP_1)
	v_cndmask_b32_e64 v12, v12, v16, s2
	v_cmp_o_f32_e64 s2, v15, v14
	s_wait_alu 0xf1ff
	v_cndmask_b32_e64 v12, 0x7fc00000, v12, s2
	s_delay_alu instid0(VALU_DEP_1)
	v_cvt_f16_f32_e32 v14, v12
	v_add_co_u32 v12, s2, v1, s14
	s_wait_alu 0xf1ff
	v_add_co_ci_u32_e64 v13, null, 0, v2, s2
	global_store_b16 v[12:13], v14, off
	s_or_b32 exec_lo, exec_lo, s6
	s_and_saveexec_b32 s5, vcc_lo
	s_cbranch_execz .LBB59_3
.LBB59_19:                              ;   in Loop: Header=BB59_4 Depth=1
	s_wait_loadcnt 0x0
	v_cmp_neq_f16_e32 vcc_lo, 1.0, v11
	v_cvt_f32_f16_e32 v11, v11
	s_wait_alu 0xfffd
	v_cndmask_b32_e64 v13, 1.0, s24, vcc_lo
	s_delay_alu instid0(VALU_DEP_1) | instskip(SKIP_3) | instid1(VALU_DEP_1)
	v_cmp_neq_f32_e32 vcc_lo, 0, v13
	v_cmp_neq_f32_e64 s6, v13, |v13|
	s_wait_alu 0xfffd
	v_cndmask_b32_e32 v14, 1.0, v11, vcc_lo
	v_frexp_mant_f32_e64 v11, |v14|
	s_delay_alu instid0(VALU_DEP_1) | instskip(SKIP_2) | instid1(VALU_DEP_1)
	v_cmp_gt_f32_e32 vcc_lo, 0x3f2aaaab, v11
	s_wait_alu 0xfffd
	v_cndmask_b32_e64 v12, 1.0, 2.0, vcc_lo
	v_mul_f32_e32 v11, v11, v12
	v_cmp_lt_f32_e64 s26, |v14|, 1.0
	v_cmp_eq_f32_e64 s4, 0, v14
	s_delay_alu instid0(VALU_DEP_3) | instskip(SKIP_2) | instid1(VALU_DEP_2)
	v_add_f32_e32 v12, 1.0, v11
	v_add_f32_e32 v16, -1.0, v11
	s_xor_b32 s6, s6, s26
	v_add_f32_e32 v18, -1.0, v12
	s_delay_alu instid0(VALU_DEP_1) | instskip(SKIP_1) | instid1(TRANS32_DEP_1)
	v_sub_f32_e32 v11, v11, v18
	v_rcp_f32_e32 v15, v12
	v_mul_f32_e32 v17, v16, v15
	s_delay_alu instid0(VALU_DEP_1) | instskip(NEXT) | instid1(VALU_DEP_1)
	v_mul_f32_e32 v19, v12, v17
	v_fma_f32 v12, v17, v12, -v19
	s_delay_alu instid0(VALU_DEP_1) | instskip(NEXT) | instid1(VALU_DEP_1)
	v_fmac_f32_e32 v12, v17, v11
	v_add_f32_e32 v11, v19, v12
	s_delay_alu instid0(VALU_DEP_1) | instskip(NEXT) | instid1(VALU_DEP_1)
	v_sub_f32_e32 v18, v16, v11
	v_dual_sub_f32 v16, v16, v18 :: v_dual_sub_f32 v19, v11, v19
	s_delay_alu instid0(VALU_DEP_1) | instskip(NEXT) | instid1(VALU_DEP_1)
	v_dual_sub_f32 v11, v16, v11 :: v_dual_sub_f32 v12, v19, v12
	v_add_f32_e32 v11, v12, v11
	s_delay_alu instid0(VALU_DEP_1) | instskip(NEXT) | instid1(VALU_DEP_1)
	v_add_f32_e32 v11, v18, v11
	v_mul_f32_e32 v11, v15, v11
	s_delay_alu instid0(VALU_DEP_1) | instskip(NEXT) | instid1(VALU_DEP_1)
	v_add_f32_e32 v15, v17, v11
	v_sub_f32_e32 v12, v15, v17
	s_delay_alu instid0(VALU_DEP_1) | instskip(NEXT) | instid1(VALU_DEP_1)
	v_sub_f32_e32 v17, v11, v12
	v_dual_mul_f32 v16, v15, v15 :: v_dual_add_f32 v11, v17, v17
	s_delay_alu instid0(VALU_DEP_1) | instskip(NEXT) | instid1(VALU_DEP_1)
	v_fma_f32 v18, v15, v15, -v16
	v_fmac_f32_e32 v18, v15, v11
	v_cvt_f64_f32_e64 v[11:12], |v14|
	s_delay_alu instid0(VALU_DEP_2) | instskip(NEXT) | instid1(VALU_DEP_1)
	v_add_f32_e32 v19, v16, v18
	v_fmaak_f32 v20, s25, v19, 0x3e91f4c4
	v_sub_f32_e32 v16, v19, v16
	s_delay_alu instid0(VALU_DEP_2) | instskip(NEXT) | instid1(VALU_DEP_2)
	v_fmaak_f32 v20, v19, v20, 0x3ecccdef
	v_sub_f32_e32 v16, v18, v16
	s_delay_alu instid0(VALU_DEP_2) | instskip(NEXT) | instid1(VALU_DEP_1)
	v_mul_f32_e32 v21, v19, v20
	v_fma_f32 v18, v19, v20, -v21
	s_delay_alu instid0(VALU_DEP_1) | instskip(NEXT) | instid1(VALU_DEP_1)
	v_dual_fmac_f32 v18, v16, v20 :: v_dual_mul_f32 v23, v15, v19
	v_add_f32_e32 v20, v21, v18
	v_frexp_exp_i32_f64_e32 v11, v[11:12]
	s_delay_alu instid0(VALU_DEP_2) | instskip(NEXT) | instid1(VALU_DEP_1)
	v_sub_f32_e32 v21, v20, v21
	v_sub_f32_e32 v12, v18, v21
	v_fma_f32 v21, v19, v15, -v23
	s_delay_alu instid0(VALU_DEP_1) | instskip(SKIP_2) | instid1(VALU_DEP_2)
	v_dual_add_f32 v12, 0x31739010, v12 :: v_dual_fmac_f32 v21, v19, v17
	v_add_f32_e32 v22, 0x3f2aaaaa, v20
	v_ldexp_f32 v17, v17, 1
	v_dual_fmac_f32 v21, v16, v15 :: v_dual_add_f32 v18, 0xbf2aaaaa, v22
	s_delay_alu instid0(VALU_DEP_1) | instskip(NEXT) | instid1(VALU_DEP_1)
	v_sub_f32_e32 v18, v20, v18
	v_add_f32_e32 v12, v12, v18
	s_delay_alu instid0(VALU_DEP_1) | instskip(SKIP_1) | instid1(VALU_DEP_2)
	v_add_f32_e32 v16, v22, v12
	v_subrev_co_ci_u32_e64 v11, null, 0, v11, vcc_lo
	v_sub_f32_e32 v19, v22, v16
	s_delay_alu instid0(VALU_DEP_2) | instskip(SKIP_1) | instid1(VALU_DEP_3)
	v_cvt_f32_i32_e32 v11, v11
	v_add_f32_e32 v18, v23, v21
	v_add_f32_e32 v12, v12, v19
	s_delay_alu instid0(VALU_DEP_2) | instskip(SKIP_1) | instid1(VALU_DEP_2)
	v_mul_f32_e32 v20, v18, v16
	v_sub_f32_e32 v22, v18, v23
	v_fma_f32 v19, v18, v16, -v20
	s_delay_alu instid0(VALU_DEP_2) | instskip(NEXT) | instid1(VALU_DEP_2)
	v_sub_f32_e32 v21, v21, v22
	v_fmac_f32_e32 v19, v18, v12
	v_ldexp_f32 v12, v15, 1
	s_delay_alu instid0(VALU_DEP_2) | instskip(NEXT) | instid1(VALU_DEP_1)
	v_fmac_f32_e32 v19, v21, v16
	v_add_f32_e32 v15, v20, v19
	s_delay_alu instid0(VALU_DEP_1) | instskip(SKIP_2) | instid1(VALU_DEP_3)
	v_add_f32_e32 v16, v12, v15
	v_sub_f32_e32 v18, v15, v20
	v_mul_f32_e32 v20, 0x3f317218, v11
	v_sub_f32_e32 v12, v16, v12
	s_delay_alu instid0(VALU_DEP_3) | instskip(NEXT) | instid1(VALU_DEP_3)
	v_sub_f32_e32 v18, v19, v18
	v_fma_f32 v19, 0x3f317218, v11, -v20
	s_delay_alu instid0(VALU_DEP_2) | instskip(NEXT) | instid1(VALU_DEP_2)
	v_dual_sub_f32 v12, v15, v12 :: v_dual_add_f32 v15, v17, v18
	v_fmac_f32_e32 v19, 0xb102e308, v11
	s_delay_alu instid0(VALU_DEP_2) | instskip(NEXT) | instid1(VALU_DEP_1)
	v_add_f32_e32 v11, v15, v12
	v_add_f32_e32 v15, v16, v11
	s_delay_alu instid0(VALU_DEP_1) | instskip(NEXT) | instid1(VALU_DEP_1)
	v_sub_f32_e32 v16, v15, v16
	v_dual_sub_f32 v11, v11, v16 :: v_dual_add_f32 v12, v20, v19
	s_delay_alu instid0(VALU_DEP_1) | instskip(NEXT) | instid1(VALU_DEP_1)
	v_sub_f32_e32 v20, v12, v20
	v_sub_f32_e32 v19, v19, v20
	v_add_f32_e32 v17, v12, v15
	s_delay_alu instid0(VALU_DEP_2) | instskip(NEXT) | instid1(VALU_DEP_2)
	v_add_f32_e32 v16, v19, v11
	v_sub_f32_e32 v18, v17, v12
	s_delay_alu instid0(VALU_DEP_1) | instskip(NEXT) | instid1(VALU_DEP_1)
	v_sub_f32_e32 v21, v17, v18
	v_dual_sub_f32 v15, v15, v18 :: v_dual_sub_f32 v12, v12, v21
	s_delay_alu instid0(VALU_DEP_1) | instskip(NEXT) | instid1(VALU_DEP_1)
	v_dual_add_f32 v12, v15, v12 :: v_dual_sub_f32 v15, v16, v19
	v_add_f32_e32 v12, v16, v12
	s_delay_alu instid0(VALU_DEP_2) | instskip(NEXT) | instid1(VALU_DEP_2)
	v_sub_f32_e32 v16, v16, v15
	v_dual_sub_f32 v11, v11, v15 :: v_dual_add_f32 v18, v17, v12
	s_delay_alu instid0(VALU_DEP_1) | instskip(NEXT) | instid1(VALU_DEP_1)
	v_dual_sub_f32 v15, v19, v16 :: v_dual_sub_f32 v16, v18, v17
	v_dual_add_f32 v11, v11, v15 :: v_dual_sub_f32 v12, v12, v16
	s_delay_alu instid0(VALU_DEP_1) | instskip(NEXT) | instid1(VALU_DEP_1)
	v_add_f32_e32 v11, v11, v12
	v_add_f32_e32 v12, v18, v11
	s_delay_alu instid0(VALU_DEP_1) | instskip(NEXT) | instid1(VALU_DEP_1)
	v_dual_sub_f32 v15, v12, v18 :: v_dual_mul_f32 v16, v13, v12
	v_sub_f32_e32 v11, v11, v15
	s_delay_alu instid0(VALU_DEP_2) | instskip(SKIP_1) | instid1(VALU_DEP_2)
	v_fma_f32 v12, v13, v12, -v16
	v_cmp_class_f32_e64 vcc_lo, v16, 0x204
	v_fmac_f32_e32 v12, v13, v11
	s_delay_alu instid0(VALU_DEP_1) | instskip(SKIP_1) | instid1(VALU_DEP_1)
	v_add_f32_e32 v11, v16, v12
	s_wait_alu 0xfffd
	v_cndmask_b32_e32 v15, v11, v16, vcc_lo
	s_delay_alu instid0(VALU_DEP_1) | instskip(SKIP_3) | instid1(VALU_DEP_2)
	v_cmp_eq_f32_e32 vcc_lo, 0x42b17218, v15
	s_wait_alu 0xfffd
	v_cndmask_b32_e64 v17, 0, 0x37000000, vcc_lo
	v_cmp_neq_f32_e64 vcc_lo, 0x7f800000, |v15|
	v_sub_f32_e32 v18, v15, v17
	v_sub_f32_e32 v11, v11, v16
	v_trunc_f32_e32 v15, v13
	s_delay_alu instid0(VALU_DEP_3) | instskip(NEXT) | instid1(VALU_DEP_3)
	v_mul_f32_e32 v19, 0x3fb8aa3b, v18
	v_sub_f32_e32 v11, v12, v11
	s_delay_alu instid0(VALU_DEP_2) | instskip(SKIP_2) | instid1(VALU_DEP_3)
	v_fma_f32 v20, 0x3fb8aa3b, v18, -v19
	v_rndne_f32_e32 v21, v19
	s_wait_alu 0xfffd
	v_cndmask_b32_e32 v11, 0, v11, vcc_lo
	v_cmp_ngt_f32_e32 vcc_lo, 0xc2ce8ed0, v18
	s_delay_alu instid0(VALU_DEP_3) | instskip(SKIP_1) | instid1(VALU_DEP_4)
	v_dual_fmac_f32 v20, 0x32a5705f, v18 :: v_dual_sub_f32 v19, v19, v21
	v_cvt_i32_f32_e32 v16, v21
	v_add_f32_e32 v11, v17, v11
	s_delay_alu instid0(VALU_DEP_3) | instskip(NEXT) | instid1(VALU_DEP_1)
	v_add_f32_e32 v19, v19, v20
	v_exp_f32_e32 v19, v19
	s_delay_alu instid0(TRANS32_DEP_1) | instskip(SKIP_2) | instid1(VALU_DEP_2)
	v_ldexp_f32 v12, v19, v16
	v_mul_f32_e32 v16, 0.5, v13
	s_wait_alu 0xfffd
	v_cndmask_b32_e32 v12, 0, v12, vcc_lo
	v_cmp_nlt_f32_e32 vcc_lo, 0x42b17218, v18
	s_delay_alu instid0(VALU_DEP_3) | instskip(SKIP_1) | instid1(VALU_DEP_3)
	v_trunc_f32_e32 v19, v16
	s_wait_alu 0xfffd
	v_cndmask_b32_e32 v12, 0x7f800000, v12, vcc_lo
	v_cmp_eq_f32_e32 vcc_lo, v15, v13
	s_delay_alu instid0(VALU_DEP_3) | instskip(NEXT) | instid1(VALU_DEP_3)
	v_cmp_neq_f32_e64 s2, v19, v16
	v_fma_f32 v11, v12, v11, v12
	v_cmp_class_f32_e64 s3, v12, 0x204
	s_and_b32 s2, vcc_lo, s2
	s_wait_alu 0xfffe
	v_cndmask_b32_e64 v15, 1.0, v14, s2
	v_cndmask_b32_e64 v17, 0, v14, s2
	v_cndmask_b32_e64 v11, v11, v12, s3
	;; [unrolled: 1-line block ×3, first 2 shown]
	v_cmp_gt_f32_e64 s3, 0, v13
	v_cmp_class_f32_e64 s2, v14, 0x204
	s_delay_alu instid0(VALU_DEP_4) | instskip(SKIP_3) | instid1(VALU_DEP_2)
	v_bfi_b32 v11, 0x7fffffff, v11, v15
	s_xor_b32 s3, s3, s4
	s_wait_alu 0xfffe
	v_cndmask_b32_e64 v15, 0x7f800000, 0, s3
	v_cndmask_b32_e32 v16, 0x7fc00000, v11, vcc_lo
	v_cmp_neq_f32_e64 vcc_lo, |v14|, 1.0
	s_delay_alu instid0(VALU_DEP_3)
	v_bfi_b32 v15, 0x7fffffff, v15, v17
	s_wait_alu 0xfffd
	v_cndmask_b32_e32 v12, 1.0, v12, vcc_lo
	v_cmp_gt_f32_e32 vcc_lo, 0, v14
	s_wait_alu 0xfffd
	v_cndmask_b32_e32 v11, v11, v16, vcc_lo
	v_cmp_class_f32_e64 vcc_lo, v13, 0x204
	s_wait_alu 0xfffd
	s_delay_alu instid0(VALU_DEP_2) | instskip(SKIP_2) | instid1(VALU_DEP_1)
	v_cndmask_b32_e32 v11, v11, v12, vcc_lo
	s_or_b32 vcc_lo, s4, s2
	s_wait_alu 0xfffe
	v_cndmask_b32_e32 v11, v11, v15, vcc_lo
	v_cmp_o_f32_e32 vcc_lo, v14, v13
	s_wait_alu 0xfffd
	s_delay_alu instid0(VALU_DEP_2) | instskip(NEXT) | instid1(VALU_DEP_1)
	v_cndmask_b32_e32 v11, 0x7fc00000, v11, vcc_lo
	v_cvt_f16_f32_e32 v13, v11
	v_add_co_u32 v11, vcc_lo, v1, s20
	s_wait_alu 0xfffd
	v_add_co_ci_u32_e64 v12, null, s21, v2, vcc_lo
	global_store_b16 v[11:12], v13, off
	s_branch .LBB59_3
.LBB59_20:
	s_cbranch_execz .LBB59_22
	s_branch .LBB59_25
.LBB59_21:
.LBB59_22:
	v_cmp_gt_i64_e64 s2, 0x10000, s[12:13]
	v_dual_mov_b32 v2, 0 :: v_dual_lshlrev_b32 v1, 2, v0
	s_mov_b32 s18, 0
	s_and_b32 s2, s2, exec_lo
	s_cselect_b32 s17, s13, 0
	s_cselect_b32 s16, s12, 0x10000
	s_mov_b32 s2, exec_lo
	s_wait_alu 0xfffe
	v_cmpx_gt_i64_e64 s[16:17], v[1:2]
	s_cbranch_execz .LBB59_25
; %bb.23:
	s_load_b32 s2, s[0:1], 0xd3c
	v_lshlrev_b32_e32 v1, 3, v0
	s_add_nc_u64 s[0:1], s[8:9], s[10:11]
	s_mov_b32 s21, 0x3e76c4e1
	s_delay_alu instid0(VALU_DEP_1) | instskip(SKIP_3) | instid1(VALU_DEP_3)
	v_add_co_u32 v3, s0, s0, v1
	s_wait_alu 0xf1ff
	v_add_co_ci_u32_e64 v4, null, s1, 0, s0
	v_mov_b32_e32 v1, v2
	v_add_co_u32 v2, vcc_lo, v3, 4
	s_wait_alu 0xfffd
	s_delay_alu instid0(VALU_DEP_3)
	v_add_co_ci_u32_e64 v3, null, 0, v4, vcc_lo
	s_wait_kmcnt 0x0
	s_and_b32 s19, s2, 0xffff
	s_wait_alu 0xfffe
	s_lshl_b32 s20, s19, 3
.LBB59_24:                              ; =>This Inner Loop Header: Depth=1
	s_clause 0x2
	global_load_b32 v8, v[2:3], off offset:-2
	global_load_b64 v[4:5], v[2:3], off offset:-4
	global_load_u16 v6, v[2:3], off offset:2
	s_wait_loadcnt 0x2
	v_lshrrev_b32_e32 v9, 16, v8
	s_wait_loadcnt 0x1
	v_cmp_neq_f16_e32 vcc_lo, 1.0, v4
	v_cvt_f32_f16_e32 v7, v4
	s_wait_loadcnt 0x0
	v_cvt_f32_f16_e32 v11, v6
	v_cvt_f32_f16_e32 v10, v8
	;; [unrolled: 1-line block ×3, first 2 shown]
	s_wait_alu 0xfffd
	v_cndmask_b32_e64 v4, 1.0, s24, vcc_lo
	v_cmp_neq_f16_e32 vcc_lo, 1.0, v8
	s_delay_alu instid0(VALU_DEP_2)
	v_trunc_f32_e32 v12, v4
	s_wait_alu 0xfffd
	v_cndmask_b32_e64 v5, 1.0, s24, vcc_lo
	v_cmp_neq_f16_e32 vcc_lo, 1.0, v6
	v_cmp_neq_f32_e64 s11, v4, |v4|
	v_cmp_gt_f32_e64 s4, 0, v4
	v_cmp_eq_f32_e64 s2, v12, v4
	v_trunc_f32_e32 v14, v5
	s_wait_alu 0xfffd
	v_cndmask_b32_e64 v6, 1.0, s24, vcc_lo
	v_cmp_neq_f32_e32 vcc_lo, 0, v4
	v_mul_f32_e32 v15, 0.5, v5
	v_cmp_neq_f32_e64 s13, v5, |v5|
	v_cmp_eq_f32_e64 s3, v14, v5
	v_cmp_gt_f32_e64 s7, 0, v6
	s_wait_alu 0xfffd
	v_cndmask_b32_e32 v7, 1.0, v7, vcc_lo
	v_cmp_neq_f32_e32 vcc_lo, 0, v5
	v_mul_f32_e32 v18, 0.5, v6
	v_trunc_f32_e32 v14, v15
	v_trunc_f32_e32 v17, v6
	v_cmp_gt_f32_e64 s6, 0, v5
	s_wait_alu 0xfffd
	v_cndmask_b32_e32 v8, 1.0, v10, vcc_lo
	v_cmp_neq_f16_e32 vcc_lo, 1.0, v9
	v_cmp_lt_f32_e64 s12, |v7|, 1.0
	v_frexp_mant_f32_e64 v19, |v7|
	v_cmp_eq_f32_e64 s5, v17, v6
	v_frexp_mant_f32_e64 v20, |v8|
	s_wait_alu 0xfffd
	v_cndmask_b32_e64 v9, 1.0, s24, vcc_lo
	v_cmp_neq_f32_e32 vcc_lo, 0, v6
	v_mul_f32_e32 v13, 0.5, v4
	v_cmp_lt_f32_e64 s14, |v8|, 1.0
	s_xor_b32 s11, s11, s12
	v_cmp_neq_f32_e64 s1, 0, v9
	s_wait_alu 0xfffd
	v_cndmask_b32_e32 v10, 1.0, v11, vcc_lo
	v_trunc_f32_e32 v12, v13
	v_cmp_eq_f32_e32 vcc_lo, 0, v7
	v_cmp_gt_f32_e64 s9, 0x3f2aaaab, v19
	s_wait_alu 0xf1ff
	v_cndmask_b32_e64 v11, 1.0, v16, s1
	v_cmp_eq_f32_e64 s1, 0, v10
	v_cmp_neq_f32_e64 s10, v12, v13
	v_frexp_mant_f32_e64 v30, |v10|
	s_wait_alu 0xfffe
	v_cndmask_b32_e64 v12, 0x7f800000, 0, s11
	v_cmp_gt_f32_e64 s11, 0x3f2aaaab, v20
	s_xor_b32 s7, s7, s1
	v_cmp_neq_f32_e64 s12, v14, v15
	s_wait_alu 0xfffe
	v_cndmask_b32_e64 v36, 0x7f800000, 0, s7
	s_and_b32 s7, s2, s10
	v_cmp_neq_f32_e64 s10, |v7|, 1.0
	v_cmp_eq_f32_e64 s0, 0, v8
	s_xor_b32 s4, s4, vcc_lo
	v_cvt_f64_f32_e64 v[24:25], |v8|
	s_wait_alu 0xfffe
	v_cndmask_b32_e64 v32, 0x7f800000, 0, s4
	s_xor_b32 s4, s13, s14
	v_trunc_f32_e32 v17, v18
	v_cndmask_b32_e64 v31, 1.0, 2.0, s9
	v_cndmask_b32_e64 v13, 1.0, 2.0, s11
	s_wait_alu 0xfffe
	v_cndmask_b32_e64 v14, 0x7f800000, 0, s4
	v_frexp_mant_f32_e64 v34, |v11|
	v_cmp_gt_f32_e64 s13, 0x3f2aaaab, v30
	v_cndmask_b32_e64 v12, 1.0, v12, s10
	s_and_b32 s10, s3, s12
	v_cmp_neq_f32_e64 s12, |v8|, 1.0
	s_xor_b32 s4, s6, s0
	v_cmp_neq_f32_e64 s15, v6, |v6|
	v_cmp_gt_f32_e64 s8, 0, v9
	v_cmp_lt_f32_e64 s28, |v10|, 1.0
	s_wait_alu 0xfffe
	v_cndmask_b32_e64 v33, 0x7f800000, 0, s4
	v_cmp_eq_f32_e64 s4, 0, v11
	v_cndmask_b32_e64 v35, 1.0, 2.0, s13
	v_cmp_neq_f32_e64 s14, v17, v18
	v_mul_f32_e32 v37, v20, v13
	v_mul_f32_e32 v31, v19, v31
	v_cndmask_b32_e64 v13, 1.0, v14, s12
	v_cmp_gt_f32_e64 s12, 0x3f2aaaab, v34
	s_xor_b32 s15, s15, s28
	s_xor_b32 s8, s8, s4
	v_dual_mul_f32 v21, 0.5, v9 :: v_dual_mul_f32 v30, v30, v35
	s_wait_alu 0xfffe
	v_cndmask_b32_e64 v18, 0x7f800000, 0, s15
	v_cndmask_b32_e64 v38, 1.0, 2.0, s12
	v_cndmask_b32_e64 v19, 0x7f800000, 0, s8
	s_and_b32 s8, s5, s14
	v_cmp_neq_f32_e64 s14, |v10|, 1.0
	v_add_f32_e32 v42, -1.0, v37
	v_dual_add_f32 v40, -1.0, v31 :: v_dual_add_f32 v43, 1.0, v37
	v_cvt_f64_f32_e64 v[22:23], |v7|
	s_wait_alu 0xf1ff
	v_cndmask_b32_e64 v14, 1.0, v18, s14
	v_cndmask_b32_e64 v18, 0, v7, s7
	v_dual_add_f32 v41, 1.0, v31 :: v_dual_mul_f32 v34, v34, v38
	v_add_f32_e32 v38, -1.0, v30
	v_rcp_f32_e32 v47, v43
	s_delay_alu instid0(VALU_DEP_3) | instskip(NEXT) | instid1(VALU_DEP_3)
	v_bfi_b32 v18, 0x7fffffff, v32, v18
	v_add_f32_e32 v32, -1.0, v41
	v_add_f32_e32 v44, 1.0, v30
	v_cvt_f64_f32_e64 v[26:27], |v10|
	v_cvt_f64_f32_e64 v[28:29], |v11|
	s_delay_alu instid0(VALU_DEP_4) | instskip(NEXT) | instid1(VALU_DEP_4)
	v_dual_add_f32 v48, 1.0, v34 :: v_dual_sub_f32 v31, v31, v32
	v_rcp_f32_e32 v49, v44
	v_rcp_f32_e32 v45, v41
	s_delay_alu instid0(TRANS32_DEP_3) | instskip(SKIP_3) | instid1(VALU_DEP_3)
	v_mul_f32_e32 v53, v42, v47
	v_dual_add_f32 v46, -1.0, v43 :: v_dual_add_f32 v51, -1.0, v44
	v_rcp_f32_e32 v32, v48
	v_frexp_exp_i32_f64_e32 v24, v[24:25]
	v_mul_f32_e32 v54, v43, v53
	v_add_f32_e32 v50, -1.0, v34
	v_cndmask_b32_e64 v35, 0, v8, s10
	v_trunc_f32_e32 v16, v9
	s_delay_alu instid0(TRANS32_DEP_2)
	v_mul_f32_e32 v52, v40, v45
	v_fma_f32 v25, v53, v43, -v54
	v_sub_f32_e32 v30, v30, v51
	v_mul_f32_e32 v51, v38, v49
	v_dual_sub_f32 v37, v37, v46 :: v_dual_add_f32 v46, -1.0, v48
	v_mul_f32_e32 v55, v50, v32
	v_cmp_eq_f32_e64 s6, v16, v9
	v_trunc_f32_e32 v16, v21
	s_delay_alu instid0(VALU_DEP_4)
	v_dual_fmac_f32 v25, v53, v37 :: v_dual_mul_f32 v56, v44, v51
	v_sub_f32_e32 v34, v34, v46
	v_cndmask_b32_e64 v15, 1.0, v7, s7
	v_frexp_exp_i32_f64_e32 v22, v[22:23]
	v_cmp_neq_f32_e64 s15, v16, v21
	v_fma_f32 v43, v51, v44, -v56
	v_mul_f32_e32 v46, v41, v52
	s_wait_alu 0xfffe
	v_cndmask_b32_e64 v39, 0, v10, s8
	v_cmp_class_f32_e64 s22, v7, 0x204
	s_and_b32 s7, s6, s15
	v_fmac_f32_e32 v43, v51, v30
	v_fma_f32 v23, v52, v41, -v46
	v_mul_f32_e32 v41, v48, v55
	v_frexp_exp_i32_f64_e32 v26, v[26:27]
	v_frexp_exp_i32_f64_e32 v28, v[28:29]
	s_wait_alu 0xfffe
	v_cndmask_b32_e64 v21, 1.0, v11, s7
	v_fmac_f32_e32 v23, v52, v31
	v_fma_f32 v27, v55, v48, -v41
	v_add_f32_e32 v31, v56, v43
	v_add_f32_e32 v29, v54, v25
	s_or_b32 vcc_lo, vcc_lo, s22
	s_delay_alu instid0(VALU_DEP_3) | instskip(SKIP_1) | instid1(VALU_DEP_3)
	v_dual_add_f32 v30, v46, v23 :: v_dual_fmac_f32 v27, v55, v34
	v_subrev_co_ci_u32_e64 v24, null, 0, v24, s11
	v_sub_f32_e32 v44, v29, v54
	s_delay_alu instid0(VALU_DEP_3) | instskip(SKIP_1) | instid1(VALU_DEP_4)
	v_sub_f32_e32 v34, v30, v46
	v_dual_sub_f32 v37, v40, v30 :: v_dual_sub_f32 v46, v42, v29
	v_cvt_f32_i32_e32 v24, v24
	s_delay_alu instid0(VALU_DEP_4) | instskip(NEXT) | instid1(VALU_DEP_4)
	v_sub_f32_e32 v25, v44, v25
	v_sub_f32_e32 v23, v34, v23
	v_cndmask_b32_e64 v17, 1.0, v8, s10
	v_sub_f32_e32 v34, v42, v46
	v_add_f32_e32 v48, v41, v27
	v_cndmask_b32_e64 v20, 1.0, v10, s8
	v_cmp_neq_f32_e64 s27, v9, |v9|
	v_cmp_lt_f32_e64 s29, |v11|, 1.0
	v_dual_sub_f32 v29, v34, v29 :: v_dual_sub_f32 v54, v31, v56
	v_sub_f32_e32 v41, v48, v41
	v_sub_f32_e32 v40, v40, v37
	s_delay_alu instid0(VALU_DEP_3) | instskip(NEXT) | instid1(VALU_DEP_4)
	v_dual_sub_f32 v42, v50, v48 :: v_dual_add_f32 v25, v25, v29
	v_sub_f32_e32 v43, v54, v43
	s_delay_alu instid0(VALU_DEP_3) | instskip(SKIP_1) | instid1(VALU_DEP_4)
	v_dual_sub_f32 v27, v41, v27 :: v_dual_sub_f32 v30, v40, v30
	v_sub_f32_e32 v56, v38, v31
	v_sub_f32_e32 v34, v50, v42
	v_subrev_co_ci_u32_e64 v22, null, 0, v22, s9
	s_delay_alu instid0(VALU_DEP_3) | instskip(SKIP_1) | instid1(VALU_DEP_3)
	v_dual_add_f32 v23, v23, v30 :: v_dual_sub_f32 v38, v38, v56
	v_subrev_co_ci_u32_e64 v28, null, 0, v28, s12
	v_cvt_f32_i32_e32 v22, v22
	s_delay_alu instid0(VALU_DEP_3) | instskip(NEXT) | instid1(VALU_DEP_4)
	v_add_f32_e32 v23, v37, v23
	v_sub_f32_e32 v31, v38, v31
	v_sub_f32_e32 v29, v34, v48
	v_cvt_f32_i32_e32 v28, v28
	s_delay_alu instid0(VALU_DEP_4) | instskip(NEXT) | instid1(VALU_DEP_4)
	v_dual_mul_f32 v34, 0x3f317218, v22 :: v_dual_mul_f32 v23, v45, v23
	v_dual_add_f32 v30, v43, v31 :: v_dual_add_f32 v25, v46, v25
	s_delay_alu instid0(VALU_DEP_4) | instskip(SKIP_2) | instid1(VALU_DEP_4)
	v_add_f32_e32 v27, v27, v29
	v_bfi_b32 v31, 0x7fffffff, v33, v35
	v_subrev_co_ci_u32_e64 v26, null, 0, v26, s13
	v_add_f32_e32 v29, v56, v30
	v_dual_add_f32 v30, v52, v23 :: v_dual_mul_f32 v25, v47, v25
	s_delay_alu instid0(VALU_DEP_3)
	v_cvt_f32_i32_e32 v26, v26
	v_cmp_class_f32_e64 s23, v8, 0x204
	s_xor_b32 s27, s27, s29
	v_dual_sub_f32 v38, v30, v52 :: v_dual_mul_f32 v29, v49, v29
	v_dual_mul_f32 v40, v30, v30 :: v_dual_add_f32 v33, v53, v25
	v_add_f32_e32 v27, v42, v27
	v_fma_f32 v49, 0x3f317218, v22, -v34
	v_ldexp_f32 v41, v30, 1
	s_wait_alu 0xfffe
	v_cndmask_b32_e64 v16, 0x7f800000, 0, s27
	v_dual_sub_f32 v42, v33, v53 :: v_dual_mul_f32 v27, v32, v27
	v_dual_add_f32 v32, v51, v29 :: v_dual_fmac_f32 v49, 0xb102e308, v22
	v_cmp_neq_f32_e64 s8, |v11|, 1.0
	v_cmp_class_f32_e64 s25, v10, 0x204
	v_cmp_class_f32_e64 s26, v11, 0x204
	s_delay_alu instid0(VALU_DEP_4) | instskip(SKIP_3) | instid1(VALU_DEP_4)
	v_dual_sub_f32 v46, v32, v51 :: v_dual_mul_f32 v51, 0x3f317218, v28
	v_add_f32_e32 v60, v34, v49
	v_ldexp_f32 v48, v32, 1
	v_ldexp_f32 v44, v33, 1
	v_sub_f32_e32 v29, v29, v46
	v_fma_f32 v22, 0x3f317218, v28, -v51
	v_sub_f32_e32 v23, v23, v38
	v_fma_f32 v38, v30, v30, -v40
	s_delay_alu instid0(VALU_DEP_4) | instskip(NEXT) | instid1(VALU_DEP_4)
	v_dual_mul_f32 v47, v32, v32 :: v_dual_add_f32 v58, v29, v29
	v_fmac_f32_e32 v22, 0xb102e308, v28
	v_mul_f32_e32 v35, 0x3f317218, v24
	s_wait_alu 0xf1ff
	v_cndmask_b32_e64 v16, 1.0, v16, s8
	v_fma_f32 v46, v32, v32, -v47
	s_delay_alu instid0(VALU_DEP_3) | instskip(NEXT) | instid1(VALU_DEP_2)
	v_fma_f32 v50, 0x3f317218, v24, -v35
	v_dual_mul_f32 v43, v33, v33 :: v_dual_fmac_f32 v46, v32, v58
	s_delay_alu instid0(VALU_DEP_2) | instskip(SKIP_1) | instid1(VALU_DEP_3)
	v_fmac_f32_e32 v50, 0xb102e308, v24
	v_dual_add_f32 v24, v23, v23 :: v_dual_sub_f32 v25, v25, v42
	v_fma_f32 v42, v33, v33, -v43
	s_delay_alu instid0(VALU_DEP_2) | instskip(NEXT) | instid1(VALU_DEP_3)
	v_dual_fmac_f32 v38, v30, v24 :: v_dual_mul_f32 v37, 0x3f317218, v26
	v_add_f32_e32 v56, v25, v25
	v_ldexp_f32 v57, v25, 1
	s_delay_alu instid0(VALU_DEP_3) | instskip(NEXT) | instid1(VALU_DEP_3)
	v_fma_f32 v52, 0x3f317218, v26, -v37
	v_dual_add_f32 v45, v55, v27 :: v_dual_fmac_f32 v42, v33, v56
	s_delay_alu instid0(VALU_DEP_1) | instskip(SKIP_3) | instid1(VALU_DEP_4)
	v_dual_fmac_f32 v52, 0xb102e308, v26 :: v_dual_sub_f32 v53, v45, v55
	v_mul_f32_e32 v54, v45, v45
	v_ldexp_f32 v26, v23, 1
	v_ldexp_f32 v55, v45, 1
	v_dual_add_f32 v28, v37, v52 :: v_dual_sub_f32 v27, v27, v53
	s_delay_alu instid0(VALU_DEP_4) | instskip(NEXT) | instid1(VALU_DEP_2)
	v_fma_f32 v53, v45, v45, -v54
	v_dual_add_f32 v58, v51, v22 :: v_dual_sub_f32 v37, v28, v37
	s_delay_alu instid0(VALU_DEP_3) | instskip(SKIP_3) | instid1(VALU_DEP_4)
	v_add_f32_e32 v24, v27, v27
	v_add_f32_e32 v62, v40, v38
	v_ldexp_f32 v59, v29, 1
	v_ldexp_f32 v56, v27, 1
	v_fmac_f32_e32 v53, v45, v24
	s_delay_alu instid0(VALU_DEP_4) | instskip(SKIP_1) | instid1(VALU_DEP_3)
	v_dual_add_f32 v61, v35, v50 :: v_dual_sub_f32 v40, v62, v40
	v_sub_f32_e32 v34, v60, v34
	v_dual_add_f32 v63, v43, v42 :: v_dual_add_f32 v66, v54, v53
	s_delay_alu instid0(VALU_DEP_3) | instskip(NEXT) | instid1(VALU_DEP_3)
	v_dual_sub_f32 v35, v61, v35 :: v_dual_add_f32 v24, v47, v46
	v_dual_sub_f32 v34, v49, v34 :: v_dual_sub_f32 v49, v58, v51
	s_delay_alu instid0(VALU_DEP_3) | instskip(NEXT) | instid1(VALU_DEP_3)
	v_dual_mul_f32 v51, v30, v62 :: v_dual_fmaak_f32 v64, s21, v63, 0x3e91f4c4
	v_dual_sub_f32 v35, v50, v35 :: v_dual_fmaak_f32 v50, s21, v62, 0x3e91f4c4
	v_sub_f32_e32 v43, v63, v43
	v_dual_mul_f32 v65, v33, v63 :: v_dual_mul_f32 v68, v32, v24
	v_fmaak_f32 v67, s21, v24, 0x3e91f4c4
	s_delay_alu instid0(VALU_DEP_4)
	v_dual_sub_f32 v47, v24, v47 :: v_dual_fmaak_f32 v50, v62, v50, 0x3ecccdef
	v_dual_sub_f32 v38, v38, v40 :: v_dual_fmaak_f32 v69, s21, v66, 0x3e91f4c4
	v_fma_f32 v40, v62, v30, -v51
	v_sub_f32_e32 v42, v42, v43
	v_fma_f32 v43, v63, v33, -v65
	v_dual_fmaak_f32 v64, v63, v64, 0x3ecccdef :: v_dual_fmaak_f32 v67, v24, v67, 0x3ecccdef
	v_sub_f32_e32 v54, v66, v54
	s_delay_alu instid0(VALU_DEP_3)
	v_dual_mul_f32 v70, v45, v66 :: v_dual_fmac_f32 v43, v63, v25
	v_sub_f32_e32 v46, v46, v47
	v_fma_f32 v47, v24, v32, -v68
	v_dual_fmac_f32 v40, v62, v23 :: v_dual_mul_f32 v25, v63, v64
	v_sub_f32_e32 v53, v53, v54
	v_fma_f32 v54, v66, v45, -v70
	s_delay_alu instid0(VALU_DEP_4) | instskip(NEXT) | instid1(VALU_DEP_4)
	v_fmac_f32_e32 v47, v24, v29
	v_dual_mul_f32 v29, v24, v67 :: v_dual_fmac_f32 v40, v38, v30
	v_mul_f32_e32 v23, v62, v50
	s_delay_alu instid0(VALU_DEP_4) | instskip(NEXT) | instid1(VALU_DEP_4)
	v_fmac_f32_e32 v54, v66, v27
	v_fmac_f32_e32 v47, v46, v32
	s_delay_alu instid0(VALU_DEP_4)
	v_fma_f32 v24, v24, v67, -v29
	v_add_f32_e32 v32, v51, v40
	v_fma_f32 v30, v62, v50, -v23
	v_fmac_f32_e32 v43, v42, v33
	v_fma_f32 v33, v63, v64, -v25
	v_fmac_f32_e32 v24, v46, v67
	v_dual_sub_f32 v46, v32, v51 :: v_dual_fmaak_f32 v69, v66, v69, 0x3ecccdef
	v_fmac_f32_e32 v30, v38, v50
	v_add_f32_e32 v38, v65, v43
	v_dual_fmac_f32 v54, v53, v45 :: v_dual_add_f32 v45, v68, v47
	s_delay_alu instid0(VALU_DEP_3) | instskip(SKIP_1) | instid1(VALU_DEP_4)
	v_dual_mul_f32 v27, v66, v69 :: v_dual_add_f32 v50, v23, v30
	v_fmac_f32_e32 v33, v42, v64
	v_sub_f32_e32 v51, v38, v65
	s_delay_alu instid0(VALU_DEP_4) | instskip(NEXT) | instid1(VALU_DEP_4)
	v_add_f32_e32 v63, v70, v54
	v_fma_f32 v42, v66, v69, -v27
	v_dual_sub_f32 v40, v40, v46 :: v_dual_sub_f32 v23, v50, v23
	s_delay_alu instid0(VALU_DEP_4) | instskip(NEXT) | instid1(VALU_DEP_3)
	v_dual_add_f32 v46, 0x3f2aaaaa, v50 :: v_dual_sub_f32 v43, v43, v51
	v_fmac_f32_e32 v42, v53, v69
	v_add_f32_e32 v62, v25, v33
	v_dual_sub_f32 v53, v45, v68 :: v_dual_sub_f32 v22, v22, v49
	s_delay_alu instid0(VALU_DEP_2) | instskip(SKIP_1) | instid1(VALU_DEP_2)
	v_dual_add_f32 v66, v27, v42 :: v_dual_sub_f32 v25, v62, v25
	v_dual_add_f32 v51, 0x3f2aaaaa, v62 :: v_dual_add_f32 v64, v29, v24
	v_dual_add_f32 v68, 0x3f2aaaaa, v66 :: v_dual_sub_f32 v23, v30, v23
	s_delay_alu instid0(VALU_DEP_2) | instskip(SKIP_2) | instid1(VALU_DEP_3)
	v_dual_add_f32 v30, 0xbf2aaaaa, v46 :: v_dual_sub_f32 v29, v64, v29
	v_sub_f32_e32 v65, v63, v70
	v_add_f32_e32 v67, 0x3f2aaaaa, v64
	v_dual_sub_f32 v25, v33, v25 :: v_dual_sub_f32 v30, v50, v30
	s_delay_alu instid0(VALU_DEP_4) | instskip(NEXT) | instid1(VALU_DEP_1)
	v_dual_sub_f32 v24, v24, v29 :: v_dual_sub_f32 v27, v66, v27
	v_dual_add_f32 v25, 0x31739010, v25 :: v_dual_add_f32 v24, 0x31739010, v24
	s_delay_alu instid0(VALU_DEP_2) | instskip(SKIP_2) | instid1(VALU_DEP_3)
	v_dual_sub_f32 v27, v42, v27 :: v_dual_add_f32 v42, 0xbf2aaaaa, v68
	v_add_f32_e32 v33, 0xbf2aaaaa, v51
	v_add_f32_e32 v23, 0x31739010, v23
	;; [unrolled: 1-line block ×3, first 2 shown]
	s_delay_alu instid0(VALU_DEP_2) | instskip(SKIP_2) | instid1(VALU_DEP_2)
	v_add_f32_e32 v23, v23, v30
	v_sub_f32_e32 v30, v66, v42
	v_sub_f32_e32 v33, v62, v33
	v_add_f32_e32 v27, v27, v30
	s_delay_alu instid0(VALU_DEP_2) | instskip(NEXT) | instid1(VALU_DEP_1)
	v_add_f32_e32 v25, v25, v33
	v_dual_add_f32 v29, 0xbf2aaaaa, v67 :: v_dual_add_f32 v42, v51, v25
	s_delay_alu instid0(VALU_DEP_1) | instskip(NEXT) | instid1(VALU_DEP_1)
	v_dual_sub_f32 v29, v64, v29 :: v_dual_sub_f32 v50, v51, v42
	v_add_f32_e32 v24, v24, v29
	s_delay_alu instid0(VALU_DEP_1) | instskip(NEXT) | instid1(VALU_DEP_1)
	v_add_f32_e32 v30, v67, v24
	v_sub_f32_e32 v62, v67, v30
	v_mul_f32_e32 v64, v45, v30
	s_delay_alu instid0(VALU_DEP_2) | instskip(NEXT) | instid1(VALU_DEP_2)
	v_add_f32_e32 v24, v24, v62
	v_fma_f32 v62, v45, v30, -v64
	v_add_f32_e32 v29, v46, v23
	v_add_f32_e32 v25, v25, v50
	s_delay_alu instid0(VALU_DEP_3) | instskip(NEXT) | instid1(VALU_DEP_3)
	v_dual_fmac_f32 v62, v45, v24 :: v_dual_mul_f32 v51, v38, v42
	v_sub_f32_e32 v46, v46, v29
	v_sub_f32_e32 v24, v54, v65
	s_delay_alu instid0(VALU_DEP_3) | instskip(NEXT) | instid1(VALU_DEP_3)
	v_fma_f32 v50, v38, v42, -v51
	v_add_f32_e32 v23, v23, v46
	v_sub_f32_e32 v33, v47, v53
	s_delay_alu instid0(VALU_DEP_3) | instskip(SKIP_1) | instid1(VALU_DEP_2)
	v_fmac_f32_e32 v50, v38, v25
	v_mul_f32_e32 v47, v32, v29
	v_dual_add_f32 v53, v68, v27 :: v_dual_fmac_f32 v50, v43, v42
	s_delay_alu instid0(VALU_DEP_2) | instskip(NEXT) | instid1(VALU_DEP_2)
	v_fma_f32 v46, v32, v29, -v47
	v_sub_f32_e32 v66, v68, v53
	s_delay_alu instid0(VALU_DEP_2) | instskip(SKIP_1) | instid1(VALU_DEP_2)
	v_dual_fmac_f32 v46, v32, v23 :: v_dual_mul_f32 v67, v63, v53
	v_fmac_f32_e32 v62, v33, v30
	v_dual_add_f32 v23, v27, v66 :: v_dual_fmac_f32 v46, v40, v29
	s_delay_alu instid0(VALU_DEP_3) | instskip(NEXT) | instid1(VALU_DEP_1)
	v_fma_f32 v25, v63, v53, -v67
	v_fmac_f32_e32 v25, v63, v23
	s_delay_alu instid0(VALU_DEP_1) | instskip(SKIP_1) | instid1(VALU_DEP_2)
	v_fmac_f32_e32 v25, v24, v53
	v_add_f32_e32 v24, v64, v62
	v_add_f32_e32 v38, v67, v25
	s_delay_alu instid0(VALU_DEP_2) | instskip(SKIP_3) | instid1(VALU_DEP_4)
	v_dual_sub_f32 v40, v24, v64 :: v_dual_add_f32 v29, v51, v50
	v_add_f32_e32 v23, v47, v46
	v_sub_f32_e32 v27, v52, v37
	v_add_f32_e32 v42, v48, v24
	v_dual_sub_f32 v40, v62, v40 :: v_dual_sub_f32 v33, v29, v51
	s_delay_alu instid0(VALU_DEP_1) | instskip(NEXT) | instid1(VALU_DEP_1)
	v_dual_add_f32 v37, v44, v29 :: v_dual_add_f32 v40, v59, v40
	v_dual_sub_f32 v43, v37, v44 :: v_dual_sub_f32 v44, v38, v67
	v_sub_f32_e32 v30, v23, v47
	v_add_f32_e32 v32, v41, v23
	s_delay_alu instid0(VALU_DEP_2) | instskip(NEXT) | instid1(VALU_DEP_2)
	v_dual_sub_f32 v29, v29, v43 :: v_dual_sub_f32 v30, v46, v30
	v_dual_sub_f32 v41, v32, v41 :: v_dual_sub_f32 v46, v42, v48
	v_sub_f32_e32 v33, v50, v33
	s_delay_alu instid0(VALU_DEP_3) | instskip(NEXT) | instid1(VALU_DEP_3)
	v_add_f32_e32 v26, v26, v30
	v_dual_sub_f32 v24, v24, v46 :: v_dual_sub_f32 v23, v23, v41
	s_delay_alu instid0(VALU_DEP_3) | instskip(NEXT) | instid1(VALU_DEP_2)
	v_dual_add_f32 v45, v55, v38 :: v_dual_add_f32 v30, v57, v33
	v_dual_add_f32 v24, v40, v24 :: v_dual_add_f32 v23, v26, v23
	v_sub_f32_e32 v25, v25, v44
	s_delay_alu instid0(VALU_DEP_3) | instskip(NEXT) | instid1(VALU_DEP_3)
	v_dual_sub_f32 v33, v45, v55 :: v_dual_add_f32 v26, v30, v29
	v_add_f32_e32 v30, v32, v23
	s_delay_alu instid0(VALU_DEP_3) | instskip(NEXT) | instid1(VALU_DEP_3)
	v_add_f32_e32 v25, v56, v25
	v_sub_f32_e32 v29, v38, v33
	s_delay_alu instid0(VALU_DEP_3) | instskip(SKIP_2) | instid1(VALU_DEP_4)
	v_sub_f32_e32 v32, v30, v32
	v_add_f32_e32 v38, v60, v30
	v_add_f32_e32 v33, v37, v26
	;; [unrolled: 1-line block ×3, first 2 shown]
	s_delay_alu instid0(VALU_DEP_4) | instskip(NEXT) | instid1(VALU_DEP_4)
	v_sub_f32_e32 v23, v23, v32
	v_sub_f32_e32 v32, v38, v60
	s_delay_alu instid0(VALU_DEP_4) | instskip(NEXT) | instid1(VALU_DEP_2)
	v_dual_add_f32 v29, v42, v24 :: v_dual_add_f32 v40, v61, v33
	v_dual_sub_f32 v37, v33, v37 :: v_dual_sub_f32 v46, v38, v32
	s_delay_alu instid0(VALU_DEP_2) | instskip(NEXT) | instid1(VALU_DEP_2)
	v_dual_sub_f32 v42, v29, v42 :: v_dual_add_f32 v43, v28, v29
	v_sub_f32_e32 v26, v26, v37
	s_delay_alu instid0(VALU_DEP_4) | instskip(NEXT) | instid1(VALU_DEP_3)
	v_dual_sub_f32 v37, v40, v61 :: v_dual_sub_f32 v30, v30, v32
	v_sub_f32_e32 v24, v24, v42
	s_delay_alu instid0(VALU_DEP_4) | instskip(NEXT) | instid1(VALU_DEP_3)
	v_dual_sub_f32 v42, v43, v28 :: v_dual_add_f32 v41, v45, v25
	v_dual_add_f32 v32, v34, v23 :: v_dual_sub_f32 v33, v33, v37
	v_sub_f32_e32 v46, v60, v46
	s_delay_alu instid0(VALU_DEP_3) | instskip(NEXT) | instid1(VALU_DEP_4)
	v_sub_f32_e32 v48, v43, v42
	v_sub_f32_e32 v44, v41, v45
	v_add_f32_e32 v45, v58, v41
	v_sub_f32_e32 v47, v40, v37
	v_add_f32_e32 v37, v35, v26
	v_sub_f32_e32 v49, v32, v34
	v_sub_f32_e32 v25, v25, v44
	;; [unrolled: 1-line block ×3, first 2 shown]
	v_dual_sub_f32 v29, v29, v42 :: v_dual_add_f32 v42, v27, v24
	v_dual_sub_f32 v47, v61, v47 :: v_dual_sub_f32 v28, v28, v48
	v_sub_f32_e32 v50, v37, v35
	s_delay_alu instid0(VALU_DEP_3)
	v_dual_sub_f32 v51, v45, v44 :: v_dual_sub_f32 v48, v42, v27
	v_dual_sub_f32 v41, v41, v44 :: v_dual_add_f32 v30, v30, v46
	v_add_f32_e32 v44, v22, v25
	v_dual_sub_f32 v46, v32, v49 :: v_dual_add_f32 v33, v33, v47
	v_dual_sub_f32 v23, v23, v49 :: v_dual_sub_f32 v26, v26, v50
	v_dual_sub_f32 v47, v37, v50 :: v_dual_sub_f32 v24, v24, v48
	s_delay_alu instid0(VALU_DEP_4) | instskip(SKIP_3) | instid1(VALU_DEP_4)
	v_dual_sub_f32 v49, v58, v51 :: v_dual_sub_f32 v50, v44, v22
	v_add_f32_e32 v28, v29, v28
	v_dual_sub_f32 v29, v42, v48 :: v_dual_add_f32 v30, v32, v30
	v_dual_sub_f32 v34, v34, v46 :: v_dual_add_f32 v33, v37, v33
	;; [unrolled: 1-line block ×3, first 2 shown]
	v_sub_f32_e32 v37, v44, v50
	v_dual_sub_f32 v25, v25, v50 :: v_dual_add_f32 v28, v42, v28
	s_delay_alu instid0(VALU_DEP_3) | instskip(SKIP_2) | instid1(VALU_DEP_4)
	v_dual_sub_f32 v27, v27, v29 :: v_dual_add_f32 v26, v26, v32
	v_dual_add_f32 v23, v23, v34 :: v_dual_add_f32 v32, v40, v33
	v_dual_add_f32 v29, v38, v30 :: v_dual_add_f32 v34, v44, v35
	v_dual_add_f32 v35, v43, v28 :: v_dual_sub_f32 v22, v22, v37
	s_delay_alu instid0(VALU_DEP_2) | instskip(NEXT) | instid1(VALU_DEP_2)
	v_dual_sub_f32 v37, v32, v40 :: v_dual_sub_f32 v38, v29, v38
	v_dual_add_f32 v40, v45, v34 :: v_dual_sub_f32 v41, v35, v43
	s_delay_alu instid0(VALU_DEP_3) | instskip(NEXT) | instid1(VALU_DEP_3)
	v_add_f32_e32 v22, v25, v22
	v_sub_f32_e32 v30, v30, v38
	s_delay_alu instid0(VALU_DEP_4) | instskip(NEXT) | instid1(VALU_DEP_4)
	v_dual_add_f32 v24, v24, v27 :: v_dual_sub_f32 v27, v33, v37
	v_sub_f32_e32 v33, v40, v45
	s_delay_alu instid0(VALU_DEP_3) | instskip(NEXT) | instid1(VALU_DEP_3)
	v_dual_sub_f32 v28, v28, v41 :: v_dual_add_f32 v23, v23, v30
	v_add_f32_e32 v25, v26, v27
	s_delay_alu instid0(VALU_DEP_2) | instskip(NEXT) | instid1(VALU_DEP_3)
	v_dual_sub_f32 v26, v34, v33 :: v_dual_add_f32 v27, v29, v23
	v_add_f32_e32 v24, v24, v28
	v_cndmask_b32_e64 v28, 0, v11, s7
	s_delay_alu instid0(VALU_DEP_3) | instskip(SKIP_1) | instid1(VALU_DEP_2)
	v_dual_add_f32 v22, v22, v26 :: v_dual_mul_f32 v33, v4, v27
	v_sub_f32_e32 v29, v27, v29
	v_dual_add_f32 v26, v35, v24 :: v_dual_add_f32 v37, v40, v22
	v_add_f32_e32 v30, v32, v25
	s_delay_alu instid0(VALU_DEP_4) | instskip(NEXT) | instid1(VALU_DEP_4)
	v_fma_f32 v27, v4, v27, -v33
	v_sub_f32_e32 v23, v23, v29
	s_delay_alu instid0(VALU_DEP_4) | instskip(SKIP_2) | instid1(VALU_DEP_4)
	v_sub_f32_e32 v35, v26, v35
	v_cmp_class_f32_e64 s7, v33, 0x204
	v_sub_f32_e32 v32, v30, v32
	v_dual_mul_f32 v34, v5, v30 :: v_dual_fmac_f32 v27, v4, v23
	v_mul_f32_e32 v38, v6, v26
	v_bfi_b32 v19, 0x7fffffff, v19, v28
	s_delay_alu instid0(VALU_DEP_4) | instskip(NEXT) | instid1(VALU_DEP_4)
	v_sub_f32_e32 v25, v25, v32
	v_fma_f32 v29, v5, v30, -v34
	v_sub_f32_e32 v24, v24, v35
	v_fma_f32 v26, v6, v26, -v38
	s_delay_alu instid0(VALU_DEP_3) | instskip(SKIP_1) | instid1(VALU_DEP_3)
	v_fmac_f32_e32 v29, v5, v25
	v_bfi_b32 v25, 0x7fffffff, v36, v39
	v_fmac_f32_e32 v26, v6, v24
	v_add_f32_e32 v24, v33, v27
	s_delay_alu instid0(VALU_DEP_1) | instskip(NEXT) | instid1(VALU_DEP_1)
	v_dual_sub_f32 v30, v37, v40 :: v_dual_sub_f32 v35, v24, v33
	v_sub_f32_e32 v22, v22, v30
	v_add_f32_e32 v30, v34, v29
	v_mul_f32_e32 v32, v9, v37
	s_wait_alu 0xf1ff
	v_cndmask_b32_e64 v24, v24, v33, s7
	v_cmp_class_f32_e64 s7, v34, 0x204
	v_sub_f32_e32 v27, v27, v35
	v_sub_f32_e32 v33, v30, v34
	v_fma_f32 v23, v9, v37, -v32
	s_wait_alu 0xf1ff
	v_cndmask_b32_e64 v30, v30, v34, s7
	v_cmp_class_f32_e64 s7, v38, 0x204
	v_sub_f32_e32 v29, v29, v33
	v_fmac_f32_e32 v23, v9, v22
	v_add_f32_e32 v22, v38, v26
	s_delay_alu instid0(VALU_DEP_2) | instskip(NEXT) | instid1(VALU_DEP_2)
	v_add_f32_e32 v34, v32, v23
	v_sub_f32_e32 v36, v22, v38
	s_wait_alu 0xf1ff
	v_cndmask_b32_e64 v22, v22, v38, s7
	v_cmp_eq_f32_e64 s7, 0x42b17218, v24
	v_sub_f32_e32 v37, v34, v32
	s_wait_alu 0xf1ff
	s_delay_alu instid0(VALU_DEP_2) | instskip(SKIP_1) | instid1(VALU_DEP_3)
	v_cndmask_b32_e64 v35, 0, 0x37000000, s7
	v_cmp_eq_f32_e64 s7, 0x42b17218, v30
	v_sub_f32_e32 v23, v23, v37
	s_wait_alu 0xf1ff
	s_delay_alu instid0(VALU_DEP_2) | instskip(SKIP_2) | instid1(VALU_DEP_1)
	v_cndmask_b32_e64 v33, 0, 0x37000000, s7
	v_cmp_class_f32_e64 s7, v32, 0x204
	s_wait_alu 0xf1ff
	v_cndmask_b32_e64 v32, v34, v32, s7
	v_cmp_eq_f32_e64 s7, 0x42b17218, v22
	s_wait_alu 0xf1ff
	s_delay_alu instid0(VALU_DEP_1) | instskip(SKIP_2) | instid1(VALU_DEP_1)
	v_cndmask_b32_e64 v34, 0, 0x37000000, s7
	v_cmp_neq_f32_e64 s7, 0x7f800000, |v24|
	s_wait_alu 0xf1ff
	v_cndmask_b32_e64 v27, 0, v27, s7
	v_cmp_neq_f32_e64 s7, 0x7f800000, |v30|
	v_sub_f32_e32 v30, v30, v33
	v_sub_f32_e32 v24, v24, v35
	s_delay_alu instid0(VALU_DEP_4) | instskip(SKIP_4) | instid1(VALU_DEP_3)
	v_add_f32_e32 v27, v35, v27
	s_wait_alu 0xf1ff
	v_cndmask_b32_e64 v29, 0, v29, s7
	v_cmp_eq_f32_e64 s7, 0x42b17218, v32
	v_mul_f32_e32 v35, 0x3fb8aa3b, v24
	v_dual_sub_f32 v26, v26, v36 :: v_dual_add_f32 v29, v33, v29
	s_wait_alu 0xf1ff
	s_delay_alu instid0(VALU_DEP_3) | instskip(SKIP_2) | instid1(VALU_DEP_3)
	v_cndmask_b32_e64 v36, 0, 0x37000000, s7
	v_cmp_neq_f32_e64 s7, 0x7f800000, |v22|
	v_rndne_f32_e32 v40, v35
	v_dual_sub_f32 v37, v32, v36 :: v_dual_sub_f32 v22, v22, v34
	v_mul_f32_e32 v33, 0x3fb8aa3b, v30
	v_fma_f32 v39, 0x3fb8aa3b, v24, -v35
	s_delay_alu instid0(VALU_DEP_4) | instskip(NEXT) | instid1(VALU_DEP_4)
	v_sub_f32_e32 v35, v35, v40
	v_dual_mul_f32 v43, 0x3fb8aa3b, v37 :: v_dual_mul_f32 v38, 0x3fb8aa3b, v22
	s_delay_alu instid0(VALU_DEP_4)
	v_fma_f32 v41, 0x3fb8aa3b, v30, -v33
	v_rndne_f32_e32 v42, v33
	s_wait_alu 0xf1ff
	v_cndmask_b32_e64 v26, 0, v26, s7
	v_fma_f32 v46, 0x3fb8aa3b, v37, -v43
	v_fma_f32 v44, 0x3fb8aa3b, v22, -v38
	v_rndne_f32_e32 v45, v38
	v_fmac_f32_e32 v39, 0x32a5705f, v24
	v_fmac_f32_e32 v41, 0x32a5705f, v30
	v_dual_sub_f32 v33, v33, v42 :: v_dual_fmac_f32 v46, 0x32a5705f, v37
	v_fmac_f32_e32 v44, 0x32a5705f, v22
	s_delay_alu instid0(VALU_DEP_4) | instskip(SKIP_1) | instid1(VALU_DEP_4)
	v_dual_sub_f32 v38, v38, v45 :: v_dual_add_f32 v35, v35, v39
	v_rndne_f32_e32 v47, v43
	v_dual_add_f32 v33, v33, v41 :: v_dual_add_f32 v26, v34, v26
	s_delay_alu instid0(VALU_DEP_3)
	v_add_f32_e32 v38, v38, v44
	v_cmp_neq_f32_e64 s7, 0x7f800000, |v32|
	v_exp_f32_e32 v32, v35
	v_sub_f32_e32 v39, v43, v47
	v_exp_f32_e32 v33, v33
	v_cvt_i32_f32_e32 v34, v40
	s_wait_alu 0xf1ff
	v_cndmask_b32_e64 v23, 0, v23, s7
	v_exp_f32_e32 v38, v38
	v_add_f32_e32 v35, v39, v46
	v_cvt_i32_f32_e32 v39, v42
	v_cmp_ngt_f32_e64 s7, 0xc2ce8ed0, v24
	v_cvt_i32_f32_e32 v40, v45
	v_ldexp_f32 v32, v32, v34
	v_exp_f32_e32 v35, v35
	v_ldexp_f32 v33, v33, v39
	v_add_f32_e32 v23, v36, v23
	v_cvt_i32_f32_e32 v34, v47
	s_wait_alu 0xf1ff
	v_cndmask_b32_e64 v32, 0, v32, s7
	v_cmp_ngt_f32_e64 s7, 0xc2ce8ed0, v30
	v_ldexp_f32 v36, v38, v40
	s_wait_alu 0xf1ff
	s_delay_alu instid0(VALU_DEP_2) | instskip(SKIP_3) | instid1(VALU_DEP_2)
	v_cndmask_b32_e64 v33, 0, v33, s7
	v_cmp_ngt_f32_e64 s7, 0xc2ce8ed0, v22
	v_ldexp_f32 v34, v35, v34
	s_wait_alu 0xf1ff
	v_cndmask_b32_e64 v35, 0, v36, s7
	v_cmp_nlt_f32_e64 s7, 0x42b17218, v24
	s_wait_alu 0xf1ff
	s_delay_alu instid0(VALU_DEP_1) | instskip(SKIP_1) | instid1(VALU_DEP_2)
	v_cndmask_b32_e64 v24, 0x7f800000, v32, s7
	v_cmp_nlt_f32_e64 s7, 0x42b17218, v30
	v_fma_f32 v27, v24, v27, v24
	s_wait_alu 0xf1ff
	s_delay_alu instid0(VALU_DEP_2) | instskip(SKIP_1) | instid1(VALU_DEP_2)
	v_cndmask_b32_e64 v30, 0x7f800000, v33, s7
	v_cmp_ngt_f32_e64 s7, 0xc2ce8ed0, v37
	v_fma_f32 v29, v30, v29, v30
	s_wait_alu 0xf1ff
	s_delay_alu instid0(VALU_DEP_2) | instskip(SKIP_2) | instid1(VALU_DEP_1)
	v_cndmask_b32_e64 v32, 0, v34, s7
	v_cmp_nlt_f32_e64 s7, 0x42b17218, v22
	s_wait_alu 0xf1ff
	v_cndmask_b32_e64 v22, 0x7f800000, v35, s7
	v_cmp_nlt_f32_e64 s7, 0x42b17218, v37
	s_delay_alu instid0(VALU_DEP_2) | instskip(SKIP_1) | instid1(VALU_DEP_2)
	v_fma_f32 v26, v22, v26, v22
	s_wait_alu 0xf1ff
	v_cndmask_b32_e64 v32, 0x7f800000, v32, s7
	v_cmp_class_f32_e64 s7, v24, 0x204
	s_delay_alu instid0(VALU_DEP_2) | instskip(SKIP_1) | instid1(VALU_DEP_2)
	v_fma_f32 v23, v32, v23, v32
	s_wait_alu 0xf1ff
	v_cndmask_b32_e64 v24, v27, v24, s7
	v_cmp_class_f32_e64 s7, v30, 0x204
	s_delay_alu instid0(VALU_DEP_2) | instskip(SKIP_1) | instid1(VALU_DEP_2)
	v_bfi_b32 v15, 0x7fffffff, v24, v15
	s_wait_alu 0xf1ff
	v_cndmask_b32_e64 v27, v29, v30, s7
	v_cmp_class_f32_e64 s7, v22, 0x204
	s_delay_alu instid0(VALU_DEP_2) | instskip(SKIP_1) | instid1(VALU_DEP_2)
	v_bfi_b32 v17, 0x7fffffff, v27, v17
	s_wait_alu 0xf1ff
	v_cndmask_b32_e64 v22, v26, v22, s7
	v_cmp_class_f32_e64 s7, v32, 0x204
	s_delay_alu instid0(VALU_DEP_3) | instskip(NEXT) | instid1(VALU_DEP_3)
	v_cndmask_b32_e64 v24, 0x7fc00000, v17, s3
	v_bfi_b32 v20, 0x7fffffff, v22, v20
	v_cndmask_b32_e64 v22, 0x7fc00000, v15, s2
	v_cmp_gt_f32_e64 s2, 0, v7
	s_wait_alu 0xf1ff
	v_cndmask_b32_e64 v23, v23, v32, s7
	s_delay_alu instid0(VALU_DEP_2) | instskip(SKIP_1) | instid1(VALU_DEP_3)
	v_cndmask_b32_e64 v15, v15, v22, s2
	v_cmp_gt_f32_e64 s2, 0, v8
	v_bfi_b32 v21, 0x7fffffff, v23, v21
	v_cndmask_b32_e64 v23, 0x7fc00000, v20, s5
	s_wait_alu 0xf1ff
	s_delay_alu instid0(VALU_DEP_3) | instskip(SKIP_3) | instid1(VALU_DEP_2)
	v_cndmask_b32_e64 v17, v17, v24, s2
	v_cmp_gt_f32_e64 s2, 0, v10
	v_cndmask_b32_e64 v22, 0x7fc00000, v21, s6
	s_wait_alu 0xf1ff
	v_cndmask_b32_e64 v20, v20, v23, s2
	v_cmp_class_f32_e64 s2, v4, 0x204
	s_wait_alu 0xf1ff
	s_delay_alu instid0(VALU_DEP_1) | instskip(SKIP_1) | instid1(VALU_DEP_2)
	v_cndmask_b32_e64 v12, v15, v12, s2
	v_cmp_class_f32_e64 s2, v5, 0x204
	v_cndmask_b32_e32 v12, v12, v18, vcc_lo
	s_wait_alu 0xf1ff
	s_delay_alu instid0(VALU_DEP_2)
	v_cndmask_b32_e64 v13, v17, v13, s2
	v_cmp_gt_f32_e64 s2, 0, v11
	s_or_b32 vcc_lo, s0, s23
	s_wait_alu 0xfffe
	v_cndmask_b32_e32 v13, v13, v31, vcc_lo
	v_cndmask_b32_e64 v15, v21, v22, s2
	v_cmp_class_f32_e64 s2, v6, 0x204
	v_cmp_class_f32_e64 vcc_lo, v9, 0x204
	s_wait_alu 0xf1ff
	s_delay_alu instid0(VALU_DEP_2)
	v_cndmask_b32_e64 v14, v20, v14, s2
	s_wait_alu 0xfffd
	v_cndmask_b32_e32 v15, v15, v16, vcc_lo
	s_or_b32 vcc_lo, s1, s25
	s_wait_alu 0xfffe
	v_cndmask_b32_e32 v14, v14, v25, vcc_lo
	v_cmp_o_f32_e32 vcc_lo, v7, v4
	s_wait_alu 0xfffd
	v_cndmask_b32_e32 v4, 0x7fc00000, v12, vcc_lo
	s_or_b32 vcc_lo, s4, s26
	s_wait_alu 0xfffe
	v_cndmask_b32_e32 v7, v15, v19, vcc_lo
	v_cmp_o_f32_e32 vcc_lo, v8, v5
	v_cvt_f16_f32_e32 v8, v4
	s_wait_alu 0xfffd
	v_cndmask_b32_e32 v5, 0x7fc00000, v13, vcc_lo
	v_cmp_o_f32_e32 vcc_lo, v10, v6
	s_wait_alu 0xfffd
	v_cndmask_b32_e32 v6, 0x7fc00000, v14, vcc_lo
	v_cmp_o_f32_e32 vcc_lo, v11, v9
	v_cvt_f16_f32_e32 v9, v5
	s_delay_alu instid0(VALU_DEP_3)
	v_cvt_f16_f32_e32 v10, v6
	s_wait_alu 0xfffd
	v_cndmask_b32_e32 v7, 0x7fc00000, v7, vcc_lo
	v_add_co_u32 v0, vcc_lo, v0, s19
	s_wait_alu 0xfffd
	v_add_co_ci_u32_e64 v1, null, 0, v1, vcc_lo
	s_delay_alu instid0(VALU_DEP_3) | instskip(SKIP_1) | instid1(VALU_DEP_3)
	v_cvt_f16_f32_e32 v7, v7
	v_pack_b32_f16 v6, v8, v9
	v_lshlrev_b64_e32 v[4:5], 2, v[0:1]
	s_delay_alu instid0(VALU_DEP_3) | instskip(NEXT) | instid1(VALU_DEP_2)
	v_pack_b32_f16 v7, v7, v10
	v_cmp_le_i64_e32 vcc_lo, s[16:17], v[4:5]
	global_store_b64 v[2:3], v[6:7], off offset:-4
	v_add_co_u32 v2, s0, v2, s20
	s_wait_alu 0xf1ff
	v_add_co_ci_u32_e64 v3, null, 0, v3, s0
	s_or_b32 s18, vcc_lo, s18
	s_wait_alu 0xfffe
	s_and_not1_b32 exec_lo, exec_lo, s18
	s_cbranch_execnz .LBB59_24
.LBB59_25:
	s_endpgm
	.section	.rodata,"a",@progbits
	.p2align	6, 0x0
	.amdhsa_kernel _ZN2at6native12_GLOBAL__N_125multi_tensor_apply_kernelINS1_18TensorListMetadataILi1EEENS1_21BinaryOpScalarFunctorIN3c104HalfELi1ELi1ELi0EEEJNS1_13power_functorIfEEfEEEvT_T0_DpT1_
		.amdhsa_group_segment_fixed_size 0
		.amdhsa_private_segment_fixed_size 0
		.amdhsa_kernarg_size 3632
		.amdhsa_user_sgpr_count 2
		.amdhsa_user_sgpr_dispatch_ptr 0
		.amdhsa_user_sgpr_queue_ptr 0
		.amdhsa_user_sgpr_kernarg_segment_ptr 1
		.amdhsa_user_sgpr_dispatch_id 0
		.amdhsa_user_sgpr_private_segment_size 0
		.amdhsa_wavefront_size32 1
		.amdhsa_uses_dynamic_stack 0
		.amdhsa_enable_private_segment 0
		.amdhsa_system_sgpr_workgroup_id_x 1
		.amdhsa_system_sgpr_workgroup_id_y 0
		.amdhsa_system_sgpr_workgroup_id_z 0
		.amdhsa_system_sgpr_workgroup_info 0
		.amdhsa_system_vgpr_workitem_id 0
		.amdhsa_next_free_vgpr 71
		.amdhsa_next_free_sgpr 30
		.amdhsa_reserve_vcc 1
		.amdhsa_float_round_mode_32 0
		.amdhsa_float_round_mode_16_64 0
		.amdhsa_float_denorm_mode_32 3
		.amdhsa_float_denorm_mode_16_64 3
		.amdhsa_fp16_overflow 0
		.amdhsa_workgroup_processor_mode 1
		.amdhsa_memory_ordered 1
		.amdhsa_forward_progress 1
		.amdhsa_inst_pref_size 85
		.amdhsa_round_robin_scheduling 0
		.amdhsa_exception_fp_ieee_invalid_op 0
		.amdhsa_exception_fp_denorm_src 0
		.amdhsa_exception_fp_ieee_div_zero 0
		.amdhsa_exception_fp_ieee_overflow 0
		.amdhsa_exception_fp_ieee_underflow 0
		.amdhsa_exception_fp_ieee_inexact 0
		.amdhsa_exception_int_div_zero 0
	.end_amdhsa_kernel
	.section	.text._ZN2at6native12_GLOBAL__N_125multi_tensor_apply_kernelINS1_18TensorListMetadataILi1EEENS1_21BinaryOpScalarFunctorIN3c104HalfELi1ELi1ELi0EEEJNS1_13power_functorIfEEfEEEvT_T0_DpT1_,"axG",@progbits,_ZN2at6native12_GLOBAL__N_125multi_tensor_apply_kernelINS1_18TensorListMetadataILi1EEENS1_21BinaryOpScalarFunctorIN3c104HalfELi1ELi1ELi0EEEJNS1_13power_functorIfEEfEEEvT_T0_DpT1_,comdat
.Lfunc_end59:
	.size	_ZN2at6native12_GLOBAL__N_125multi_tensor_apply_kernelINS1_18TensorListMetadataILi1EEENS1_21BinaryOpScalarFunctorIN3c104HalfELi1ELi1ELi0EEEJNS1_13power_functorIfEEfEEEvT_T0_DpT1_, .Lfunc_end59-_ZN2at6native12_GLOBAL__N_125multi_tensor_apply_kernelINS1_18TensorListMetadataILi1EEENS1_21BinaryOpScalarFunctorIN3c104HalfELi1ELi1ELi0EEEJNS1_13power_functorIfEEfEEEvT_T0_DpT1_
                                        ; -- End function
	.set _ZN2at6native12_GLOBAL__N_125multi_tensor_apply_kernelINS1_18TensorListMetadataILi1EEENS1_21BinaryOpScalarFunctorIN3c104HalfELi1ELi1ELi0EEEJNS1_13power_functorIfEEfEEEvT_T0_DpT1_.num_vgpr, 71
	.set _ZN2at6native12_GLOBAL__N_125multi_tensor_apply_kernelINS1_18TensorListMetadataILi1EEENS1_21BinaryOpScalarFunctorIN3c104HalfELi1ELi1ELi0EEEJNS1_13power_functorIfEEfEEEvT_T0_DpT1_.num_agpr, 0
	.set _ZN2at6native12_GLOBAL__N_125multi_tensor_apply_kernelINS1_18TensorListMetadataILi1EEENS1_21BinaryOpScalarFunctorIN3c104HalfELi1ELi1ELi0EEEJNS1_13power_functorIfEEfEEEvT_T0_DpT1_.numbered_sgpr, 30
	.set _ZN2at6native12_GLOBAL__N_125multi_tensor_apply_kernelINS1_18TensorListMetadataILi1EEENS1_21BinaryOpScalarFunctorIN3c104HalfELi1ELi1ELi0EEEJNS1_13power_functorIfEEfEEEvT_T0_DpT1_.num_named_barrier, 0
	.set _ZN2at6native12_GLOBAL__N_125multi_tensor_apply_kernelINS1_18TensorListMetadataILi1EEENS1_21BinaryOpScalarFunctorIN3c104HalfELi1ELi1ELi0EEEJNS1_13power_functorIfEEfEEEvT_T0_DpT1_.private_seg_size, 0
	.set _ZN2at6native12_GLOBAL__N_125multi_tensor_apply_kernelINS1_18TensorListMetadataILi1EEENS1_21BinaryOpScalarFunctorIN3c104HalfELi1ELi1ELi0EEEJNS1_13power_functorIfEEfEEEvT_T0_DpT1_.uses_vcc, 1
	.set _ZN2at6native12_GLOBAL__N_125multi_tensor_apply_kernelINS1_18TensorListMetadataILi1EEENS1_21BinaryOpScalarFunctorIN3c104HalfELi1ELi1ELi0EEEJNS1_13power_functorIfEEfEEEvT_T0_DpT1_.uses_flat_scratch, 0
	.set _ZN2at6native12_GLOBAL__N_125multi_tensor_apply_kernelINS1_18TensorListMetadataILi1EEENS1_21BinaryOpScalarFunctorIN3c104HalfELi1ELi1ELi0EEEJNS1_13power_functorIfEEfEEEvT_T0_DpT1_.has_dyn_sized_stack, 0
	.set _ZN2at6native12_GLOBAL__N_125multi_tensor_apply_kernelINS1_18TensorListMetadataILi1EEENS1_21BinaryOpScalarFunctorIN3c104HalfELi1ELi1ELi0EEEJNS1_13power_functorIfEEfEEEvT_T0_DpT1_.has_recursion, 0
	.set _ZN2at6native12_GLOBAL__N_125multi_tensor_apply_kernelINS1_18TensorListMetadataILi1EEENS1_21BinaryOpScalarFunctorIN3c104HalfELi1ELi1ELi0EEEJNS1_13power_functorIfEEfEEEvT_T0_DpT1_.has_indirect_call, 0
	.section	.AMDGPU.csdata,"",@progbits
; Kernel info:
; codeLenInByte = 10880
; TotalNumSgprs: 32
; NumVgprs: 71
; ScratchSize: 0
; MemoryBound: 0
; FloatMode: 240
; IeeeMode: 1
; LDSByteSize: 0 bytes/workgroup (compile time only)
; SGPRBlocks: 0
; VGPRBlocks: 8
; NumSGPRsForWavesPerEU: 32
; NumVGPRsForWavesPerEU: 71
; Occupancy: 16
; WaveLimiterHint : 0
; COMPUTE_PGM_RSRC2:SCRATCH_EN: 0
; COMPUTE_PGM_RSRC2:USER_SGPR: 2
; COMPUTE_PGM_RSRC2:TRAP_HANDLER: 0
; COMPUTE_PGM_RSRC2:TGID_X_EN: 1
; COMPUTE_PGM_RSRC2:TGID_Y_EN: 0
; COMPUTE_PGM_RSRC2:TGID_Z_EN: 0
; COMPUTE_PGM_RSRC2:TIDIG_COMP_CNT: 0
	.section	.text._ZN2at6native12_GLOBAL__N_125multi_tensor_apply_kernelINS1_18TensorListMetadataILi1EEENS1_21BinaryOpScalarFunctorIN3c108BFloat16ELi1ELi1ELi0EEEJNS1_13power_functorIfEEfEEEvT_T0_DpT1_,"axG",@progbits,_ZN2at6native12_GLOBAL__N_125multi_tensor_apply_kernelINS1_18TensorListMetadataILi1EEENS1_21BinaryOpScalarFunctorIN3c108BFloat16ELi1ELi1ELi0EEEJNS1_13power_functorIfEEfEEEvT_T0_DpT1_,comdat
	.globl	_ZN2at6native12_GLOBAL__N_125multi_tensor_apply_kernelINS1_18TensorListMetadataILi1EEENS1_21BinaryOpScalarFunctorIN3c108BFloat16ELi1ELi1ELi0EEEJNS1_13power_functorIfEEfEEEvT_T0_DpT1_ ; -- Begin function _ZN2at6native12_GLOBAL__N_125multi_tensor_apply_kernelINS1_18TensorListMetadataILi1EEENS1_21BinaryOpScalarFunctorIN3c108BFloat16ELi1ELi1ELi0EEEJNS1_13power_functorIfEEfEEEvT_T0_DpT1_
	.p2align	8
	.type	_ZN2at6native12_GLOBAL__N_125multi_tensor_apply_kernelINS1_18TensorListMetadataILi1EEENS1_21BinaryOpScalarFunctorIN3c108BFloat16ELi1ELi1ELi0EEEJNS1_13power_functorIfEEfEEEvT_T0_DpT1_,@function
_ZN2at6native12_GLOBAL__N_125multi_tensor_apply_kernelINS1_18TensorListMetadataILi1EEENS1_21BinaryOpScalarFunctorIN3c108BFloat16ELi1ELi1ELi0EEEJNS1_13power_functorIfEEfEEEvT_T0_DpT1_: ; @_ZN2at6native12_GLOBAL__N_125multi_tensor_apply_kernelINS1_18TensorListMetadataILi1EEENS1_21BinaryOpScalarFunctorIN3c108BFloat16ELi1ELi1ELi0EEEJNS1_13power_functorIfEEfEEEvT_T0_DpT1_
; %bb.0:
	s_load_u8 s8, s[0:1], ttmp9 offset:0x6e0
	s_mov_b32 s2, ttmp9
	s_mov_b32 s3, 0
	s_delay_alu instid0(SALU_CYCLE_1)
	s_mul_u64 s[4:5], s[2:3], 3
	s_add_nc_u64 s[6:7], s[0:1], s[2:3]
	s_mov_b32 s13, s3
	s_add_nc_u64 s[4:5], s[6:7], s[4:5]
	s_load_b32 s4, s[4:5], 0x820
	s_wait_kmcnt 0x0
	s_lshl_b32 s2, s8, 3
	s_clause 0x2
	s_load_b64 s[8:9], s[0:1], s2 offset:0x0
	s_load_b64 s[6:7], s[0:1], s2 offset:0x370
	s_load_b32 s24, s[0:1], 0xd2c
	s_ashr_i32 s5, s4, 31
	s_delay_alu instid0(SALU_CYCLE_1) | instskip(SKIP_4) | instid1(SALU_CYCLE_1)
	s_lshl_b64 s[10:11], s[4:5], 17
	s_lshl_b64 s[4:5], s[4:5], 16
	s_wait_kmcnt 0x0
	s_and_b32 s2, s8, 7
	s_and_b32 s12, s6, 3
	s_or_b64 s[2:3], s[2:3], s[12:13]
	s_sub_nc_u64 s[12:13], s[6:7], s[4:5]
	s_cmp_eq_u64 s[2:3], 0
	s_cbranch_scc1 .LBB60_21
; %bb.1:
	v_cmp_lt_i64_e64 s2, s[12:13], 1
	s_and_b32 vcc_lo, exec_lo, s2
	s_cbranch_vccnz .LBB60_20
; %bb.2:
	s_load_b32 s2, s[0:1], 0xd3c
	v_cmp_gt_i64_e64 s6, 0x10000, s[12:13]
	s_mov_b32 s3, 0
	v_cmp_gt_u64_e64 s7, 0x10000, s[12:13]
	s_mov_b32 s15, s3
	v_lshlrev_b32_e32 v1, 1, v0
	s_add_nc_u64 s[4:5], s[8:9], s[10:11]
	s_and_b32 s6, s6, exec_lo
	s_cselect_b32 s17, s13, 0
	s_cselect_b32 s16, s12, 0x10000
	v_add_co_u32 v1, s14, s4, v1
	s_delay_alu instid0(VALU_DEP_1)
	v_add_co_ci_u32_e64 v2, null, s5, 0, s14
	s_mov_b64 s[22:23], 0
	s_mov_b32 s25, 0x3e76c4e1
	s_wait_kmcnt 0x0
	s_and_b32 s2, s2, 0xffff
	s_and_b32 s6, s7, exec_lo
	s_mul_u64 s[20:21], s[2:3], 6
	v_add_co_u32 v5, s3, v0, s2
	s_cselect_b32 s19, s13, 0
	s_cselect_b32 s18, s12, 0x10000
	s_lshl_b32 s6, s2, 1
	v_lshlrev_b32_e32 v3, 1, v5
	s_mul_i32 s7, s2, 3
	v_add_co_ci_u32_e64 v8, null, 0, 0, s3
	v_add_co_u32 v9, s3, s6, v0
	v_add_co_u32 v6, s7, s7, v0
	s_wait_alu 0xf1ff
	v_add_co_ci_u32_e64 v10, null, 0, 0, s3
	v_add_co_u32 v3, s3, s4, v3
	v_add_co_ci_u32_e64 v7, null, 0, 0, s7
	s_wait_alu 0xf1ff
	v_add_co_ci_u32_e64 v4, null, s5, 0, s3
	s_lshl_b32 s14, s2, 2
	s_lshl_b32 s7, s2, 3
	s_branch .LBB60_4
.LBB60_3:                               ;   in Loop: Header=BB60_4 Depth=1
	s_wait_alu 0xfffe
	s_or_b32 exec_lo, exec_lo, s5
	s_add_nc_u64 s[22:23], s[22:23], s[14:15]
	v_add_co_u32 v1, vcc_lo, v1, s7
	s_wait_alu 0xfffe
	v_cmp_lt_i64_e64 s2, s[22:23], s[16:17]
	s_wait_alu 0xfffd
	v_add_co_ci_u32_e64 v2, null, 0, v2, vcc_lo
	v_add_co_u32 v3, vcc_lo, v3, s7
	s_wait_alu 0xfffd
	v_add_co_ci_u32_e64 v4, null, 0, v4, vcc_lo
	s_and_b32 vcc_lo, exec_lo, s2
	s_wait_alu 0xfffe
	s_cbranch_vccz .LBB60_20
.LBB60_4:                               ; =>This Inner Loop Header: Depth=1
	v_add_co_u32 v11, s2, v0, s22
	s_wait_alu 0xf1ff
	v_add_co_ci_u32_e64 v12, null, 0, s23, s2
	v_mov_b32_e32 v14, 0
	s_delay_alu instid0(VALU_DEP_2)
	v_cmp_gt_u64_e64 s4, s[18:19], v[11:12]
	s_and_saveexec_b32 s2, s4
	s_cbranch_execz .LBB60_6
; %bb.5:                                ;   in Loop: Header=BB60_4 Depth=1
	global_load_u16 v11, v[1:2], off
	s_wait_loadcnt 0x0
	v_lshlrev_b32_e32 v14, 16, v11
.LBB60_6:                               ;   in Loop: Header=BB60_4 Depth=1
	s_wait_alu 0xfffe
	s_or_b32 exec_lo, exec_lo, s2
	v_add_co_u32 v11, vcc_lo, v5, s22
	s_wait_alu 0xfffd
	v_add_co_ci_u32_e64 v12, null, s23, v8, vcc_lo
	v_mov_b32_e32 v13, 0
	s_delay_alu instid0(VALU_DEP_2)
	v_cmp_gt_u64_e64 s3, s[18:19], v[11:12]
	v_mov_b32_e32 v12, 0
	s_and_saveexec_b32 s2, s3
	s_cbranch_execz .LBB60_8
; %bb.7:                                ;   in Loop: Header=BB60_4 Depth=1
	global_load_u16 v11, v[3:4], off
	s_wait_loadcnt 0x0
	v_lshlrev_b32_e32 v13, 16, v11
.LBB60_8:                               ;   in Loop: Header=BB60_4 Depth=1
	s_wait_alu 0xfffe
	s_or_b32 exec_lo, exec_lo, s2
	v_add_co_u32 v15, vcc_lo, v9, s22
	s_wait_alu 0xfffd
	v_add_co_ci_u32_e64 v16, null, s23, v10, vcc_lo
	s_delay_alu instid0(VALU_DEP_1)
	v_cmp_gt_u64_e64 s2, s[18:19], v[15:16]
	s_and_saveexec_b32 s5, s2
	s_cbranch_execz .LBB60_10
; %bb.9:                                ;   in Loop: Header=BB60_4 Depth=1
	v_add_co_u32 v11, vcc_lo, v1, s14
	s_wait_alu 0xfffd
	v_add_co_ci_u32_e64 v12, null, 0, v2, vcc_lo
	global_load_u16 v11, v[11:12], off
	s_wait_loadcnt 0x0
	v_lshlrev_b32_e32 v12, 16, v11
.LBB60_10:                              ;   in Loop: Header=BB60_4 Depth=1
	s_wait_alu 0xfffe
	s_or_b32 exec_lo, exec_lo, s5
	v_add_co_u32 v15, vcc_lo, v6, s22
	s_wait_alu 0xfffd
	v_add_co_ci_u32_e64 v16, null, s23, v7, vcc_lo
	v_mov_b32_e32 v11, 0
	s_delay_alu instid0(VALU_DEP_2)
	v_cmp_gt_u64_e32 vcc_lo, s[18:19], v[15:16]
	s_and_saveexec_b32 s6, vcc_lo
	s_cbranch_execnz .LBB60_15
; %bb.11:                               ;   in Loop: Header=BB60_4 Depth=1
	s_wait_alu 0xfffe
	s_or_b32 exec_lo, exec_lo, s6
	s_and_saveexec_b32 s26, s4
	s_cbranch_execnz .LBB60_16
.LBB60_12:                              ;   in Loop: Header=BB60_4 Depth=1
	s_wait_alu 0xfffe
	s_or_b32 exec_lo, exec_lo, s26
	s_and_saveexec_b32 s26, s3
	s_cbranch_execnz .LBB60_17
.LBB60_13:                              ;   in Loop: Header=BB60_4 Depth=1
	s_wait_alu 0xfffe
	s_or_b32 exec_lo, exec_lo, s26
	s_and_saveexec_b32 s6, s2
	s_cbranch_execnz .LBB60_18
.LBB60_14:                              ;   in Loop: Header=BB60_4 Depth=1
	s_wait_alu 0xfffe
	s_or_b32 exec_lo, exec_lo, s6
	s_and_saveexec_b32 s5, vcc_lo
	s_cbranch_execz .LBB60_3
	s_branch .LBB60_19
.LBB60_15:                              ;   in Loop: Header=BB60_4 Depth=1
	v_add_co_u32 v15, s5, v1, s20
	s_wait_alu 0xf1ff
	v_add_co_ci_u32_e64 v16, null, s21, v2, s5
	global_load_u16 v11, v[15:16], off
	s_wait_loadcnt 0x0
	v_lshlrev_b32_e32 v11, 16, v11
	s_wait_alu 0xfffe
	s_or_b32 exec_lo, exec_lo, s6
	s_and_saveexec_b32 s26, s4
	s_cbranch_execz .LBB60_12
.LBB60_16:                              ;   in Loop: Header=BB60_4 Depth=1
	v_cmp_neq_f32_e64 s4, 1.0, v14
	s_wait_alu 0xf1ff
	s_delay_alu instid0(VALU_DEP_1) | instskip(NEXT) | instid1(VALU_DEP_1)
	v_cndmask_b32_e64 v16, 1.0, s24, s4
	v_cmp_neq_f32_e64 s4, 0, v16
	v_cmp_neq_f32_e64 s27, v16, |v16|
	s_wait_alu 0xf1ff
	s_delay_alu instid0(VALU_DEP_2) | instskip(NEXT) | instid1(VALU_DEP_1)
	v_cndmask_b32_e64 v17, 1.0, v14, s4
	v_cvt_f64_f32_e64 v[14:15], |v17|
	v_cmp_lt_f32_e64 s28, |v17|, 1.0
	v_cmp_eq_f32_e64 s6, 0, v17
	s_xor_b32 s27, s27, s28
	v_frexp_exp_i32_f64_e32 v14, v[14:15]
	v_frexp_mant_f32_e64 v15, |v17|
	s_delay_alu instid0(VALU_DEP_1) | instskip(SKIP_1) | instid1(VALU_DEP_1)
	v_cmp_gt_f32_e64 s4, 0x3f2aaaab, v15
	s_wait_alu 0xf1ff
	v_cndmask_b32_e64 v18, 1.0, 2.0, s4
	s_delay_alu instid0(VALU_DEP_1) | instskip(NEXT) | instid1(VALU_DEP_1)
	v_mul_f32_e32 v15, v15, v18
	v_add_f32_e32 v18, 1.0, v15
	v_add_f32_e32 v20, -1.0, v15
	s_delay_alu instid0(VALU_DEP_2) | instskip(NEXT) | instid1(VALU_DEP_1)
	v_add_f32_e32 v22, -1.0, v18
	v_sub_f32_e32 v15, v15, v22
	v_rcp_f32_e32 v19, v18
	v_subrev_co_ci_u32_e64 v14, null, 0, v14, s4
	s_delay_alu instid0(TRANS32_DEP_1) | instskip(NEXT) | instid1(VALU_DEP_2)
	v_mul_f32_e32 v21, v20, v19
	v_cvt_f32_i32_e32 v14, v14
	s_delay_alu instid0(VALU_DEP_2) | instskip(NEXT) | instid1(VALU_DEP_1)
	v_mul_f32_e32 v23, v18, v21
	v_fma_f32 v18, v21, v18, -v23
	s_delay_alu instid0(VALU_DEP_1) | instskip(NEXT) | instid1(VALU_DEP_1)
	v_fmac_f32_e32 v18, v21, v15
	v_add_f32_e32 v15, v23, v18
	s_delay_alu instid0(VALU_DEP_1) | instskip(NEXT) | instid1(VALU_DEP_1)
	v_sub_f32_e32 v23, v15, v23
	v_sub_f32_e32 v18, v23, v18
	;; [unrolled: 1-line block ×3, first 2 shown]
	s_delay_alu instid0(VALU_DEP_1) | instskip(NEXT) | instid1(VALU_DEP_1)
	v_sub_f32_e32 v20, v20, v22
	v_sub_f32_e32 v15, v20, v15
	s_delay_alu instid0(VALU_DEP_1) | instskip(NEXT) | instid1(VALU_DEP_1)
	v_add_f32_e32 v15, v18, v15
	v_add_f32_e32 v15, v22, v15
	s_delay_alu instid0(VALU_DEP_1) | instskip(NEXT) | instid1(VALU_DEP_1)
	v_mul_f32_e32 v15, v19, v15
	v_add_f32_e32 v18, v21, v15
	s_delay_alu instid0(VALU_DEP_1) | instskip(NEXT) | instid1(VALU_DEP_1)
	v_sub_f32_e32 v19, v18, v21
	v_dual_mul_f32 v20, v18, v18 :: v_dual_sub_f32 v15, v15, v19
	s_delay_alu instid0(VALU_DEP_1) | instskip(NEXT) | instid1(VALU_DEP_2)
	v_fma_f32 v19, v18, v18, -v20
	v_add_f32_e32 v21, v15, v15
	s_delay_alu instid0(VALU_DEP_1) | instskip(NEXT) | instid1(VALU_DEP_1)
	v_fmac_f32_e32 v19, v18, v21
	v_add_f32_e32 v21, v20, v19
	s_delay_alu instid0(VALU_DEP_1) | instskip(SKIP_1) | instid1(VALU_DEP_1)
	v_fmaak_f32 v22, s25, v21, 0x3e91f4c4
	v_sub_f32_e32 v20, v21, v20
	v_dual_fmaak_f32 v22, v21, v22, 0x3ecccdef :: v_dual_sub_f32 v19, v19, v20
	s_delay_alu instid0(VALU_DEP_1) | instskip(NEXT) | instid1(VALU_DEP_1)
	v_mul_f32_e32 v23, v21, v22
	v_fma_f32 v20, v21, v22, -v23
	s_delay_alu instid0(VALU_DEP_1) | instskip(NEXT) | instid1(VALU_DEP_1)
	v_fmac_f32_e32 v20, v19, v22
	v_add_f32_e32 v22, v23, v20
	s_delay_alu instid0(VALU_DEP_1) | instskip(NEXT) | instid1(VALU_DEP_1)
	v_dual_sub_f32 v23, v22, v23 :: v_dual_add_f32 v24, 0x3f2aaaaa, v22
	v_dual_sub_f32 v20, v20, v23 :: v_dual_add_f32 v23, 0xbf2aaaaa, v24
	s_delay_alu instid0(VALU_DEP_1) | instskip(NEXT) | instid1(VALU_DEP_2)
	v_dual_add_f32 v20, 0x31739010, v20 :: v_dual_mul_f32 v25, v18, v21
	v_sub_f32_e32 v22, v22, v23
	s_delay_alu instid0(VALU_DEP_2) | instskip(NEXT) | instid1(VALU_DEP_2)
	v_fma_f32 v26, v21, v18, -v25
	v_add_f32_e32 v20, v20, v22
	s_delay_alu instid0(VALU_DEP_2) | instskip(SKIP_1) | instid1(VALU_DEP_2)
	v_fmac_f32_e32 v26, v21, v15
	v_ldexp_f32 v15, v15, 1
	v_dual_fmac_f32 v26, v19, v18 :: v_dual_add_f32 v19, v24, v20
	v_ldexp_f32 v18, v18, 1
	s_delay_alu instid0(VALU_DEP_2) | instskip(NEXT) | instid1(VALU_DEP_1)
	v_dual_add_f32 v21, v25, v26 :: v_dual_sub_f32 v22, v24, v19
	v_dual_mul_f32 v23, v21, v19 :: v_dual_add_f32 v20, v20, v22
	v_sub_f32_e32 v24, v21, v25
	s_delay_alu instid0(VALU_DEP_2) | instskip(NEXT) | instid1(VALU_DEP_2)
	v_fma_f32 v22, v21, v19, -v23
	v_sub_f32_e32 v24, v26, v24
	s_delay_alu instid0(VALU_DEP_2) | instskip(NEXT) | instid1(VALU_DEP_1)
	v_fmac_f32_e32 v22, v21, v20
	v_fmac_f32_e32 v22, v24, v19
	s_delay_alu instid0(VALU_DEP_1) | instskip(NEXT) | instid1(VALU_DEP_1)
	v_add_f32_e32 v19, v23, v22
	v_add_f32_e32 v21, v18, v19
	v_dual_sub_f32 v20, v19, v23 :: v_dual_mul_f32 v23, 0x3f317218, v14
	s_delay_alu instid0(VALU_DEP_2) | instskip(NEXT) | instid1(VALU_DEP_2)
	v_sub_f32_e32 v18, v21, v18
	v_sub_f32_e32 v20, v22, v20
	s_delay_alu instid0(VALU_DEP_3) | instskip(NEXT) | instid1(VALU_DEP_3)
	v_fma_f32 v22, 0x3f317218, v14, -v23
	v_sub_f32_e32 v18, v19, v18
	s_delay_alu instid0(VALU_DEP_2) | instskip(NEXT) | instid1(VALU_DEP_1)
	v_dual_add_f32 v15, v15, v20 :: v_dual_fmac_f32 v22, 0xb102e308, v14
	v_add_f32_e32 v14, v15, v18
	s_delay_alu instid0(VALU_DEP_2) | instskip(NEXT) | instid1(VALU_DEP_1)
	v_add_f32_e32 v15, v23, v22
	v_dual_add_f32 v18, v21, v14 :: v_dual_sub_f32 v23, v15, v23
	s_delay_alu instid0(VALU_DEP_1) | instskip(NEXT) | instid1(VALU_DEP_1)
	v_add_f32_e32 v19, v15, v18
	v_dual_sub_f32 v21, v18, v21 :: v_dual_sub_f32 v20, v19, v15
	s_delay_alu instid0(VALU_DEP_1) | instskip(SKIP_1) | instid1(VALU_DEP_2)
	v_sub_f32_e32 v24, v19, v20
	v_sub_f32_e32 v18, v18, v20
	v_dual_sub_f32 v15, v15, v24 :: v_dual_sub_f32 v22, v22, v23
	s_delay_alu instid0(VALU_DEP_1) | instskip(SKIP_1) | instid1(VALU_DEP_1)
	v_add_f32_e32 v15, v18, v15
	v_sub_f32_e32 v14, v14, v21
	v_add_f32_e32 v20, v22, v14
	s_delay_alu instid0(VALU_DEP_1) | instskip(NEXT) | instid1(VALU_DEP_1)
	v_add_f32_e32 v15, v20, v15
	v_dual_sub_f32 v18, v20, v22 :: v_dual_add_f32 v21, v19, v15
	s_delay_alu instid0(VALU_DEP_1) | instskip(NEXT) | instid1(VALU_DEP_1)
	v_dual_sub_f32 v20, v20, v18 :: v_dual_sub_f32 v19, v21, v19
	v_dual_sub_f32 v15, v15, v19 :: v_dual_sub_f32 v14, v14, v18
	s_delay_alu instid0(VALU_DEP_2) | instskip(NEXT) | instid1(VALU_DEP_1)
	v_sub_f32_e32 v18, v22, v20
	v_add_f32_e32 v14, v14, v18
	s_delay_alu instid0(VALU_DEP_1) | instskip(NEXT) | instid1(VALU_DEP_1)
	v_add_f32_e32 v14, v14, v15
	v_add_f32_e32 v15, v21, v14
	s_delay_alu instid0(VALU_DEP_1) | instskip(NEXT) | instid1(VALU_DEP_1)
	v_dual_sub_f32 v18, v15, v21 :: v_dual_mul_f32 v19, v16, v15
	v_sub_f32_e32 v14, v14, v18
	s_delay_alu instid0(VALU_DEP_2) | instskip(SKIP_1) | instid1(VALU_DEP_2)
	v_fma_f32 v15, v16, v15, -v19
	v_cmp_class_f32_e64 s4, v19, 0x204
	v_fmac_f32_e32 v15, v16, v14
	s_delay_alu instid0(VALU_DEP_1) | instskip(SKIP_1) | instid1(VALU_DEP_1)
	v_add_f32_e32 v14, v19, v15
	s_wait_alu 0xf1ff
	v_cndmask_b32_e64 v18, v14, v19, s4
	s_delay_alu instid0(VALU_DEP_1) | instskip(SKIP_1) | instid1(VALU_DEP_1)
	v_cmp_eq_f32_e64 s4, 0x42b17218, v18
	s_wait_alu 0xf1ff
	v_cndmask_b32_e64 v20, 0, 0x37000000, s4
	v_cmp_neq_f32_e64 s4, 0x7f800000, |v18|
	s_delay_alu instid0(VALU_DEP_2) | instskip(SKIP_1) | instid1(VALU_DEP_2)
	v_sub_f32_e32 v21, v18, v20
	v_sub_f32_e32 v14, v14, v19
	v_mul_f32_e32 v22, 0x3fb8aa3b, v21
	s_delay_alu instid0(VALU_DEP_2) | instskip(SKIP_2) | instid1(VALU_DEP_4)
	v_sub_f32_e32 v14, v15, v14
	v_trunc_f32_e32 v15, v16
	v_cmp_nlt_f32_e64 s5, 0x42b17218, v21
	v_fma_f32 v23, 0x3fb8aa3b, v21, -v22
	v_rndne_f32_e32 v24, v22
	s_wait_alu 0xf1ff
	v_cndmask_b32_e64 v14, 0, v14, s4
	v_cmp_ngt_f32_e64 s4, 0xc2ce8ed0, v21
	s_delay_alu instid0(VALU_DEP_3) | instskip(SKIP_1) | instid1(VALU_DEP_4)
	v_dual_fmac_f32 v23, 0x32a5705f, v21 :: v_dual_sub_f32 v22, v22, v24
	v_cvt_i32_f32_e32 v19, v24
	v_add_f32_e32 v14, v20, v14
	s_delay_alu instid0(VALU_DEP_3) | instskip(NEXT) | instid1(VALU_DEP_1)
	v_add_f32_e32 v22, v22, v23
	v_exp_f32_e32 v22, v22
	s_delay_alu instid0(TRANS32_DEP_1) | instskip(SKIP_2) | instid1(VALU_DEP_2)
	v_ldexp_f32 v19, v22, v19
	v_mul_f32_e32 v22, 0.5, v16
	s_wait_alu 0xf1ff
	v_cndmask_b32_e64 v18, 0, v19, s4
	s_delay_alu instid0(VALU_DEP_2) | instskip(SKIP_1) | instid1(VALU_DEP_3)
	v_trunc_f32_e32 v19, v22
	v_cmp_eq_f32_e64 s4, v15, v16
	v_cndmask_b32_e64 v15, 0x7f800000, v18, s5
	s_delay_alu instid0(VALU_DEP_3) | instskip(NEXT) | instid1(VALU_DEP_2)
	v_cmp_neq_f32_e64 s5, v19, v22
	v_fma_f32 v14, v15, v14, v15
	s_and_b32 s5, s4, s5
	s_wait_alu 0xfffe
	v_cndmask_b32_e64 v18, 0, v17, s5
	v_cndmask_b32_e64 v19, 1.0, v17, s5
	v_cmp_class_f32_e64 s5, v15, 0x204
	s_wait_alu 0xf1ff
	s_delay_alu instid0(VALU_DEP_1) | instskip(SKIP_2) | instid1(VALU_DEP_3)
	v_cndmask_b32_e64 v14, v14, v15, s5
	v_cmp_gt_f32_e64 s5, 0, v16
	v_cndmask_b32_e64 v15, 0x7f800000, 0, s27
	v_bfi_b32 v14, 0x7fffffff, v14, v19
	s_delay_alu instid0(VALU_DEP_1)
	v_cndmask_b32_e64 v19, 0x7fc00000, v14, s4
	s_xor_b32 s4, s5, s6
	v_cmp_class_f32_e64 s5, v17, 0x204
	s_wait_alu 0xfffe
	v_cndmask_b32_e64 v20, 0x7f800000, 0, s4
	v_cmp_neq_f32_e64 s4, |v17|, 1.0
	s_delay_alu instid0(VALU_DEP_2) | instskip(SKIP_1) | instid1(VALU_DEP_2)
	v_bfi_b32 v18, 0x7fffffff, v20, v18
	s_wait_alu 0xf1ff
	v_cndmask_b32_e64 v15, 1.0, v15, s4
	v_cmp_gt_f32_e64 s4, 0, v17
	s_wait_alu 0xf1ff
	s_delay_alu instid0(VALU_DEP_1) | instskip(SKIP_2) | instid1(VALU_DEP_1)
	v_cndmask_b32_e64 v14, v14, v19, s4
	v_cmp_class_f32_e64 s4, v16, 0x204
	s_wait_alu 0xf1ff
	v_cndmask_b32_e64 v14, v14, v15, s4
	s_or_b32 s4, s6, s5
	s_wait_alu 0xfffe
	s_delay_alu instid0(VALU_DEP_1) | instskip(SKIP_2) | instid1(VALU_DEP_1)
	v_cndmask_b32_e64 v14, v14, v18, s4
	v_cmp_o_f32_e64 s4, v17, v16
	s_wait_alu 0xf1ff
	v_cndmask_b32_e64 v14, 0x7fc00000, v14, s4
	s_delay_alu instid0(VALU_DEP_1) | instskip(SKIP_1) | instid1(VALU_DEP_2)
	v_bfe_u32 v15, v14, 16, 1
	v_cmp_o_f32_e64 s4, v14, v14
	v_add3_u32 v15, v14, v15, 0x7fff
	s_delay_alu instid0(VALU_DEP_1) | instskip(SKIP_1) | instid1(VALU_DEP_1)
	v_lshrrev_b32_e32 v15, 16, v15
	s_wait_alu 0xf1ff
	v_cndmask_b32_e64 v14, 0x7fc0, v15, s4
	global_store_b16 v[1:2], v14, off
	s_or_b32 exec_lo, exec_lo, s26
	s_and_saveexec_b32 s26, s3
	s_cbranch_execz .LBB60_13
.LBB60_17:                              ;   in Loop: Header=BB60_4 Depth=1
	v_cmp_neq_f32_e64 s3, 1.0, v13
	s_wait_alu 0xf1ff
	s_delay_alu instid0(VALU_DEP_1) | instskip(NEXT) | instid1(VALU_DEP_1)
	v_cndmask_b32_e64 v15, 1.0, s24, s3
	v_cmp_neq_f32_e64 s3, 0, v15
	v_cmp_neq_f32_e64 s27, v15, |v15|
	s_wait_alu 0xf1ff
	s_delay_alu instid0(VALU_DEP_2) | instskip(NEXT) | instid1(VALU_DEP_1)
	v_cndmask_b32_e64 v16, 1.0, v13, s3
	v_frexp_mant_f32_e64 v13, |v16|
	v_cmp_lt_f32_e64 s28, |v16|, 1.0
	v_cmp_eq_f32_e64 s6, 0, v16
	s_delay_alu instid0(VALU_DEP_3) | instskip(SKIP_2) | instid1(VALU_DEP_1)
	v_cmp_gt_f32_e64 s3, 0x3f2aaaab, v13
	s_xor_b32 s27, s27, s28
	v_cndmask_b32_e64 v14, 1.0, 2.0, s3
	v_mul_f32_e32 v13, v13, v14
	s_delay_alu instid0(VALU_DEP_1) | instskip(SKIP_1) | instid1(VALU_DEP_2)
	v_add_f32_e32 v14, 1.0, v13
	v_add_f32_e32 v18, -1.0, v13
	v_add_f32_e32 v20, -1.0, v14
	s_delay_alu instid0(VALU_DEP_1) | instskip(SKIP_1) | instid1(TRANS32_DEP_1)
	v_sub_f32_e32 v13, v13, v20
	v_rcp_f32_e32 v17, v14
	v_mul_f32_e32 v19, v18, v17
	s_delay_alu instid0(VALU_DEP_1) | instskip(NEXT) | instid1(VALU_DEP_1)
	v_mul_f32_e32 v21, v14, v19
	v_fma_f32 v14, v19, v14, -v21
	s_delay_alu instid0(VALU_DEP_1) | instskip(NEXT) | instid1(VALU_DEP_1)
	v_fmac_f32_e32 v14, v19, v13
	v_add_f32_e32 v13, v21, v14
	s_delay_alu instid0(VALU_DEP_1) | instskip(NEXT) | instid1(VALU_DEP_1)
	v_sub_f32_e32 v20, v18, v13
	v_dual_sub_f32 v21, v13, v21 :: v_dual_sub_f32 v18, v18, v20
	s_delay_alu instid0(VALU_DEP_1) | instskip(NEXT) | instid1(VALU_DEP_1)
	v_dual_sub_f32 v14, v21, v14 :: v_dual_sub_f32 v13, v18, v13
	v_add_f32_e32 v13, v14, v13
	s_delay_alu instid0(VALU_DEP_1) | instskip(NEXT) | instid1(VALU_DEP_1)
	v_add_f32_e32 v13, v20, v13
	v_mul_f32_e32 v13, v17, v13
	s_delay_alu instid0(VALU_DEP_1) | instskip(NEXT) | instid1(VALU_DEP_1)
	v_add_f32_e32 v17, v19, v13
	v_sub_f32_e32 v14, v17, v19
	s_delay_alu instid0(VALU_DEP_1) | instskip(NEXT) | instid1(VALU_DEP_1)
	v_sub_f32_e32 v19, v13, v14
	v_dual_mul_f32 v18, v17, v17 :: v_dual_add_f32 v13, v19, v19
	s_delay_alu instid0(VALU_DEP_1) | instskip(NEXT) | instid1(VALU_DEP_1)
	v_fma_f32 v20, v17, v17, -v18
	v_fmac_f32_e32 v20, v17, v13
	v_cvt_f64_f32_e64 v[13:14], |v16|
	s_delay_alu instid0(VALU_DEP_2) | instskip(NEXT) | instid1(VALU_DEP_1)
	v_add_f32_e32 v21, v18, v20
	v_fmaak_f32 v22, s25, v21, 0x3e91f4c4
	v_sub_f32_e32 v18, v21, v18
	s_delay_alu instid0(VALU_DEP_2) | instskip(NEXT) | instid1(VALU_DEP_2)
	v_fmaak_f32 v22, v21, v22, 0x3ecccdef
	v_sub_f32_e32 v18, v20, v18
	s_delay_alu instid0(VALU_DEP_2) | instskip(NEXT) | instid1(VALU_DEP_1)
	v_mul_f32_e32 v23, v21, v22
	v_fma_f32 v20, v21, v22, -v23
	s_delay_alu instid0(VALU_DEP_1) | instskip(NEXT) | instid1(VALU_DEP_1)
	v_dual_fmac_f32 v20, v18, v22 :: v_dual_mul_f32 v25, v17, v21
	v_add_f32_e32 v22, v23, v20
	v_frexp_exp_i32_f64_e32 v13, v[13:14]
	s_delay_alu instid0(VALU_DEP_2) | instskip(NEXT) | instid1(VALU_DEP_1)
	v_sub_f32_e32 v23, v22, v23
	v_sub_f32_e32 v14, v20, v23
	v_fma_f32 v23, v21, v17, -v25
	s_delay_alu instid0(VALU_DEP_1) | instskip(NEXT) | instid1(VALU_DEP_1)
	v_dual_add_f32 v24, 0x3f2aaaaa, v22 :: v_dual_fmac_f32 v23, v21, v19
	v_add_f32_e32 v20, 0xbf2aaaaa, v24
	v_ldexp_f32 v19, v19, 1
	s_delay_alu instid0(VALU_DEP_3) | instskip(NEXT) | instid1(VALU_DEP_3)
	v_dual_fmac_f32 v23, v18, v17 :: v_dual_add_f32 v14, 0x31739010, v14
	v_sub_f32_e32 v20, v22, v20
	s_delay_alu instid0(VALU_DEP_1) | instskip(NEXT) | instid1(VALU_DEP_1)
	v_add_f32_e32 v14, v14, v20
	v_add_f32_e32 v18, v24, v14
	s_delay_alu instid0(VALU_DEP_1) | instskip(SKIP_1) | instid1(VALU_DEP_2)
	v_sub_f32_e32 v21, v24, v18
	v_subrev_co_ci_u32_e64 v13, null, 0, v13, s3
	v_add_f32_e32 v14, v14, v21
	s_delay_alu instid0(VALU_DEP_2) | instskip(SKIP_1) | instid1(VALU_DEP_1)
	v_cvt_f32_i32_e32 v13, v13
	v_add_f32_e32 v20, v25, v23
	v_mul_f32_e32 v22, v20, v18
	v_sub_f32_e32 v24, v20, v25
	s_delay_alu instid0(VALU_DEP_2) | instskip(NEXT) | instid1(VALU_DEP_2)
	v_fma_f32 v21, v20, v18, -v22
	v_sub_f32_e32 v23, v23, v24
	s_delay_alu instid0(VALU_DEP_2) | instskip(SKIP_1) | instid1(VALU_DEP_2)
	v_fmac_f32_e32 v21, v20, v14
	v_ldexp_f32 v14, v17, 1
	v_fmac_f32_e32 v21, v23, v18
	s_delay_alu instid0(VALU_DEP_1) | instskip(NEXT) | instid1(VALU_DEP_1)
	v_add_f32_e32 v17, v22, v21
	v_add_f32_e32 v18, v14, v17
	v_sub_f32_e32 v20, v17, v22
	v_mul_f32_e32 v22, 0x3f317218, v13
	s_delay_alu instid0(VALU_DEP_3) | instskip(NEXT) | instid1(VALU_DEP_3)
	v_sub_f32_e32 v14, v18, v14
	v_sub_f32_e32 v20, v21, v20
	s_delay_alu instid0(VALU_DEP_3) | instskip(NEXT) | instid1(VALU_DEP_2)
	v_fma_f32 v21, 0x3f317218, v13, -v22
	v_dual_sub_f32 v14, v17, v14 :: v_dual_add_f32 v17, v19, v20
	s_delay_alu instid0(VALU_DEP_2) | instskip(NEXT) | instid1(VALU_DEP_2)
	v_fmac_f32_e32 v21, 0xb102e308, v13
	v_add_f32_e32 v13, v17, v14
	s_delay_alu instid0(VALU_DEP_1) | instskip(NEXT) | instid1(VALU_DEP_1)
	v_add_f32_e32 v17, v18, v13
	v_sub_f32_e32 v18, v17, v18
	s_delay_alu instid0(VALU_DEP_1) | instskip(NEXT) | instid1(VALU_DEP_1)
	v_dual_sub_f32 v13, v13, v18 :: v_dual_add_f32 v14, v22, v21
	v_sub_f32_e32 v22, v14, v22
	s_delay_alu instid0(VALU_DEP_1) | instskip(SKIP_1) | instid1(VALU_DEP_2)
	v_sub_f32_e32 v21, v21, v22
	v_add_f32_e32 v19, v14, v17
	v_add_f32_e32 v18, v21, v13
	s_delay_alu instid0(VALU_DEP_2) | instskip(NEXT) | instid1(VALU_DEP_1)
	v_sub_f32_e32 v20, v19, v14
	v_sub_f32_e32 v23, v19, v20
	s_delay_alu instid0(VALU_DEP_1) | instskip(NEXT) | instid1(VALU_DEP_1)
	v_dual_sub_f32 v17, v17, v20 :: v_dual_sub_f32 v14, v14, v23
	v_dual_add_f32 v14, v17, v14 :: v_dual_sub_f32 v17, v18, v21
	s_delay_alu instid0(VALU_DEP_1) | instskip(NEXT) | instid1(VALU_DEP_2)
	v_add_f32_e32 v14, v18, v14
	v_sub_f32_e32 v18, v18, v17
	s_delay_alu instid0(VALU_DEP_2) | instskip(NEXT) | instid1(VALU_DEP_1)
	v_dual_sub_f32 v13, v13, v17 :: v_dual_add_f32 v20, v19, v14
	v_dual_sub_f32 v17, v21, v18 :: v_dual_sub_f32 v18, v20, v19
	s_delay_alu instid0(VALU_DEP_1) | instskip(NEXT) | instid1(VALU_DEP_1)
	v_dual_add_f32 v13, v13, v17 :: v_dual_sub_f32 v14, v14, v18
	v_add_f32_e32 v13, v13, v14
	s_delay_alu instid0(VALU_DEP_1) | instskip(NEXT) | instid1(VALU_DEP_1)
	v_add_f32_e32 v14, v20, v13
	v_dual_sub_f32 v17, v14, v20 :: v_dual_mul_f32 v18, v15, v14
	s_delay_alu instid0(VALU_DEP_1) | instskip(NEXT) | instid1(VALU_DEP_2)
	v_sub_f32_e32 v13, v13, v17
	v_fma_f32 v14, v15, v14, -v18
	v_cmp_class_f32_e64 s3, v18, 0x204
	s_delay_alu instid0(VALU_DEP_2) | instskip(NEXT) | instid1(VALU_DEP_1)
	v_fmac_f32_e32 v14, v15, v13
	v_add_f32_e32 v13, v18, v14
	s_wait_alu 0xf1ff
	s_delay_alu instid0(VALU_DEP_1) | instskip(NEXT) | instid1(VALU_DEP_1)
	v_cndmask_b32_e64 v17, v13, v18, s3
	v_cmp_eq_f32_e64 s3, 0x42b17218, v17
	s_wait_alu 0xf1ff
	s_delay_alu instid0(VALU_DEP_1) | instskip(SKIP_1) | instid1(VALU_DEP_2)
	v_cndmask_b32_e64 v19, 0, 0x37000000, s3
	v_cmp_neq_f32_e64 s3, 0x7f800000, |v17|
	v_sub_f32_e32 v20, v17, v19
	v_sub_f32_e32 v13, v13, v18
	v_trunc_f32_e32 v17, v15
	s_delay_alu instid0(VALU_DEP_3) | instskip(NEXT) | instid1(VALU_DEP_3)
	v_mul_f32_e32 v21, 0x3fb8aa3b, v20
	v_sub_f32_e32 v13, v14, v13
	s_delay_alu instid0(VALU_DEP_2) | instskip(SKIP_2) | instid1(VALU_DEP_3)
	v_fma_f32 v22, 0x3fb8aa3b, v20, -v21
	v_rndne_f32_e32 v23, v21
	s_wait_alu 0xf1ff
	v_cndmask_b32_e64 v13, 0, v13, s3
	v_cmp_ngt_f32_e64 s3, 0xc2ce8ed0, v20
	s_delay_alu instid0(VALU_DEP_3) | instskip(SKIP_1) | instid1(VALU_DEP_4)
	v_dual_fmac_f32 v22, 0x32a5705f, v20 :: v_dual_sub_f32 v21, v21, v23
	v_cvt_i32_f32_e32 v18, v23
	v_add_f32_e32 v13, v19, v13
	s_delay_alu instid0(VALU_DEP_3) | instskip(NEXT) | instid1(VALU_DEP_1)
	v_add_f32_e32 v21, v21, v22
	v_exp_f32_e32 v21, v21
	s_delay_alu instid0(TRANS32_DEP_1) | instskip(SKIP_2) | instid1(VALU_DEP_2)
	v_ldexp_f32 v14, v21, v18
	v_mul_f32_e32 v18, 0.5, v15
	s_wait_alu 0xf1ff
	v_cndmask_b32_e64 v14, 0, v14, s3
	v_cmp_nlt_f32_e64 s3, 0x42b17218, v20
	s_delay_alu instid0(VALU_DEP_3) | instskip(SKIP_1) | instid1(VALU_DEP_2)
	v_trunc_f32_e32 v21, v18
	s_wait_alu 0xf1ff
	v_cndmask_b32_e64 v14, 0x7f800000, v14, s3
	v_cmp_eq_f32_e64 s3, v17, v15
	s_delay_alu instid0(VALU_DEP_3) | instskip(NEXT) | instid1(VALU_DEP_3)
	v_cmp_neq_f32_e64 s4, v21, v18
	v_fma_f32 v13, v14, v13, v14
	v_cmp_class_f32_e64 s5, v14, 0x204
	s_and_b32 s4, s3, s4
	s_wait_alu 0xfffe
	v_cndmask_b32_e64 v17, 1.0, v16, s4
	v_cndmask_b32_e64 v13, v13, v14, s5
	v_cmp_gt_f32_e64 s5, 0, v15
	v_cndmask_b32_e64 v14, 0x7f800000, 0, s27
	s_delay_alu instid0(VALU_DEP_3) | instskip(NEXT) | instid1(VALU_DEP_1)
	v_bfi_b32 v13, 0x7fffffff, v13, v17
	v_cndmask_b32_e64 v17, 0x7fc00000, v13, s3
	s_xor_b32 s3, s5, s6
	s_wait_alu 0xfffe
	v_cndmask_b32_e64 v18, 0x7f800000, 0, s3
	v_cmp_neq_f32_e64 s3, |v16|, 1.0
	s_wait_alu 0xf1ff
	s_delay_alu instid0(VALU_DEP_1) | instskip(SKIP_2) | instid1(VALU_DEP_1)
	v_cndmask_b32_e64 v14, 1.0, v14, s3
	v_cmp_gt_f32_e64 s3, 0, v16
	s_wait_alu 0xf1ff
	v_cndmask_b32_e64 v13, v13, v17, s3
	v_cndmask_b32_e64 v17, 0, v16, s4
	v_cmp_class_f32_e64 s3, v15, 0x204
	v_cmp_class_f32_e64 s4, v16, 0x204
	s_wait_alu 0xf1ff
	s_delay_alu instid0(VALU_DEP_2) | instskip(SKIP_3) | instid1(VALU_DEP_1)
	v_cndmask_b32_e64 v13, v13, v14, s3
	v_bfi_b32 v14, 0x7fffffff, v18, v17
	s_or_b32 s3, s6, s4
	s_wait_alu 0xfffe
	v_cndmask_b32_e64 v13, v13, v14, s3
	v_cmp_o_f32_e64 s3, v16, v15
	s_wait_alu 0xf1ff
	s_delay_alu instid0(VALU_DEP_1) | instskip(NEXT) | instid1(VALU_DEP_1)
	v_cndmask_b32_e64 v13, 0x7fc00000, v13, s3
	v_bfe_u32 v14, v13, 16, 1
	v_cmp_o_f32_e64 s3, v13, v13
	s_delay_alu instid0(VALU_DEP_2) | instskip(NEXT) | instid1(VALU_DEP_1)
	v_add3_u32 v14, v13, v14, 0x7fff
	v_lshrrev_b32_e32 v14, 16, v14
	s_wait_alu 0xf1ff
	s_delay_alu instid0(VALU_DEP_1)
	v_cndmask_b32_e64 v13, 0x7fc0, v14, s3
	global_store_b16 v[3:4], v13, off
	s_or_b32 exec_lo, exec_lo, s26
	s_and_saveexec_b32 s6, s2
	s_cbranch_execz .LBB60_14
.LBB60_18:                              ;   in Loop: Header=BB60_4 Depth=1
	v_cmp_neq_f32_e64 s2, 1.0, v12
	s_wait_alu 0xf1ff
	s_delay_alu instid0(VALU_DEP_1) | instskip(NEXT) | instid1(VALU_DEP_1)
	v_cndmask_b32_e64 v14, 1.0, s24, s2
	v_cmp_neq_f32_e64 s2, 0, v14
	v_cmp_neq_f32_e64 s26, v14, |v14|
	s_wait_alu 0xf1ff
	s_delay_alu instid0(VALU_DEP_2) | instskip(NEXT) | instid1(VALU_DEP_1)
	v_cndmask_b32_e64 v15, 1.0, v12, s2
	v_frexp_mant_f32_e64 v12, |v15|
	v_cmp_lt_f32_e64 s27, |v15|, 1.0
	v_cmp_eq_f32_e64 s5, 0, v15
	s_delay_alu instid0(VALU_DEP_3) | instskip(SKIP_2) | instid1(VALU_DEP_1)
	v_cmp_gt_f32_e64 s2, 0x3f2aaaab, v12
	s_xor_b32 s26, s26, s27
	v_cndmask_b32_e64 v13, 1.0, 2.0, s2
	v_mul_f32_e32 v12, v12, v13
	s_delay_alu instid0(VALU_DEP_1) | instskip(SKIP_1) | instid1(VALU_DEP_2)
	v_add_f32_e32 v13, 1.0, v12
	v_add_f32_e32 v17, -1.0, v12
	v_add_f32_e32 v19, -1.0, v13
	s_delay_alu instid0(VALU_DEP_1) | instskip(SKIP_1) | instid1(TRANS32_DEP_1)
	v_sub_f32_e32 v12, v12, v19
	v_rcp_f32_e32 v16, v13
	v_mul_f32_e32 v18, v17, v16
	s_delay_alu instid0(VALU_DEP_1) | instskip(NEXT) | instid1(VALU_DEP_1)
	v_mul_f32_e32 v20, v13, v18
	v_fma_f32 v13, v18, v13, -v20
	s_delay_alu instid0(VALU_DEP_1) | instskip(NEXT) | instid1(VALU_DEP_1)
	v_fmac_f32_e32 v13, v18, v12
	v_add_f32_e32 v12, v20, v13
	s_delay_alu instid0(VALU_DEP_1) | instskip(NEXT) | instid1(VALU_DEP_1)
	v_sub_f32_e32 v19, v17, v12
	v_dual_sub_f32 v20, v12, v20 :: v_dual_sub_f32 v17, v17, v19
	s_delay_alu instid0(VALU_DEP_1) | instskip(NEXT) | instid1(VALU_DEP_1)
	v_dual_sub_f32 v13, v20, v13 :: v_dual_sub_f32 v12, v17, v12
	v_add_f32_e32 v12, v13, v12
	s_delay_alu instid0(VALU_DEP_1) | instskip(NEXT) | instid1(VALU_DEP_1)
	v_add_f32_e32 v12, v19, v12
	v_mul_f32_e32 v12, v16, v12
	s_delay_alu instid0(VALU_DEP_1) | instskip(NEXT) | instid1(VALU_DEP_1)
	v_add_f32_e32 v16, v18, v12
	v_sub_f32_e32 v13, v16, v18
	s_delay_alu instid0(VALU_DEP_1) | instskip(NEXT) | instid1(VALU_DEP_1)
	v_sub_f32_e32 v18, v12, v13
	v_dual_mul_f32 v17, v16, v16 :: v_dual_add_f32 v12, v18, v18
	s_delay_alu instid0(VALU_DEP_1) | instskip(NEXT) | instid1(VALU_DEP_1)
	v_fma_f32 v19, v16, v16, -v17
	v_fmac_f32_e32 v19, v16, v12
	v_cvt_f64_f32_e64 v[12:13], |v15|
	s_delay_alu instid0(VALU_DEP_2) | instskip(NEXT) | instid1(VALU_DEP_1)
	v_add_f32_e32 v20, v17, v19
	v_fmaak_f32 v21, s25, v20, 0x3e91f4c4
	v_sub_f32_e32 v17, v20, v17
	s_delay_alu instid0(VALU_DEP_2) | instskip(NEXT) | instid1(VALU_DEP_2)
	v_fmaak_f32 v21, v20, v21, 0x3ecccdef
	v_sub_f32_e32 v17, v19, v17
	s_delay_alu instid0(VALU_DEP_2) | instskip(NEXT) | instid1(VALU_DEP_1)
	v_mul_f32_e32 v22, v20, v21
	v_fma_f32 v19, v20, v21, -v22
	s_delay_alu instid0(VALU_DEP_1) | instskip(NEXT) | instid1(VALU_DEP_1)
	v_dual_fmac_f32 v19, v17, v21 :: v_dual_mul_f32 v24, v16, v20
	v_add_f32_e32 v21, v22, v19
	v_frexp_exp_i32_f64_e32 v12, v[12:13]
	s_delay_alu instid0(VALU_DEP_2) | instskip(NEXT) | instid1(VALU_DEP_1)
	v_sub_f32_e32 v22, v21, v22
	v_sub_f32_e32 v13, v19, v22
	v_fma_f32 v22, v20, v16, -v24
	s_delay_alu instid0(VALU_DEP_1) | instskip(NEXT) | instid1(VALU_DEP_1)
	v_dual_add_f32 v23, 0x3f2aaaaa, v21 :: v_dual_fmac_f32 v22, v20, v18
	v_add_f32_e32 v19, 0xbf2aaaaa, v23
	v_ldexp_f32 v18, v18, 1
	s_delay_alu instid0(VALU_DEP_3) | instskip(NEXT) | instid1(VALU_DEP_3)
	v_dual_fmac_f32 v22, v17, v16 :: v_dual_add_f32 v13, 0x31739010, v13
	v_sub_f32_e32 v19, v21, v19
	s_delay_alu instid0(VALU_DEP_1) | instskip(NEXT) | instid1(VALU_DEP_1)
	v_add_f32_e32 v13, v13, v19
	v_add_f32_e32 v17, v23, v13
	s_delay_alu instid0(VALU_DEP_1) | instskip(SKIP_1) | instid1(VALU_DEP_2)
	v_sub_f32_e32 v20, v23, v17
	v_subrev_co_ci_u32_e64 v12, null, 0, v12, s2
	v_add_f32_e32 v13, v13, v20
	s_delay_alu instid0(VALU_DEP_2) | instskip(SKIP_1) | instid1(VALU_DEP_1)
	v_cvt_f32_i32_e32 v12, v12
	v_add_f32_e32 v19, v24, v22
	v_mul_f32_e32 v21, v19, v17
	v_sub_f32_e32 v23, v19, v24
	s_delay_alu instid0(VALU_DEP_2) | instskip(NEXT) | instid1(VALU_DEP_2)
	v_fma_f32 v20, v19, v17, -v21
	v_sub_f32_e32 v22, v22, v23
	s_delay_alu instid0(VALU_DEP_2) | instskip(SKIP_1) | instid1(VALU_DEP_2)
	v_fmac_f32_e32 v20, v19, v13
	v_ldexp_f32 v13, v16, 1
	v_fmac_f32_e32 v20, v22, v17
	s_delay_alu instid0(VALU_DEP_1) | instskip(NEXT) | instid1(VALU_DEP_1)
	v_add_f32_e32 v16, v21, v20
	v_add_f32_e32 v17, v13, v16
	v_sub_f32_e32 v19, v16, v21
	v_mul_f32_e32 v21, 0x3f317218, v12
	s_delay_alu instid0(VALU_DEP_3) | instskip(NEXT) | instid1(VALU_DEP_3)
	v_sub_f32_e32 v13, v17, v13
	v_sub_f32_e32 v19, v20, v19
	s_delay_alu instid0(VALU_DEP_3) | instskip(NEXT) | instid1(VALU_DEP_2)
	v_fma_f32 v20, 0x3f317218, v12, -v21
	v_dual_sub_f32 v13, v16, v13 :: v_dual_add_f32 v16, v18, v19
	s_delay_alu instid0(VALU_DEP_2) | instskip(NEXT) | instid1(VALU_DEP_2)
	v_fmac_f32_e32 v20, 0xb102e308, v12
	v_add_f32_e32 v12, v16, v13
	s_delay_alu instid0(VALU_DEP_1) | instskip(NEXT) | instid1(VALU_DEP_1)
	v_add_f32_e32 v16, v17, v12
	v_sub_f32_e32 v17, v16, v17
	s_delay_alu instid0(VALU_DEP_1) | instskip(NEXT) | instid1(VALU_DEP_1)
	v_dual_sub_f32 v12, v12, v17 :: v_dual_add_f32 v13, v21, v20
	v_sub_f32_e32 v21, v13, v21
	s_delay_alu instid0(VALU_DEP_1) | instskip(SKIP_1) | instid1(VALU_DEP_2)
	v_sub_f32_e32 v20, v20, v21
	v_add_f32_e32 v18, v13, v16
	v_add_f32_e32 v17, v20, v12
	s_delay_alu instid0(VALU_DEP_2) | instskip(NEXT) | instid1(VALU_DEP_1)
	v_sub_f32_e32 v19, v18, v13
	v_sub_f32_e32 v22, v18, v19
	s_delay_alu instid0(VALU_DEP_1) | instskip(NEXT) | instid1(VALU_DEP_1)
	v_dual_sub_f32 v16, v16, v19 :: v_dual_sub_f32 v13, v13, v22
	v_dual_add_f32 v13, v16, v13 :: v_dual_sub_f32 v16, v17, v20
	s_delay_alu instid0(VALU_DEP_1) | instskip(NEXT) | instid1(VALU_DEP_2)
	v_add_f32_e32 v13, v17, v13
	v_sub_f32_e32 v17, v17, v16
	s_delay_alu instid0(VALU_DEP_2) | instskip(NEXT) | instid1(VALU_DEP_1)
	v_dual_sub_f32 v12, v12, v16 :: v_dual_add_f32 v19, v18, v13
	v_dual_sub_f32 v16, v20, v17 :: v_dual_sub_f32 v17, v19, v18
	s_delay_alu instid0(VALU_DEP_1) | instskip(NEXT) | instid1(VALU_DEP_1)
	v_dual_add_f32 v12, v12, v16 :: v_dual_sub_f32 v13, v13, v17
	v_add_f32_e32 v12, v12, v13
	s_delay_alu instid0(VALU_DEP_1) | instskip(NEXT) | instid1(VALU_DEP_1)
	v_add_f32_e32 v13, v19, v12
	v_dual_sub_f32 v16, v13, v19 :: v_dual_mul_f32 v17, v14, v13
	s_delay_alu instid0(VALU_DEP_1) | instskip(NEXT) | instid1(VALU_DEP_2)
	v_sub_f32_e32 v12, v12, v16
	v_fma_f32 v13, v14, v13, -v17
	v_cmp_class_f32_e64 s2, v17, 0x204
	s_delay_alu instid0(VALU_DEP_2) | instskip(NEXT) | instid1(VALU_DEP_1)
	v_fmac_f32_e32 v13, v14, v12
	v_add_f32_e32 v12, v17, v13
	s_wait_alu 0xf1ff
	s_delay_alu instid0(VALU_DEP_1) | instskip(NEXT) | instid1(VALU_DEP_1)
	v_cndmask_b32_e64 v16, v12, v17, s2
	v_cmp_eq_f32_e64 s2, 0x42b17218, v16
	s_wait_alu 0xf1ff
	s_delay_alu instid0(VALU_DEP_1) | instskip(SKIP_1) | instid1(VALU_DEP_2)
	v_cndmask_b32_e64 v18, 0, 0x37000000, s2
	v_cmp_neq_f32_e64 s2, 0x7f800000, |v16|
	v_sub_f32_e32 v19, v16, v18
	v_sub_f32_e32 v12, v12, v17
	v_trunc_f32_e32 v16, v14
	s_delay_alu instid0(VALU_DEP_3) | instskip(NEXT) | instid1(VALU_DEP_3)
	v_mul_f32_e32 v20, 0x3fb8aa3b, v19
	v_sub_f32_e32 v12, v13, v12
	s_delay_alu instid0(VALU_DEP_2) | instskip(SKIP_2) | instid1(VALU_DEP_3)
	v_fma_f32 v21, 0x3fb8aa3b, v19, -v20
	v_rndne_f32_e32 v22, v20
	s_wait_alu 0xf1ff
	v_cndmask_b32_e64 v12, 0, v12, s2
	v_cmp_ngt_f32_e64 s2, 0xc2ce8ed0, v19
	s_delay_alu instid0(VALU_DEP_3) | instskip(SKIP_1) | instid1(VALU_DEP_4)
	v_dual_fmac_f32 v21, 0x32a5705f, v19 :: v_dual_sub_f32 v20, v20, v22
	v_cvt_i32_f32_e32 v17, v22
	v_add_f32_e32 v12, v18, v12
	s_delay_alu instid0(VALU_DEP_3) | instskip(NEXT) | instid1(VALU_DEP_1)
	v_add_f32_e32 v20, v20, v21
	v_exp_f32_e32 v20, v20
	s_delay_alu instid0(TRANS32_DEP_1) | instskip(SKIP_2) | instid1(VALU_DEP_2)
	v_ldexp_f32 v13, v20, v17
	v_mul_f32_e32 v17, 0.5, v14
	s_wait_alu 0xf1ff
	v_cndmask_b32_e64 v13, 0, v13, s2
	v_cmp_nlt_f32_e64 s2, 0x42b17218, v19
	s_delay_alu instid0(VALU_DEP_3) | instskip(SKIP_1) | instid1(VALU_DEP_2)
	v_trunc_f32_e32 v20, v17
	s_wait_alu 0xf1ff
	v_cndmask_b32_e64 v13, 0x7f800000, v13, s2
	v_cmp_eq_f32_e64 s2, v16, v14
	s_delay_alu instid0(VALU_DEP_3) | instskip(NEXT) | instid1(VALU_DEP_3)
	v_cmp_neq_f32_e64 s3, v20, v17
	v_fma_f32 v12, v13, v12, v13
	v_cmp_class_f32_e64 s4, v13, 0x204
	s_and_b32 s3, s2, s3
	s_wait_alu 0xfffe
	v_cndmask_b32_e64 v16, 1.0, v15, s3
	v_cndmask_b32_e64 v18, 0, v15, s3
	v_cndmask_b32_e64 v12, v12, v13, s4
	;; [unrolled: 1-line block ×3, first 2 shown]
	v_cmp_gt_f32_e64 s4, 0, v14
	v_cmp_class_f32_e64 s3, v15, 0x204
	s_delay_alu instid0(VALU_DEP_4) | instskip(SKIP_3) | instid1(VALU_DEP_2)
	v_bfi_b32 v12, 0x7fffffff, v12, v16
	s_xor_b32 s4, s4, s5
	s_wait_alu 0xfffe
	v_cndmask_b32_e64 v16, 0x7f800000, 0, s4
	v_cndmask_b32_e64 v17, 0x7fc00000, v12, s2
	v_cmp_neq_f32_e64 s2, |v15|, 1.0
	s_delay_alu instid0(VALU_DEP_3) | instskip(SKIP_1) | instid1(VALU_DEP_2)
	v_bfi_b32 v16, 0x7fffffff, v16, v18
	s_wait_alu 0xf1ff
	v_cndmask_b32_e64 v13, 1.0, v13, s2
	v_cmp_gt_f32_e64 s2, 0, v15
	s_wait_alu 0xf1ff
	s_delay_alu instid0(VALU_DEP_1) | instskip(SKIP_2) | instid1(VALU_DEP_1)
	v_cndmask_b32_e64 v12, v12, v17, s2
	v_cmp_class_f32_e64 s2, v14, 0x204
	s_wait_alu 0xf1ff
	v_cndmask_b32_e64 v12, v12, v13, s2
	s_or_b32 s2, s5, s3
	s_wait_alu 0xfffe
	s_delay_alu instid0(VALU_DEP_1) | instskip(SKIP_2) | instid1(VALU_DEP_1)
	v_cndmask_b32_e64 v12, v12, v16, s2
	v_cmp_o_f32_e64 s2, v15, v14
	s_wait_alu 0xf1ff
	v_cndmask_b32_e64 v12, 0x7fc00000, v12, s2
	s_delay_alu instid0(VALU_DEP_1) | instskip(SKIP_1) | instid1(VALU_DEP_2)
	v_bfe_u32 v13, v12, 16, 1
	v_cmp_o_f32_e64 s2, v12, v12
	v_add3_u32 v13, v12, v13, 0x7fff
	s_delay_alu instid0(VALU_DEP_1) | instskip(SKIP_1) | instid1(VALU_DEP_1)
	v_lshrrev_b32_e32 v13, 16, v13
	s_wait_alu 0xf1ff
	v_cndmask_b32_e64 v14, 0x7fc0, v13, s2
	v_add_co_u32 v12, s2, v1, s14
	s_wait_alu 0xf1ff
	v_add_co_ci_u32_e64 v13, null, 0, v2, s2
	global_store_b16 v[12:13], v14, off
	s_or_b32 exec_lo, exec_lo, s6
	s_and_saveexec_b32 s5, vcc_lo
	s_cbranch_execz .LBB60_3
.LBB60_19:                              ;   in Loop: Header=BB60_4 Depth=1
	v_cmp_neq_f32_e32 vcc_lo, 1.0, v11
	s_wait_alu 0xfffd
	v_cndmask_b32_e64 v13, 1.0, s24, vcc_lo
	s_delay_alu instid0(VALU_DEP_1) | instskip(SKIP_3) | instid1(VALU_DEP_1)
	v_cmp_neq_f32_e32 vcc_lo, 0, v13
	v_cmp_neq_f32_e64 s6, v13, |v13|
	s_wait_alu 0xfffd
	v_cndmask_b32_e32 v14, 1.0, v11, vcc_lo
	v_frexp_mant_f32_e64 v11, |v14|
	s_delay_alu instid0(VALU_DEP_1) | instskip(SKIP_2) | instid1(VALU_DEP_1)
	v_cmp_gt_f32_e32 vcc_lo, 0x3f2aaaab, v11
	s_wait_alu 0xfffd
	v_cndmask_b32_e64 v12, 1.0, 2.0, vcc_lo
	v_mul_f32_e32 v11, v11, v12
	v_cmp_lt_f32_e64 s26, |v14|, 1.0
	v_cmp_eq_f32_e64 s4, 0, v14
	s_delay_alu instid0(VALU_DEP_3) | instskip(SKIP_2) | instid1(VALU_DEP_2)
	v_add_f32_e32 v12, 1.0, v11
	v_add_f32_e32 v16, -1.0, v11
	s_xor_b32 s6, s6, s26
	v_add_f32_e32 v18, -1.0, v12
	s_delay_alu instid0(VALU_DEP_1) | instskip(SKIP_1) | instid1(TRANS32_DEP_1)
	v_sub_f32_e32 v11, v11, v18
	v_rcp_f32_e32 v15, v12
	v_mul_f32_e32 v17, v16, v15
	s_delay_alu instid0(VALU_DEP_1) | instskip(NEXT) | instid1(VALU_DEP_1)
	v_mul_f32_e32 v19, v12, v17
	v_fma_f32 v12, v17, v12, -v19
	s_delay_alu instid0(VALU_DEP_1) | instskip(NEXT) | instid1(VALU_DEP_1)
	v_fmac_f32_e32 v12, v17, v11
	v_add_f32_e32 v11, v19, v12
	s_delay_alu instid0(VALU_DEP_1) | instskip(NEXT) | instid1(VALU_DEP_1)
	v_sub_f32_e32 v18, v16, v11
	v_dual_sub_f32 v16, v16, v18 :: v_dual_sub_f32 v19, v11, v19
	s_delay_alu instid0(VALU_DEP_1) | instskip(NEXT) | instid1(VALU_DEP_1)
	v_dual_sub_f32 v11, v16, v11 :: v_dual_sub_f32 v12, v19, v12
	v_add_f32_e32 v11, v12, v11
	s_delay_alu instid0(VALU_DEP_1) | instskip(NEXT) | instid1(VALU_DEP_1)
	v_add_f32_e32 v11, v18, v11
	v_mul_f32_e32 v11, v15, v11
	s_delay_alu instid0(VALU_DEP_1) | instskip(NEXT) | instid1(VALU_DEP_1)
	v_add_f32_e32 v15, v17, v11
	v_sub_f32_e32 v12, v15, v17
	s_delay_alu instid0(VALU_DEP_1) | instskip(NEXT) | instid1(VALU_DEP_1)
	v_sub_f32_e32 v17, v11, v12
	v_dual_mul_f32 v16, v15, v15 :: v_dual_add_f32 v11, v17, v17
	s_delay_alu instid0(VALU_DEP_1) | instskip(NEXT) | instid1(VALU_DEP_1)
	v_fma_f32 v18, v15, v15, -v16
	v_fmac_f32_e32 v18, v15, v11
	v_cvt_f64_f32_e64 v[11:12], |v14|
	s_delay_alu instid0(VALU_DEP_2) | instskip(NEXT) | instid1(VALU_DEP_1)
	v_add_f32_e32 v19, v16, v18
	v_fmaak_f32 v20, s25, v19, 0x3e91f4c4
	v_sub_f32_e32 v16, v19, v16
	s_delay_alu instid0(VALU_DEP_2) | instskip(NEXT) | instid1(VALU_DEP_2)
	v_fmaak_f32 v20, v19, v20, 0x3ecccdef
	v_sub_f32_e32 v16, v18, v16
	s_delay_alu instid0(VALU_DEP_2) | instskip(NEXT) | instid1(VALU_DEP_1)
	v_mul_f32_e32 v21, v19, v20
	v_fma_f32 v18, v19, v20, -v21
	s_delay_alu instid0(VALU_DEP_1) | instskip(NEXT) | instid1(VALU_DEP_1)
	v_dual_fmac_f32 v18, v16, v20 :: v_dual_mul_f32 v23, v15, v19
	v_add_f32_e32 v20, v21, v18
	v_frexp_exp_i32_f64_e32 v11, v[11:12]
	s_delay_alu instid0(VALU_DEP_2) | instskip(NEXT) | instid1(VALU_DEP_1)
	v_sub_f32_e32 v21, v20, v21
	v_sub_f32_e32 v12, v18, v21
	v_fma_f32 v21, v19, v15, -v23
	s_delay_alu instid0(VALU_DEP_1) | instskip(SKIP_2) | instid1(VALU_DEP_2)
	v_dual_add_f32 v12, 0x31739010, v12 :: v_dual_fmac_f32 v21, v19, v17
	v_add_f32_e32 v22, 0x3f2aaaaa, v20
	v_ldexp_f32 v17, v17, 1
	v_dual_fmac_f32 v21, v16, v15 :: v_dual_add_f32 v18, 0xbf2aaaaa, v22
	s_delay_alu instid0(VALU_DEP_1) | instskip(NEXT) | instid1(VALU_DEP_1)
	v_sub_f32_e32 v18, v20, v18
	v_add_f32_e32 v12, v12, v18
	s_delay_alu instid0(VALU_DEP_1) | instskip(SKIP_1) | instid1(VALU_DEP_2)
	v_add_f32_e32 v16, v22, v12
	v_subrev_co_ci_u32_e64 v11, null, 0, v11, vcc_lo
	v_sub_f32_e32 v19, v22, v16
	s_delay_alu instid0(VALU_DEP_2) | instskip(SKIP_1) | instid1(VALU_DEP_3)
	v_cvt_f32_i32_e32 v11, v11
	v_add_f32_e32 v18, v23, v21
	v_add_f32_e32 v12, v12, v19
	s_delay_alu instid0(VALU_DEP_2) | instskip(SKIP_1) | instid1(VALU_DEP_2)
	v_mul_f32_e32 v20, v18, v16
	v_sub_f32_e32 v22, v18, v23
	v_fma_f32 v19, v18, v16, -v20
	s_delay_alu instid0(VALU_DEP_2) | instskip(NEXT) | instid1(VALU_DEP_2)
	v_sub_f32_e32 v21, v21, v22
	v_fmac_f32_e32 v19, v18, v12
	v_ldexp_f32 v12, v15, 1
	s_delay_alu instid0(VALU_DEP_2) | instskip(NEXT) | instid1(VALU_DEP_1)
	v_fmac_f32_e32 v19, v21, v16
	v_add_f32_e32 v15, v20, v19
	s_delay_alu instid0(VALU_DEP_1) | instskip(SKIP_2) | instid1(VALU_DEP_3)
	v_add_f32_e32 v16, v12, v15
	v_sub_f32_e32 v18, v15, v20
	v_mul_f32_e32 v20, 0x3f317218, v11
	v_sub_f32_e32 v12, v16, v12
	s_delay_alu instid0(VALU_DEP_3) | instskip(NEXT) | instid1(VALU_DEP_3)
	v_sub_f32_e32 v18, v19, v18
	v_fma_f32 v19, 0x3f317218, v11, -v20
	s_delay_alu instid0(VALU_DEP_2) | instskip(NEXT) | instid1(VALU_DEP_2)
	v_dual_sub_f32 v12, v15, v12 :: v_dual_add_f32 v15, v17, v18
	v_fmac_f32_e32 v19, 0xb102e308, v11
	s_delay_alu instid0(VALU_DEP_2) | instskip(NEXT) | instid1(VALU_DEP_1)
	v_add_f32_e32 v11, v15, v12
	v_add_f32_e32 v15, v16, v11
	s_delay_alu instid0(VALU_DEP_1) | instskip(NEXT) | instid1(VALU_DEP_1)
	v_sub_f32_e32 v16, v15, v16
	v_dual_sub_f32 v11, v11, v16 :: v_dual_add_f32 v12, v20, v19
	s_delay_alu instid0(VALU_DEP_1) | instskip(NEXT) | instid1(VALU_DEP_1)
	v_sub_f32_e32 v20, v12, v20
	v_sub_f32_e32 v19, v19, v20
	v_add_f32_e32 v17, v12, v15
	s_delay_alu instid0(VALU_DEP_2) | instskip(NEXT) | instid1(VALU_DEP_2)
	v_add_f32_e32 v16, v19, v11
	v_sub_f32_e32 v18, v17, v12
	s_delay_alu instid0(VALU_DEP_1) | instskip(NEXT) | instid1(VALU_DEP_1)
	v_sub_f32_e32 v21, v17, v18
	v_dual_sub_f32 v15, v15, v18 :: v_dual_sub_f32 v12, v12, v21
	s_delay_alu instid0(VALU_DEP_1) | instskip(NEXT) | instid1(VALU_DEP_1)
	v_dual_add_f32 v12, v15, v12 :: v_dual_sub_f32 v15, v16, v19
	v_add_f32_e32 v12, v16, v12
	s_delay_alu instid0(VALU_DEP_2) | instskip(NEXT) | instid1(VALU_DEP_2)
	v_sub_f32_e32 v16, v16, v15
	v_dual_sub_f32 v11, v11, v15 :: v_dual_add_f32 v18, v17, v12
	s_delay_alu instid0(VALU_DEP_1) | instskip(NEXT) | instid1(VALU_DEP_1)
	v_dual_sub_f32 v15, v19, v16 :: v_dual_sub_f32 v16, v18, v17
	v_dual_add_f32 v11, v11, v15 :: v_dual_sub_f32 v12, v12, v16
	s_delay_alu instid0(VALU_DEP_1) | instskip(NEXT) | instid1(VALU_DEP_1)
	v_add_f32_e32 v11, v11, v12
	v_add_f32_e32 v12, v18, v11
	s_delay_alu instid0(VALU_DEP_1) | instskip(NEXT) | instid1(VALU_DEP_1)
	v_dual_sub_f32 v15, v12, v18 :: v_dual_mul_f32 v16, v13, v12
	v_sub_f32_e32 v11, v11, v15
	s_delay_alu instid0(VALU_DEP_2) | instskip(SKIP_1) | instid1(VALU_DEP_2)
	v_fma_f32 v12, v13, v12, -v16
	v_cmp_class_f32_e64 vcc_lo, v16, 0x204
	v_fmac_f32_e32 v12, v13, v11
	s_delay_alu instid0(VALU_DEP_1) | instskip(SKIP_1) | instid1(VALU_DEP_1)
	v_add_f32_e32 v11, v16, v12
	s_wait_alu 0xfffd
	v_cndmask_b32_e32 v15, v11, v16, vcc_lo
	s_delay_alu instid0(VALU_DEP_1) | instskip(SKIP_3) | instid1(VALU_DEP_2)
	v_cmp_eq_f32_e32 vcc_lo, 0x42b17218, v15
	s_wait_alu 0xfffd
	v_cndmask_b32_e64 v17, 0, 0x37000000, vcc_lo
	v_cmp_neq_f32_e64 vcc_lo, 0x7f800000, |v15|
	v_sub_f32_e32 v18, v15, v17
	v_sub_f32_e32 v11, v11, v16
	v_trunc_f32_e32 v15, v13
	s_delay_alu instid0(VALU_DEP_3) | instskip(NEXT) | instid1(VALU_DEP_3)
	v_mul_f32_e32 v19, 0x3fb8aa3b, v18
	v_sub_f32_e32 v11, v12, v11
	s_delay_alu instid0(VALU_DEP_2) | instskip(SKIP_2) | instid1(VALU_DEP_3)
	v_fma_f32 v20, 0x3fb8aa3b, v18, -v19
	v_rndne_f32_e32 v21, v19
	s_wait_alu 0xfffd
	v_cndmask_b32_e32 v11, 0, v11, vcc_lo
	v_cmp_ngt_f32_e32 vcc_lo, 0xc2ce8ed0, v18
	s_delay_alu instid0(VALU_DEP_3) | instskip(SKIP_1) | instid1(VALU_DEP_4)
	v_dual_fmac_f32 v20, 0x32a5705f, v18 :: v_dual_sub_f32 v19, v19, v21
	v_cvt_i32_f32_e32 v16, v21
	v_add_f32_e32 v11, v17, v11
	s_delay_alu instid0(VALU_DEP_3) | instskip(NEXT) | instid1(VALU_DEP_1)
	v_add_f32_e32 v19, v19, v20
	v_exp_f32_e32 v19, v19
	s_delay_alu instid0(TRANS32_DEP_1) | instskip(SKIP_2) | instid1(VALU_DEP_2)
	v_ldexp_f32 v12, v19, v16
	v_mul_f32_e32 v16, 0.5, v13
	s_wait_alu 0xfffd
	v_cndmask_b32_e32 v12, 0, v12, vcc_lo
	v_cmp_nlt_f32_e32 vcc_lo, 0x42b17218, v18
	s_delay_alu instid0(VALU_DEP_3) | instskip(SKIP_1) | instid1(VALU_DEP_3)
	v_trunc_f32_e32 v19, v16
	s_wait_alu 0xfffd
	v_cndmask_b32_e32 v12, 0x7f800000, v12, vcc_lo
	v_cmp_eq_f32_e32 vcc_lo, v15, v13
	s_delay_alu instid0(VALU_DEP_3) | instskip(NEXT) | instid1(VALU_DEP_3)
	v_cmp_neq_f32_e64 s2, v19, v16
	v_fma_f32 v11, v12, v11, v12
	v_cmp_class_f32_e64 s3, v12, 0x204
	s_and_b32 s2, vcc_lo, s2
	s_wait_alu 0xfffe
	v_cndmask_b32_e64 v15, 1.0, v14, s2
	v_cndmask_b32_e64 v17, 0, v14, s2
	v_cndmask_b32_e64 v11, v11, v12, s3
	;; [unrolled: 1-line block ×3, first 2 shown]
	v_cmp_gt_f32_e64 s3, 0, v13
	v_cmp_class_f32_e64 s2, v14, 0x204
	s_delay_alu instid0(VALU_DEP_4) | instskip(SKIP_3) | instid1(VALU_DEP_2)
	v_bfi_b32 v11, 0x7fffffff, v11, v15
	s_xor_b32 s3, s3, s4
	s_wait_alu 0xfffe
	v_cndmask_b32_e64 v15, 0x7f800000, 0, s3
	v_cndmask_b32_e32 v16, 0x7fc00000, v11, vcc_lo
	v_cmp_neq_f32_e64 vcc_lo, |v14|, 1.0
	s_delay_alu instid0(VALU_DEP_3)
	v_bfi_b32 v15, 0x7fffffff, v15, v17
	s_wait_alu 0xfffd
	v_cndmask_b32_e32 v12, 1.0, v12, vcc_lo
	v_cmp_gt_f32_e32 vcc_lo, 0, v14
	s_wait_alu 0xfffd
	v_cndmask_b32_e32 v11, v11, v16, vcc_lo
	v_cmp_class_f32_e64 vcc_lo, v13, 0x204
	s_wait_alu 0xfffd
	s_delay_alu instid0(VALU_DEP_2) | instskip(SKIP_2) | instid1(VALU_DEP_1)
	v_cndmask_b32_e32 v11, v11, v12, vcc_lo
	s_or_b32 vcc_lo, s4, s2
	s_wait_alu 0xfffe
	v_cndmask_b32_e32 v11, v11, v15, vcc_lo
	v_cmp_o_f32_e32 vcc_lo, v14, v13
	s_wait_alu 0xfffd
	s_delay_alu instid0(VALU_DEP_2) | instskip(NEXT) | instid1(VALU_DEP_1)
	v_cndmask_b32_e32 v11, 0x7fc00000, v11, vcc_lo
	v_bfe_u32 v12, v11, 16, 1
	v_cmp_o_f32_e32 vcc_lo, v11, v11
	s_delay_alu instid0(VALU_DEP_2) | instskip(NEXT) | instid1(VALU_DEP_1)
	v_add3_u32 v12, v11, v12, 0x7fff
	v_lshrrev_b32_e32 v12, 16, v12
	s_wait_alu 0xfffd
	s_delay_alu instid0(VALU_DEP_1)
	v_cndmask_b32_e32 v13, 0x7fc0, v12, vcc_lo
	v_add_co_u32 v11, vcc_lo, v1, s20
	s_wait_alu 0xfffd
	v_add_co_ci_u32_e64 v12, null, s21, v2, vcc_lo
	global_store_b16 v[11:12], v13, off
	s_branch .LBB60_3
.LBB60_20:
	s_cbranch_execz .LBB60_22
	s_branch .LBB60_25
.LBB60_21:
.LBB60_22:
	v_cmp_gt_i64_e64 s2, 0x10000, s[12:13]
	v_dual_mov_b32 v2, 0 :: v_dual_lshlrev_b32 v1, 2, v0
	s_mov_b32 s18, 0
	s_and_b32 s2, s2, exec_lo
	s_cselect_b32 s17, s13, 0
	s_cselect_b32 s16, s12, 0x10000
	s_mov_b32 s2, exec_lo
	s_wait_alu 0xfffe
	v_cmpx_gt_i64_e64 s[16:17], v[1:2]
	s_cbranch_execz .LBB60_25
; %bb.23:
	s_load_b32 s2, s[0:1], 0xd3c
	v_lshlrev_b32_e32 v3, 3, v0
	s_add_nc_u64 s[0:1], s[8:9], s[10:11]
	v_mov_b32_e32 v1, v2
	s_mov_b32 s21, 0x3e76c4e1
	s_delay_alu instid0(VALU_DEP_2)
	v_add_co_u32 v2, s0, s0, v3
	s_wait_alu 0xf1ff
	v_add_co_ci_u32_e64 v3, null, s1, 0, s0
	s_wait_kmcnt 0x0
	s_and_b32 s19, s2, 0xffff
	s_wait_alu 0xfffe
	s_lshl_b32 s20, s19, 3
.LBB60_24:                              ; =>This Inner Loop Header: Depth=1
	global_load_b64 v[4:5], v[2:3], off
	s_wait_loadcnt 0x0
	v_and_b32_e32 v10, 0xffff0000, v5
	v_lshlrev_b32_e32 v7, 16, v4
	v_and_b32_e32 v8, 0xffff0000, v4
	v_alignbit_b32 v9, v5, v4, 16
	s_delay_alu instid0(VALU_DEP_3) | instskip(SKIP_3) | instid1(VALU_DEP_2)
	v_cmp_neq_f32_e32 vcc_lo, 1.0, v7
	s_wait_alu 0xfffd
	v_cndmask_b32_e64 v6, 1.0, s24, vcc_lo
	v_cmp_neq_f32_e32 vcc_lo, 1.0, v8
	v_mul_f32_e32 v13, 0.5, v6
	s_wait_alu 0xfffd
	v_cndmask_b32_e64 v4, 1.0, s24, vcc_lo
	v_cmp_neq_f32_e32 vcc_lo, 1.0, v10
	v_cmp_gt_f32_e64 s4, 0, v6
	v_trunc_f32_e32 v12, v6
	v_cmp_neq_f32_e64 s11, v6, |v6|
	v_cmp_neq_f32_e64 s13, v4, |v4|
	s_wait_alu 0xfffd
	v_cndmask_b32_e64 v5, 1.0, s24, vcc_lo
	v_cmp_neq_f32_e32 vcc_lo, 0, v6
	v_cmp_eq_f32_e64 s2, v12, v6
	v_trunc_f32_e32 v12, v13
	v_trunc_f32_e32 v14, v4
	v_cmp_gt_f32_e64 s7, 0, v5
	s_wait_alu 0xfffd
	v_cndmask_b32_e32 v7, 1.0, v7, vcc_lo
	v_cmp_neq_f32_e32 vcc_lo, 0, v4
	v_and_b32_e32 v11, 0xffff0000, v9
	v_cmp_neq_f32_e64 s10, v12, v13
	v_cmp_eq_f32_e64 s3, v14, v4
	v_cmp_lt_f32_e64 s12, |v7|, 1.0
	s_wait_alu 0xfffd
	v_cndmask_b32_e32 v8, 1.0, v8, vcc_lo
	v_cmp_neq_f32_e32 vcc_lo, 1.0, v11
	v_frexp_mant_f32_e64 v18, |v7|
	v_cvt_f64_f32_e64 v[22:23], |v7|
	s_xor_b32 s11, s11, s12
	v_cmp_lt_f32_e64 s14, |v8|, 1.0
	s_wait_alu 0xfffd
	v_cndmask_b32_e64 v9, 1.0, s24, vcc_lo
	v_cmp_neq_f32_e32 vcc_lo, 0, v5
	v_frexp_mant_f32_e64 v19, |v8|
	s_wait_alu 0xfffe
	v_cndmask_b32_e64 v12, 0x7f800000, 0, s11
	v_cmp_gt_f32_e64 s9, 0x3f2aaaab, v18
	v_cmp_neq_f32_e64 s1, 0, v9
	s_wait_alu 0xfffd
	v_cndmask_b32_e32 v10, 1.0, v10, vcc_lo
	v_cmp_eq_f32_e32 vcc_lo, 0, v7
	v_cmp_gt_f32_e64 s11, 0x3f2aaaab, v19
	s_wait_alu 0xf1ff
	v_cndmask_b32_e64 v31, 1.0, 2.0, s9
	v_cndmask_b32_e64 v11, 1.0, v11, s1
	v_frexp_mant_f32_e64 v30, |v10|
	s_xor_b32 s4, s4, vcc_lo
	v_cmp_eq_f32_e64 s1, 0, v10
	s_wait_alu 0xfffe
	v_cndmask_b32_e64 v32, 0x7f800000, 0, s4
	s_xor_b32 s4, s13, s14
	v_cmp_gt_f32_e64 s13, 0x3f2aaaab, v30
	v_cndmask_b32_e64 v13, 1.0, 2.0, s11
	s_xor_b32 s7, s7, s1
	v_frexp_mant_f32_e64 v34, |v11|
	s_wait_alu 0xfffe
	v_cndmask_b32_e64 v36, 0x7f800000, 0, s7
	v_cndmask_b32_e64 v35, 1.0, 2.0, s13
	v_mul_f32_e32 v15, 0.5, v4
	s_and_b32 s7, s2, s10
	v_cmp_neq_f32_e64 s10, |v7|, 1.0
	v_cvt_f64_f32_e64 v[24:25], |v8|
	v_mul_f32_e32 v30, v30, v35
	v_trunc_f32_e32 v14, v15
	v_mul_f32_e32 v37, v19, v13
	s_wait_alu 0xf1ff
	v_cndmask_b32_e64 v12, 1.0, v12, s10
	v_trunc_f32_e32 v16, v5
	v_mul_f32_e32 v31, v18, v31
	v_cmp_neq_f32_e64 s12, v14, v15
	v_cndmask_b32_e64 v14, 0x7f800000, 0, s4
	v_add_f32_e32 v44, 1.0, v37
	s_delay_alu instid0(VALU_DEP_4)
	v_dual_mul_f32 v17, 0.5, v5 :: v_dual_add_f32 v42, 1.0, v31
	s_and_b32 s10, s3, s12
	v_cmp_neq_f32_e64 s12, |v8|, 1.0
	v_cmp_gt_f32_e64 s6, 0, v4
	v_cmp_eq_f32_e64 s0, 0, v8
	v_cmp_eq_f32_e64 s5, v16, v5
	v_trunc_f32_e32 v16, v17
	s_wait_alu 0xf1ff
	v_cndmask_b32_e64 v13, 1.0, v14, s12
	v_cmp_gt_f32_e64 s12, 0x3f2aaaab, v34
	s_xor_b32 s4, s6, s0
	v_trunc_f32_e32 v20, v9
	v_cmp_gt_f32_e64 s8, 0, v9
	s_wait_alu 0xfffe
	v_cndmask_b32_e64 v33, 0x7f800000, 0, s4
	v_cndmask_b32_e64 v18, 1.0, 2.0, s12
	v_mul_f32_e32 v21, 0.5, v9
	v_cmp_eq_f32_e64 s4, 0, v11
	v_cvt_f64_f32_e64 v[28:29], |v11|
	v_cmp_neq_f32_e64 s15, v5, |v5|
	v_cmp_neq_f32_e64 s27, v9, |v9|
	v_cmp_lt_f32_e64 s28, |v10|, 1.0
	v_cmp_lt_f32_e64 s29, |v11|, 1.0
	v_cmp_neq_f32_e64 s14, v16, v17
	v_cmp_eq_f32_e64 s6, v20, v9
	v_mul_f32_e32 v34, v34, v18
	v_trunc_f32_e32 v20, v21
	s_xor_b32 s8, s8, s4
	v_cvt_f64_f32_e64 v[26:27], |v10|
	s_xor_b32 s15, s15, s28
	s_xor_b32 s27, s27, s29
	s_wait_alu 0xfffe
	v_cndmask_b32_e64 v19, 0x7f800000, 0, s8
	s_and_b32 s8, s5, s14
	v_cndmask_b32_e64 v16, 0x7f800000, 0, s15
	v_cmp_neq_f32_e64 s15, v20, v21
	v_cndmask_b32_e64 v38, 0x7f800000, 0, s27
	s_wait_alu 0xfffe
	v_cndmask_b32_e64 v20, 1.0, v10, s8
	v_cmp_neq_f32_e64 s14, |v10|, 1.0
	v_cndmask_b32_e64 v35, 0, v7, s7
	v_cndmask_b32_e64 v40, 0, v10, s8
	v_cmp_neq_f32_e64 s8, |v11|, 1.0
	v_rcp_f32_e32 v47, v44
	s_wait_alu 0xf1ff
	v_cndmask_b32_e64 v14, 1.0, v16, s14
	v_add_f32_e32 v41, -1.0, v31
	v_bfi_b32 v18, 0x7fffffff, v32, v35
	v_cndmask_b32_e64 v16, 1.0, v38, s8
	v_dual_add_f32 v38, -1.0, v30 :: v_dual_add_f32 v43, -1.0, v37
	v_add_f32_e32 v46, -1.0, v44
	v_add_f32_e32 v32, -1.0, v42
	v_rcp_f32_e32 v35, v42
	v_add_f32_e32 v48, 1.0, v34
	v_add_f32_e32 v45, 1.0, v30
	s_delay_alu instid0(VALU_DEP_3) | instskip(NEXT) | instid1(VALU_DEP_3)
	v_dual_add_f32 v50, -1.0, v34 :: v_dual_sub_f32 v31, v31, v32
	v_dual_sub_f32 v37, v37, v46 :: v_dual_add_f32 v46, -1.0, v48
	s_delay_alu instid0(VALU_DEP_3) | instskip(SKIP_2) | instid1(VALU_DEP_2)
	v_rcp_f32_e32 v49, v45
	v_add_f32_e32 v51, -1.0, v45
	v_rcp_f32_e32 v32, v48
	v_dual_mul_f32 v53, v43, v47 :: v_dual_sub_f32 v34, v34, v46
	s_delay_alu instid0(TRANS32_DEP_3) | instskip(SKIP_2) | instid1(VALU_DEP_4)
	v_mul_f32_e32 v52, v41, v35
	v_frexp_exp_i32_f64_e32 v22, v[22:23]
	v_sub_f32_e32 v30, v30, v51
	v_mul_f32_e32 v54, v44, v53
	v_frexp_exp_i32_f64_e32 v24, v[24:25]
	s_delay_alu instid0(TRANS32_DEP_2) | instskip(SKIP_1) | instid1(TRANS32_DEP_1)
	v_mul_f32_e32 v51, v38, v49
	v_mul_f32_e32 v46, v42, v52
	;; [unrolled: 1-line block ×3, first 2 shown]
	v_fma_f32 v25, v53, v44, -v54
	v_frexp_exp_i32_f64_e32 v28, v[28:29]
	v_frexp_exp_i32_f64_e32 v26, v[26:27]
	v_fma_f32 v23, v52, v42, -v46
	s_delay_alu instid0(VALU_DEP_4) | instskip(SKIP_2) | instid1(VALU_DEP_4)
	v_dual_mul_f32 v42, v48, v55 :: v_dual_fmac_f32 v25, v53, v37
	v_mul_f32_e32 v56, v45, v51
	v_cndmask_b32_e64 v39, 0, v8, s10
	v_fmac_f32_e32 v23, v52, v31
	s_delay_alu instid0(VALU_DEP_4)
	v_fma_f32 v27, v55, v48, -v42
	v_add_f32_e32 v29, v54, v25
	v_fma_f32 v44, v51, v45, -v56
	v_cmp_class_f32_e64 s22, v7, 0x204
	v_cndmask_b32_e64 v15, 1.0, v7, s7
	v_fmac_f32_e32 v27, v55, v34
	v_sub_f32_e32 v45, v29, v54
	v_fmac_f32_e32 v44, v51, v30
	v_add_f32_e32 v30, v46, v23
	s_or_b32 vcc_lo, vcc_lo, s22
	s_delay_alu instid0(VALU_DEP_3) | instskip(SKIP_1) | instid1(VALU_DEP_2)
	v_dual_add_f32 v48, v42, v27 :: v_dual_sub_f32 v25, v45, v25
	s_and_b32 s7, s6, s15
	v_sub_f32_e32 v37, v41, v30
	v_sub_f32_e32 v34, v30, v46
	;; [unrolled: 1-line block ×3, first 2 shown]
	s_wait_alu 0xfffe
	v_cndmask_b32_e64 v21, 1.0, v11, s7
	v_cndmask_b32_e64 v17, 1.0, v8, s10
	v_sub_f32_e32 v41, v41, v37
	v_add_f32_e32 v31, v56, v44
	v_dual_sub_f32 v23, v34, v23 :: v_dual_sub_f32 v34, v43, v46
	s_delay_alu instid0(VALU_DEP_3) | instskip(NEXT) | instid1(VALU_DEP_3)
	v_dual_sub_f32 v43, v50, v48 :: v_dual_sub_f32 v30, v41, v30
	v_sub_f32_e32 v54, v31, v56
	v_sub_f32_e32 v56, v38, v31
	s_delay_alu instid0(VALU_DEP_4) | instskip(NEXT) | instid1(VALU_DEP_4)
	v_dual_sub_f32 v42, v48, v42 :: v_dual_sub_f32 v29, v34, v29
	v_add_f32_e32 v23, v23, v30
	v_subrev_co_ci_u32_e64 v22, null, 0, v22, s9
	s_delay_alu instid0(VALU_DEP_4) | instskip(NEXT) | instid1(VALU_DEP_4)
	v_sub_f32_e32 v38, v38, v56
	v_dual_sub_f32 v44, v54, v44 :: v_dual_add_f32 v25, v25, v29
	v_sub_f32_e32 v27, v42, v27
	v_sub_f32_e32 v34, v50, v43
	s_delay_alu instid0(VALU_DEP_4) | instskip(SKIP_3) | instid1(VALU_DEP_4)
	v_sub_f32_e32 v31, v38, v31
	v_subrev_co_ci_u32_e64 v24, null, 0, v24, s11
	v_cvt_f32_i32_e32 v22, v22
	v_add_f32_e32 v23, v37, v23
	v_dual_sub_f32 v29, v34, v48 :: v_dual_add_f32 v30, v44, v31
	s_delay_alu instid0(VALU_DEP_4) | instskip(NEXT) | instid1(VALU_DEP_3)
	v_cvt_f32_i32_e32 v24, v24
	v_dual_mul_f32 v34, 0x3f317218, v22 :: v_dual_mul_f32 v23, v35, v23
	v_add_f32_e32 v25, v46, v25
	s_delay_alu instid0(VALU_DEP_4) | instskip(SKIP_1) | instid1(VALU_DEP_4)
	v_add_f32_e32 v27, v27, v29
	v_add_f32_e32 v29, v56, v30
	v_dual_mul_f32 v35, 0x3f317218, v24 :: v_dual_add_f32 v30, v52, v23
	v_subrev_co_ci_u32_e64 v26, null, 0, v26, s13
	s_delay_alu instid0(VALU_DEP_4) | instskip(NEXT) | instid1(VALU_DEP_3)
	v_add_f32_e32 v27, v43, v27
	v_fma_f32 v50, 0x3f317218, v24, -v35
	s_delay_alu instid0(VALU_DEP_4) | instskip(NEXT) | instid1(VALU_DEP_4)
	v_dual_sub_f32 v38, v30, v52 :: v_dual_mul_f32 v29, v49, v29
	v_cvt_f32_i32_e32 v26, v26
	s_delay_alu instid0(VALU_DEP_3) | instskip(SKIP_1) | instid1(VALU_DEP_4)
	v_dual_mul_f32 v27, v32, v27 :: v_dual_fmac_f32 v50, 0xb102e308, v24
	v_bfi_b32 v31, 0x7fffffff, v33, v39
	v_add_f32_e32 v32, v51, v29
	v_mul_f32_e32 v25, v47, v25
	v_subrev_co_ci_u32_e64 v28, null, 0, v28, s12
	v_fma_f32 v49, 0x3f317218, v22, -v34
	s_delay_alu instid0(VALU_DEP_4) | instskip(SKIP_1) | instid1(VALU_DEP_4)
	v_sub_f32_e32 v46, v32, v51
	v_ldexp_f32 v41, v30, 1
	v_cvt_f32_i32_e32 v28, v28
	v_ldexp_f32 v48, v32, 1
	v_cmp_class_f32_e64 s23, v8, 0x204
	v_sub_f32_e32 v29, v29, v46
	v_mul_f32_e32 v37, 0x3f317218, v26
	v_cmp_class_f32_e64 s25, v10, 0x204
	v_cmp_class_f32_e64 s26, v11, 0x204
	s_delay_alu instid0(VALU_DEP_4) | instskip(NEXT) | instid1(VALU_DEP_4)
	v_add_f32_e32 v58, v29, v29
	v_fma_f32 v52, 0x3f317218, v26, -v37
	v_add_f32_e32 v33, v53, v25
	v_mul_f32_e32 v51, 0x3f317218, v28
	s_delay_alu instid0(VALU_DEP_3) | instskip(NEXT) | instid1(VALU_DEP_3)
	v_fmac_f32_e32 v52, 0xb102e308, v26
	v_dual_sub_f32 v42, v33, v53 :: v_dual_sub_f32 v23, v23, v38
	v_ldexp_f32 v44, v33, 1
	s_delay_alu instid0(VALU_DEP_2) | instskip(NEXT) | instid1(VALU_DEP_1)
	v_sub_f32_e32 v25, v25, v42
	v_dual_add_f32 v56, v25, v25 :: v_dual_fmac_f32 v49, 0xb102e308, v22
	v_fma_f32 v22, 0x3f317218, v28, -v51
	s_delay_alu instid0(VALU_DEP_1) | instskip(NEXT) | instid1(VALU_DEP_1)
	v_dual_mul_f32 v39, v30, v30 :: v_dual_fmac_f32 v22, 0xb102e308, v28
	v_fma_f32 v38, v30, v30, -v39
	v_add_f32_e32 v28, v37, v52
	v_dual_add_f32 v24, v23, v23 :: v_dual_mul_f32 v43, v33, v33
	v_ldexp_f32 v26, v23, 1
	s_delay_alu instid0(VALU_DEP_2) | instskip(NEXT) | instid1(VALU_DEP_3)
	v_fmac_f32_e32 v38, v30, v24
	v_fma_f32 v42, v33, v33, -v43
	s_delay_alu instid0(VALU_DEP_2) | instskip(NEXT) | instid1(VALU_DEP_2)
	v_dual_sub_f32 v37, v28, v37 :: v_dual_add_f32 v62, v39, v38
	v_dual_fmac_f32 v42, v33, v56 :: v_dual_add_f32 v45, v55, v27
	s_delay_alu instid0(VALU_DEP_1) | instskip(NEXT) | instid1(VALU_DEP_1)
	v_dual_add_f32 v60, v34, v49 :: v_dual_sub_f32 v53, v45, v55
	v_sub_f32_e32 v34, v60, v34
	v_mul_f32_e32 v54, v45, v45
	v_ldexp_f32 v55, v45, 1
	s_delay_alu instid0(VALU_DEP_3) | instskip(SKIP_1) | instid1(VALU_DEP_4)
	v_dual_sub_f32 v27, v27, v53 :: v_dual_sub_f32 v34, v49, v34
	v_mul_f32_e32 v47, v32, v32
	v_fma_f32 v53, v45, v45, -v54
	s_delay_alu instid0(VALU_DEP_3) | instskip(SKIP_1) | instid1(VALU_DEP_4)
	v_add_f32_e32 v24, v27, v27
	v_ldexp_f32 v56, v27, 1
	v_fma_f32 v46, v32, v32, -v47
	s_delay_alu instid0(VALU_DEP_1) | instskip(SKIP_1) | instid1(VALU_DEP_2)
	v_dual_fmac_f32 v46, v32, v58 :: v_dual_fmac_f32 v53, v45, v24
	v_add_f32_e32 v58, v51, v22
	v_add_f32_e32 v24, v47, v46
	s_delay_alu instid0(VALU_DEP_3) | instskip(SKIP_2) | instid1(VALU_DEP_3)
	v_dual_add_f32 v61, v35, v50 :: v_dual_add_f32 v66, v54, v53
	v_sub_f32_e32 v39, v62, v39
	v_ldexp_f32 v59, v29, 1
	v_dual_mul_f32 v68, v32, v24 :: v_dual_sub_f32 v35, v61, v35
	s_delay_alu instid0(VALU_DEP_4) | instskip(NEXT) | instid1(VALU_DEP_4)
	v_mul_f32_e32 v70, v45, v66
	v_dual_add_f32 v63, v43, v42 :: v_dual_sub_f32 v38, v38, v39
	v_sub_f32_e32 v54, v66, v54
	s_delay_alu instid0(VALU_DEP_4) | instskip(NEXT) | instid1(VALU_DEP_3)
	v_dual_sub_f32 v35, v50, v35 :: v_dual_fmaak_f32 v50, s21, v62, 0x3e91f4c4
	v_sub_f32_e32 v43, v63, v43
	v_mul_f32_e32 v65, v33, v63
	s_delay_alu instid0(VALU_DEP_4) | instskip(NEXT) | instid1(VALU_DEP_4)
	v_dual_fmaak_f32 v64, s21, v63, 0x3e91f4c4 :: v_dual_sub_f32 v53, v53, v54
	v_fmaak_f32 v50, v62, v50, 0x3ecccdef
	s_delay_alu instid0(VALU_DEP_4) | instskip(NEXT) | instid1(VALU_DEP_4)
	v_dual_fmaak_f32 v67, s21, v24, 0x3e91f4c4 :: v_dual_sub_f32 v42, v42, v43
	v_fma_f32 v43, v63, v33, -v65
	v_fma_f32 v54, v66, v45, -v70
	v_dual_sub_f32 v49, v58, v51 :: v_dual_fmaak_f32 v64, v63, v64, 0x3ecccdef
	v_ldexp_f32 v57, v25, 1
	s_delay_alu instid0(VALU_DEP_3) | instskip(NEXT) | instid1(VALU_DEP_3)
	v_dual_fmac_f32 v43, v63, v25 :: v_dual_fmac_f32 v54, v66, v27
	v_dual_fmaak_f32 v67, v24, v67, 0x3ecccdef :: v_dual_sub_f32 v22, v22, v49
	s_delay_alu instid0(VALU_DEP_2) | instskip(NEXT) | instid1(VALU_DEP_3)
	v_fmac_f32_e32 v43, v42, v33
	v_dual_mul_f32 v51, v30, v62 :: v_dual_fmac_f32 v54, v53, v45
	s_delay_alu instid0(VALU_DEP_1) | instskip(NEXT) | instid1(VALU_DEP_1)
	v_fma_f32 v39, v62, v30, -v51
	v_fmac_f32_e32 v39, v62, v23
	s_delay_alu instid0(VALU_DEP_1) | instskip(SKIP_1) | instid1(VALU_DEP_1)
	v_fmac_f32_e32 v39, v38, v30
	v_mul_f32_e32 v23, v62, v50
	v_fma_f32 v30, v62, v50, -v23
	s_delay_alu instid0(VALU_DEP_1) | instskip(NEXT) | instid1(VALU_DEP_1)
	v_dual_sub_f32 v47, v24, v47 :: v_dual_fmac_f32 v30, v38, v50
	v_dual_fmaak_f32 v69, s21, v66, 0x3e91f4c4 :: v_dual_sub_f32 v46, v46, v47
	v_fma_f32 v47, v24, v32, -v68
	s_delay_alu instid0(VALU_DEP_1) | instskip(SKIP_1) | instid1(VALU_DEP_1)
	v_dual_add_f32 v38, v65, v43 :: v_dual_fmac_f32 v47, v24, v29
	v_mul_f32_e32 v29, v24, v67
	v_fma_f32 v24, v24, v67, -v29
	s_delay_alu instid0(VALU_DEP_1) | instskip(NEXT) | instid1(VALU_DEP_1)
	v_dual_mul_f32 v25, v63, v64 :: v_dual_fmac_f32 v24, v46, v67
	v_fma_f32 v33, v63, v64, -v25
	s_delay_alu instid0(VALU_DEP_1) | instskip(NEXT) | instid1(VALU_DEP_1)
	v_fmac_f32_e32 v33, v42, v64
	v_add_f32_e32 v62, v25, v33
	s_delay_alu instid0(VALU_DEP_4) | instskip(SKIP_2) | instid1(VALU_DEP_3)
	v_add_f32_e32 v64, v29, v24
	v_dual_fmac_f32 v47, v46, v32 :: v_dual_add_f32 v32, v51, v39
	v_dual_fmaak_f32 v69, v66, v69, 0x3ecccdef :: v_dual_add_f32 v50, v23, v30
	v_add_f32_e32 v67, 0x3f2aaaaa, v64
	v_sub_f32_e32 v29, v64, v29
	s_delay_alu instid0(VALU_DEP_3) | instskip(NEXT) | instid1(VALU_DEP_2)
	v_dual_sub_f32 v46, v32, v51 :: v_dual_mul_f32 v27, v66, v69
	v_dual_sub_f32 v23, v50, v23 :: v_dual_sub_f32 v24, v24, v29
	s_delay_alu instid0(VALU_DEP_4) | instskip(NEXT) | instid1(VALU_DEP_3)
	v_add_f32_e32 v29, 0xbf2aaaaa, v67
	v_fma_f32 v42, v66, v69, -v27
	s_delay_alu instid0(VALU_DEP_3) | instskip(NEXT) | instid1(VALU_DEP_3)
	v_dual_add_f32 v63, v70, v54 :: v_dual_add_f32 v24, 0x31739010, v24
	v_sub_f32_e32 v29, v64, v29
	s_delay_alu instid0(VALU_DEP_3) | instskip(SKIP_1) | instid1(VALU_DEP_3)
	v_dual_fmac_f32 v42, v53, v69 :: v_dual_sub_f32 v39, v39, v46
	v_add_f32_e32 v46, 0x3f2aaaaa, v50
	v_dual_add_f32 v24, v24, v29 :: v_dual_sub_f32 v23, v30, v23
	s_delay_alu instid0(VALU_DEP_2) | instskip(NEXT) | instid1(VALU_DEP_4)
	v_add_f32_e32 v30, 0xbf2aaaaa, v46
	v_dual_add_f32 v66, v27, v42 :: v_dual_add_f32 v45, v68, v47
	s_delay_alu instid0(VALU_DEP_2) | instskip(NEXT) | instid1(VALU_DEP_2)
	v_dual_add_f32 v23, 0x31739010, v23 :: v_dual_sub_f32 v30, v50, v30
	v_sub_f32_e32 v27, v66, v27
	s_delay_alu instid0(VALU_DEP_3) | instskip(SKIP_1) | instid1(VALU_DEP_4)
	v_dual_sub_f32 v53, v45, v68 :: v_dual_add_f32 v68, 0x3f2aaaaa, v66
	v_sub_f32_e32 v51, v38, v65
	v_add_f32_e32 v23, v23, v30
	s_delay_alu instid0(VALU_DEP_3) | instskip(NEXT) | instid1(VALU_DEP_2)
	v_dual_sub_f32 v27, v42, v27 :: v_dual_add_f32 v42, 0xbf2aaaaa, v68
	v_add_f32_e32 v29, v46, v23
	s_delay_alu instid0(VALU_DEP_2) | instskip(NEXT) | instid1(VALU_DEP_3)
	v_add_f32_e32 v27, 0x31739010, v27
	v_dual_sub_f32 v43, v43, v51 :: v_dual_sub_f32 v30, v66, v42
	s_delay_alu instid0(VALU_DEP_3) | instskip(NEXT) | instid1(VALU_DEP_2)
	v_dual_add_f32 v51, 0x3f2aaaaa, v62 :: v_dual_sub_f32 v46, v46, v29
	v_add_f32_e32 v27, v27, v30
	v_dual_add_f32 v30, v67, v24 :: v_dual_sub_f32 v25, v62, v25
	s_delay_alu instid0(VALU_DEP_3) | instskip(NEXT) | instid1(VALU_DEP_2)
	v_add_f32_e32 v23, v23, v46
	v_mul_f32_e32 v64, v45, v30
	s_delay_alu instid0(VALU_DEP_3) | instskip(SKIP_1) | instid1(VALU_DEP_2)
	v_sub_f32_e32 v25, v33, v25
	v_add_f32_e32 v33, 0xbf2aaaaa, v51
	v_add_f32_e32 v25, 0x31739010, v25
	s_delay_alu instid0(VALU_DEP_2) | instskip(NEXT) | instid1(VALU_DEP_1)
	v_dual_sub_f32 v33, v62, v33 :: v_dual_sub_f32 v62, v67, v30
	v_add_f32_e32 v25, v25, v33
	v_sub_f32_e32 v33, v47, v53
	v_mul_f32_e32 v47, v32, v29
	v_add_f32_e32 v53, v68, v27
	v_sub_f32_e32 v65, v63, v70
	v_add_f32_e32 v42, v51, v25
	v_add_f32_e32 v24, v24, v62
	v_fma_f32 v46, v32, v29, -v47
	v_sub_f32_e32 v66, v68, v53
	v_mul_f32_e32 v67, v63, v53
	v_sub_f32_e32 v50, v51, v42
	s_delay_alu instid0(VALU_DEP_4) | instskip(SKIP_2) | instid1(VALU_DEP_4)
	v_dual_mul_f32 v51, v38, v42 :: v_dual_fmac_f32 v46, v32, v23
	v_fma_f32 v62, v45, v30, -v64
	v_add_f32_e32 v23, v27, v66
	v_add_f32_e32 v25, v25, v50
	s_delay_alu instid0(VALU_DEP_4) | instskip(SKIP_3) | instid1(VALU_DEP_4)
	v_fma_f32 v50, v38, v42, -v51
	v_fmac_f32_e32 v46, v39, v29
	v_fmac_f32_e32 v62, v45, v24
	v_sub_f32_e32 v24, v54, v65
	v_fmac_f32_e32 v50, v38, v25
	v_fma_f32 v25, v63, v53, -v67
	s_delay_alu instid0(VALU_DEP_2) | instskip(NEXT) | instid1(VALU_DEP_2)
	v_fmac_f32_e32 v50, v43, v42
	v_fmac_f32_e32 v25, v63, v23
	v_add_f32_e32 v23, v47, v46
	s_delay_alu instid0(VALU_DEP_1) | instskip(SKIP_1) | instid1(VALU_DEP_2)
	v_add_f32_e32 v32, v41, v23
	v_fmac_f32_e32 v62, v33, v30
	v_dual_sub_f32 v30, v23, v47 :: v_dual_sub_f32 v41, v32, v41
	s_delay_alu instid0(VALU_DEP_1) | instskip(NEXT) | instid1(VALU_DEP_1)
	v_dual_sub_f32 v30, v46, v30 :: v_dual_sub_f32 v23, v23, v41
	v_dual_add_f32 v26, v26, v30 :: v_dual_fmac_f32 v25, v24, v53
	s_delay_alu instid0(VALU_DEP_1) | instskip(NEXT) | instid1(VALU_DEP_1)
	v_dual_add_f32 v24, v64, v62 :: v_dual_add_f32 v23, v26, v23
	v_sub_f32_e32 v39, v24, v64
	v_add_f32_e32 v42, v48, v24
	v_sub_f32_e32 v27, v52, v37
	s_delay_alu instid0(VALU_DEP_3) | instskip(NEXT) | instid1(VALU_DEP_1)
	v_sub_f32_e32 v39, v62, v39
	v_dual_sub_f32 v46, v42, v48 :: v_dual_add_f32 v39, v59, v39
	s_delay_alu instid0(VALU_DEP_1) | instskip(SKIP_1) | instid1(VALU_DEP_2)
	v_sub_f32_e32 v24, v24, v46
	v_add_f32_e32 v38, v67, v25
	v_add_f32_e32 v24, v39, v24
	;; [unrolled: 1-line block ×3, first 2 shown]
	s_delay_alu instid0(VALU_DEP_3) | instskip(NEXT) | instid1(VALU_DEP_2)
	v_add_f32_e32 v45, v55, v38
	v_sub_f32_e32 v33, v29, v51
	v_add_f32_e32 v37, v44, v29
	s_delay_alu instid0(VALU_DEP_2) | instskip(NEXT) | instid1(VALU_DEP_2)
	v_sub_f32_e32 v33, v50, v33
	v_dual_sub_f32 v43, v37, v44 :: v_dual_sub_f32 v44, v38, v67
	s_delay_alu instid0(VALU_DEP_2) | instskip(NEXT) | instid1(VALU_DEP_2)
	v_add_f32_e32 v30, v57, v33
	v_sub_f32_e32 v29, v29, v43
	s_delay_alu instid0(VALU_DEP_3) | instskip(NEXT) | instid1(VALU_DEP_2)
	v_sub_f32_e32 v25, v25, v44
	v_dual_sub_f32 v33, v45, v55 :: v_dual_add_f32 v26, v30, v29
	s_delay_alu instid0(VALU_DEP_2) | instskip(NEXT) | instid1(VALU_DEP_2)
	v_add_f32_e32 v25, v56, v25
	v_sub_f32_e32 v29, v38, v33
	s_delay_alu instid0(VALU_DEP_1) | instskip(SKIP_1) | instid1(VALU_DEP_1)
	v_add_f32_e32 v25, v25, v29
	v_add_f32_e32 v29, v42, v24
	v_dual_sub_f32 v42, v29, v42 :: v_dual_add_f32 v43, v28, v29
	s_delay_alu instid0(VALU_DEP_1) | instskip(NEXT) | instid1(VALU_DEP_2)
	v_sub_f32_e32 v24, v24, v42
	v_sub_f32_e32 v42, v43, v28
	s_delay_alu instid0(VALU_DEP_1) | instskip(NEXT) | instid1(VALU_DEP_1)
	v_sub_f32_e32 v48, v43, v42
	v_sub_f32_e32 v28, v28, v48
	v_add_f32_e32 v30, v32, v23
	s_delay_alu instid0(VALU_DEP_1) | instskip(NEXT) | instid1(VALU_DEP_1)
	v_sub_f32_e32 v32, v30, v32
	v_dual_add_f32 v38, v60, v30 :: v_dual_sub_f32 v23, v23, v32
	s_delay_alu instid0(VALU_DEP_1) | instskip(NEXT) | instid1(VALU_DEP_1)
	v_sub_f32_e32 v32, v38, v60
	v_sub_f32_e32 v46, v38, v32
	;; [unrolled: 1-line block ×3, first 2 shown]
	s_delay_alu instid0(VALU_DEP_4) | instskip(NEXT) | instid1(VALU_DEP_3)
	v_add_f32_e32 v32, v34, v23
	v_sub_f32_e32 v46, v60, v46
	s_delay_alu instid0(VALU_DEP_2) | instskip(SKIP_1) | instid1(VALU_DEP_3)
	v_sub_f32_e32 v49, v32, v34
	v_add_f32_e32 v33, v37, v26
	v_add_f32_e32 v30, v30, v46
	s_delay_alu instid0(VALU_DEP_3) | instskip(NEXT) | instid1(VALU_DEP_2)
	v_sub_f32_e32 v46, v32, v49
	v_dual_add_f32 v39, v61, v33 :: v_dual_add_f32 v30, v32, v30
	v_dual_sub_f32 v29, v29, v42 :: v_dual_add_f32 v42, v27, v24
	s_delay_alu instid0(VALU_DEP_3) | instskip(NEXT) | instid1(VALU_DEP_2)
	v_sub_f32_e32 v34, v34, v46
	v_add_f32_e32 v28, v29, v28
	s_delay_alu instid0(VALU_DEP_3) | instskip(NEXT) | instid1(VALU_DEP_2)
	v_dual_sub_f32 v48, v42, v27 :: v_dual_sub_f32 v37, v33, v37
	v_add_f32_e32 v28, v42, v28
	s_delay_alu instid0(VALU_DEP_2) | instskip(SKIP_1) | instid1(VALU_DEP_4)
	v_sub_f32_e32 v29, v42, v48
	v_sub_f32_e32 v24, v24, v48
	;; [unrolled: 1-line block ×4, first 2 shown]
	s_delay_alu instid0(VALU_DEP_4) | instskip(SKIP_1) | instid1(VALU_DEP_3)
	v_sub_f32_e32 v27, v27, v29
	v_add_f32_e32 v29, v38, v30
	v_sub_f32_e32 v47, v39, v37
	v_sub_f32_e32 v33, v33, v37
	s_delay_alu instid0(VALU_DEP_4) | instskip(NEXT) | instid1(VALU_DEP_4)
	v_dual_add_f32 v37, v35, v26 :: v_dual_add_f32 v24, v24, v27
	v_sub_f32_e32 v38, v29, v38
	s_delay_alu instid0(VALU_DEP_4) | instskip(NEXT) | instid1(VALU_DEP_3)
	v_sub_f32_e32 v47, v61, v47
	v_sub_f32_e32 v50, v37, v35
	s_delay_alu instid0(VALU_DEP_2) | instskip(NEXT) | instid1(VALU_DEP_2)
	v_dual_sub_f32 v30, v30, v38 :: v_dual_add_f32 v33, v33, v47
	v_sub_f32_e32 v47, v37, v50
	v_dual_sub_f32 v26, v26, v50 :: v_dual_add_f32 v41, v45, v25
	s_delay_alu instid0(VALU_DEP_2) | instskip(NEXT) | instid1(VALU_DEP_2)
	v_dual_add_f32 v33, v37, v33 :: v_dual_sub_f32 v32, v35, v47
	v_sub_f32_e32 v44, v41, v45
	v_add_f32_e32 v45, v58, v41
	s_delay_alu instid0(VALU_DEP_3) | instskip(NEXT) | instid1(VALU_DEP_3)
	v_add_f32_e32 v26, v26, v32
	v_dual_add_f32 v32, v39, v33 :: v_dual_sub_f32 v25, v25, v44
	s_delay_alu instid0(VALU_DEP_3) | instskip(NEXT) | instid1(VALU_DEP_1)
	v_sub_f32_e32 v44, v45, v58
	v_sub_f32_e32 v51, v45, v44
	s_delay_alu instid0(VALU_DEP_3) | instskip(NEXT) | instid1(VALU_DEP_1)
	v_dual_sub_f32 v41, v41, v44 :: v_dual_add_f32 v44, v22, v25
	v_sub_f32_e32 v50, v44, v22
	s_delay_alu instid0(VALU_DEP_1) | instskip(NEXT) | instid1(VALU_DEP_1)
	v_sub_f32_e32 v37, v44, v50
	v_dual_sub_f32 v25, v25, v50 :: v_dual_sub_f32 v22, v22, v37
	v_sub_f32_e32 v37, v32, v39
	s_delay_alu instid0(VALU_DEP_2) | instskip(NEXT) | instid1(VALU_DEP_2)
	v_dual_sub_f32 v23, v23, v49 :: v_dual_add_f32 v22, v25, v22
	v_sub_f32_e32 v27, v33, v37
	s_delay_alu instid0(VALU_DEP_2) | instskip(NEXT) | instid1(VALU_DEP_2)
	v_add_f32_e32 v23, v23, v34
	v_add_f32_e32 v25, v26, v27
	s_delay_alu instid0(VALU_DEP_1) | instskip(SKIP_1) | instid1(VALU_DEP_2)
	v_dual_add_f32 v23, v23, v30 :: v_dual_add_f32 v30, v32, v25
	v_sub_f32_e32 v49, v58, v51
	v_dual_add_f32 v27, v29, v23 :: v_dual_sub_f32 v32, v30, v32
	s_delay_alu instid0(VALU_DEP_2) | instskip(NEXT) | instid1(VALU_DEP_2)
	v_add_f32_e32 v35, v41, v49
	v_sub_f32_e32 v29, v27, v29
	s_delay_alu instid0(VALU_DEP_2) | instskip(NEXT) | instid1(VALU_DEP_2)
	v_dual_sub_f32 v25, v25, v32 :: v_dual_add_f32 v34, v44, v35
	v_sub_f32_e32 v23, v23, v29
	s_delay_alu instid0(VALU_DEP_2) | instskip(NEXT) | instid1(VALU_DEP_1)
	v_add_f32_e32 v39, v45, v34
	v_sub_f32_e32 v33, v39, v45
	s_delay_alu instid0(VALU_DEP_1) | instskip(SKIP_1) | instid1(VALU_DEP_2)
	v_sub_f32_e32 v26, v34, v33
	v_dual_mul_f32 v34, v4, v30 :: v_dual_mul_f32 v33, v6, v27
	v_add_f32_e32 v22, v22, v26
	s_delay_alu instid0(VALU_DEP_2) | instskip(NEXT) | instid1(VALU_DEP_3)
	v_fma_f32 v29, v4, v30, -v34
	v_fma_f32 v27, v6, v27, -v33
	s_delay_alu instid0(VALU_DEP_3) | instskip(NEXT) | instid1(VALU_DEP_3)
	v_add_f32_e32 v37, v39, v22
	v_fmac_f32_e32 v29, v4, v25
	v_add_f32_e32 v35, v43, v28
	s_delay_alu instid0(VALU_DEP_4) | instskip(SKIP_3) | instid1(VALU_DEP_2)
	v_fmac_f32_e32 v27, v6, v23
	v_bfi_b32 v25, 0x7fffffff, v36, v40
	v_sub_f32_e32 v30, v37, v39
	v_mul_f32_e32 v32, v9, v37
	v_sub_f32_e32 v22, v22, v30
	v_dual_add_f32 v30, v34, v29 :: v_dual_sub_f32 v41, v35, v43
	s_delay_alu instid0(VALU_DEP_3) | instskip(NEXT) | instid1(VALU_DEP_1)
	v_fma_f32 v23, v9, v37, -v32
	v_dual_sub_f32 v28, v28, v41 :: v_dual_fmac_f32 v23, v9, v22
	s_delay_alu instid0(VALU_DEP_1) | instskip(SKIP_2) | instid1(VALU_DEP_3)
	v_add_f32_e32 v24, v24, v28
	v_cndmask_b32_e64 v28, 0, v11, s7
	v_cmp_class_f32_e64 s7, v33, 0x204
	v_add_f32_e32 v26, v35, v24
	s_delay_alu instid0(VALU_DEP_3) | instskip(NEXT) | instid1(VALU_DEP_2)
	v_bfi_b32 v19, 0x7fffffff, v19, v28
	v_dual_sub_f32 v35, v26, v35 :: v_dual_mul_f32 v38, v5, v26
	s_delay_alu instid0(VALU_DEP_1) | instskip(NEXT) | instid1(VALU_DEP_2)
	v_sub_f32_e32 v24, v24, v35
	v_fma_f32 v26, v5, v26, -v38
	s_delay_alu instid0(VALU_DEP_1) | instskip(SKIP_1) | instid1(VALU_DEP_1)
	v_fmac_f32_e32 v26, v5, v24
	v_add_f32_e32 v24, v33, v27
	v_dual_add_f32 v22, v38, v26 :: v_dual_sub_f32 v35, v24, v33
	s_wait_alu 0xf1ff
	v_cndmask_b32_e64 v24, v24, v33, s7
	v_cmp_class_f32_e64 s7, v34, 0x204
	v_sub_f32_e32 v33, v30, v34
	v_dual_sub_f32 v36, v22, v38 :: v_dual_sub_f32 v27, v27, v35
	s_wait_alu 0xf1ff
	s_delay_alu instid0(VALU_DEP_3) | instskip(SKIP_4) | instid1(VALU_DEP_3)
	v_cndmask_b32_e64 v30, v30, v34, s7
	v_cmp_class_f32_e64 s7, v38, 0x204
	v_dual_add_f32 v34, v32, v23 :: v_dual_sub_f32 v29, v29, v33
	v_sub_f32_e32 v26, v26, v36
	s_wait_alu 0xf1ff
	v_cndmask_b32_e64 v22, v22, v38, s7
	v_cmp_eq_f32_e64 s7, 0x42b17218, v24
	v_sub_f32_e32 v37, v34, v32
	s_wait_alu 0xf1ff
	s_delay_alu instid0(VALU_DEP_2) | instskip(SKIP_1) | instid1(VALU_DEP_3)
	v_cndmask_b32_e64 v35, 0, 0x37000000, s7
	v_cmp_eq_f32_e64 s7, 0x42b17218, v30
	v_sub_f32_e32 v23, v23, v37
	s_wait_alu 0xf1ff
	s_delay_alu instid0(VALU_DEP_2) | instskip(SKIP_2) | instid1(VALU_DEP_1)
	v_cndmask_b32_e64 v33, 0, 0x37000000, s7
	v_cmp_class_f32_e64 s7, v32, 0x204
	s_wait_alu 0xf1ff
	v_cndmask_b32_e64 v32, v34, v32, s7
	v_cmp_eq_f32_e64 s7, 0x42b17218, v22
	s_wait_alu 0xf1ff
	s_delay_alu instid0(VALU_DEP_1) | instskip(SKIP_3) | instid1(VALU_DEP_2)
	v_cndmask_b32_e64 v34, 0, 0x37000000, s7
	v_cmp_neq_f32_e64 s7, 0x7f800000, |v24|
	v_sub_f32_e32 v24, v24, v35
	s_wait_alu 0xf1ff
	v_cndmask_b32_e64 v27, 0, v27, s7
	v_cmp_neq_f32_e64 s7, 0x7f800000, |v30|
	s_delay_alu instid0(VALU_DEP_2) | instskip(SKIP_1) | instid1(VALU_DEP_2)
	v_dual_sub_f32 v30, v30, v33 :: v_dual_add_f32 v27, v35, v27
	s_wait_alu 0xf1ff
	v_cndmask_b32_e64 v29, 0, v29, s7
	v_cmp_eq_f32_e64 s7, 0x42b17218, v32
	v_mul_f32_e32 v35, 0x3fb8aa3b, v24
	s_delay_alu instid0(VALU_DEP_3) | instskip(SKIP_1) | instid1(VALU_DEP_3)
	v_add_f32_e32 v29, v33, v29
	s_wait_alu 0xf1ff
	v_cndmask_b32_e64 v36, 0, 0x37000000, s7
	v_cmp_neq_f32_e64 s7, 0x7f800000, |v22|
	v_sub_f32_e32 v22, v22, v34
	v_mul_f32_e32 v33, 0x3fb8aa3b, v30
	v_fma_f32 v39, 0x3fb8aa3b, v24, -v35
	v_rndne_f32_e32 v40, v35
	s_delay_alu instid0(VALU_DEP_4) | instskip(NEXT) | instid1(VALU_DEP_4)
	v_dual_sub_f32 v37, v32, v36 :: v_dual_mul_f32 v38, 0x3fb8aa3b, v22
	v_fma_f32 v41, 0x3fb8aa3b, v30, -v33
	v_rndne_f32_e32 v42, v33
	v_fmac_f32_e32 v39, 0x32a5705f, v24
	v_sub_f32_e32 v35, v35, v40
	v_mul_f32_e32 v43, 0x3fb8aa3b, v37
	v_fma_f32 v44, 0x3fb8aa3b, v22, -v38
	v_rndne_f32_e32 v45, v38
	v_fmac_f32_e32 v41, 0x32a5705f, v30
	v_sub_f32_e32 v33, v33, v42
	v_add_f32_e32 v35, v35, v39
	s_wait_alu 0xf1ff
	v_cndmask_b32_e64 v26, 0, v26, s7
	v_fma_f32 v46, 0x3fb8aa3b, v37, -v43
	v_rndne_f32_e32 v47, v43
	v_fmac_f32_e32 v44, 0x32a5705f, v22
	v_sub_f32_e32 v38, v38, v45
	v_add_f32_e32 v33, v33, v41
	v_cmp_neq_f32_e64 s7, 0x7f800000, |v32|
	v_exp_f32_e32 v32, v35
	v_dual_fmac_f32 v46, 0x32a5705f, v37 :: v_dual_sub_f32 v39, v43, v47
	v_add_f32_e32 v38, v38, v44
	v_exp_f32_e32 v33, v33
	v_add_f32_e32 v26, v34, v26
	v_cvt_i32_f32_e32 v34, v40
	s_wait_alu 0xf1ff
	v_cndmask_b32_e64 v23, 0, v23, s7
	v_add_f32_e32 v35, v39, v46
	v_exp_f32_e32 v38, v38
	v_cvt_i32_f32_e32 v39, v42
	v_ldexp_f32 v32, v32, v34
	v_cmp_ngt_f32_e64 s7, 0xc2ce8ed0, v24
	v_cvt_i32_f32_e32 v40, v45
	v_exp_f32_e32 v35, v35
	v_ldexp_f32 v33, v33, v39
	v_add_f32_e32 v23, v36, v23
	s_wait_alu 0xf1ff
	v_cndmask_b32_e64 v32, 0, v32, s7
	v_cmp_ngt_f32_e64 s7, 0xc2ce8ed0, v30
	v_cvt_i32_f32_e32 v34, v47
	v_ldexp_f32 v36, v38, v40
	s_wait_alu 0xf1ff
	s_delay_alu instid0(VALU_DEP_3) | instskip(SKIP_3) | instid1(VALU_DEP_2)
	v_cndmask_b32_e64 v33, 0, v33, s7
	v_cmp_ngt_f32_e64 s7, 0xc2ce8ed0, v22
	v_ldexp_f32 v34, v35, v34
	s_wait_alu 0xf1ff
	v_cndmask_b32_e64 v35, 0, v36, s7
	v_cmp_nlt_f32_e64 s7, 0x42b17218, v24
	s_wait_alu 0xf1ff
	s_delay_alu instid0(VALU_DEP_1) | instskip(SKIP_1) | instid1(VALU_DEP_2)
	v_cndmask_b32_e64 v24, 0x7f800000, v32, s7
	v_cmp_nlt_f32_e64 s7, 0x42b17218, v30
	v_fma_f32 v27, v24, v27, v24
	s_wait_alu 0xf1ff
	s_delay_alu instid0(VALU_DEP_2) | instskip(SKIP_1) | instid1(VALU_DEP_2)
	v_cndmask_b32_e64 v30, 0x7f800000, v33, s7
	v_cmp_ngt_f32_e64 s7, 0xc2ce8ed0, v37
	v_fma_f32 v29, v30, v29, v30
	s_wait_alu 0xf1ff
	s_delay_alu instid0(VALU_DEP_2) | instskip(SKIP_2) | instid1(VALU_DEP_1)
	v_cndmask_b32_e64 v32, 0, v34, s7
	v_cmp_nlt_f32_e64 s7, 0x42b17218, v22
	s_wait_alu 0xf1ff
	v_cndmask_b32_e64 v22, 0x7f800000, v35, s7
	v_cmp_nlt_f32_e64 s7, 0x42b17218, v37
	s_delay_alu instid0(VALU_DEP_2) | instskip(SKIP_1) | instid1(VALU_DEP_2)
	v_fma_f32 v26, v22, v26, v22
	s_wait_alu 0xf1ff
	v_cndmask_b32_e64 v32, 0x7f800000, v32, s7
	v_cmp_class_f32_e64 s7, v24, 0x204
	s_delay_alu instid0(VALU_DEP_2) | instskip(SKIP_1) | instid1(VALU_DEP_2)
	v_fma_f32 v23, v32, v23, v32
	s_wait_alu 0xf1ff
	v_cndmask_b32_e64 v24, v27, v24, s7
	v_cmp_class_f32_e64 s7, v30, 0x204
	s_delay_alu instid0(VALU_DEP_2) | instskip(SKIP_1) | instid1(VALU_DEP_2)
	v_bfi_b32 v15, 0x7fffffff, v24, v15
	s_wait_alu 0xf1ff
	v_cndmask_b32_e64 v27, v29, v30, s7
	v_cmp_class_f32_e64 s7, v22, 0x204
	s_delay_alu instid0(VALU_DEP_2) | instskip(SKIP_1) | instid1(VALU_DEP_2)
	v_bfi_b32 v17, 0x7fffffff, v27, v17
	s_wait_alu 0xf1ff
	v_cndmask_b32_e64 v22, v26, v22, s7
	v_cmp_class_f32_e64 s7, v32, 0x204
	s_delay_alu instid0(VALU_DEP_3) | instskip(NEXT) | instid1(VALU_DEP_3)
	v_cndmask_b32_e64 v24, 0x7fc00000, v17, s3
	v_bfi_b32 v20, 0x7fffffff, v22, v20
	v_cndmask_b32_e64 v22, 0x7fc00000, v15, s2
	v_cmp_gt_f32_e64 s2, 0, v7
	s_wait_alu 0xf1ff
	v_cndmask_b32_e64 v23, v23, v32, s7
	s_delay_alu instid0(VALU_DEP_2) | instskip(SKIP_1) | instid1(VALU_DEP_3)
	v_cndmask_b32_e64 v15, v15, v22, s2
	v_cmp_gt_f32_e64 s2, 0, v8
	v_bfi_b32 v21, 0x7fffffff, v23, v21
	v_cndmask_b32_e64 v23, 0x7fc00000, v20, s5
	s_wait_alu 0xf1ff
	s_delay_alu instid0(VALU_DEP_3) | instskip(SKIP_3) | instid1(VALU_DEP_2)
	v_cndmask_b32_e64 v17, v17, v24, s2
	v_cmp_gt_f32_e64 s2, 0, v10
	v_cndmask_b32_e64 v22, 0x7fc00000, v21, s6
	s_wait_alu 0xf1ff
	v_cndmask_b32_e64 v20, v20, v23, s2
	v_cmp_class_f32_e64 s2, v6, 0x204
	s_wait_alu 0xf1ff
	s_delay_alu instid0(VALU_DEP_1) | instskip(SKIP_1) | instid1(VALU_DEP_2)
	v_cndmask_b32_e64 v12, v15, v12, s2
	v_cmp_class_f32_e64 s2, v4, 0x204
	v_cndmask_b32_e32 v12, v12, v18, vcc_lo
	s_wait_alu 0xf1ff
	s_delay_alu instid0(VALU_DEP_2)
	v_cndmask_b32_e64 v13, v17, v13, s2
	v_cmp_gt_f32_e64 s2, 0, v11
	s_or_b32 vcc_lo, s0, s23
	s_wait_alu 0xfffe
	v_cndmask_b32_e32 v13, v13, v31, vcc_lo
	v_cndmask_b32_e64 v15, v21, v22, s2
	v_cmp_class_f32_e64 s2, v5, 0x204
	v_cmp_class_f32_e64 vcc_lo, v9, 0x204
	s_wait_alu 0xf1ff
	s_delay_alu instid0(VALU_DEP_2)
	v_cndmask_b32_e64 v14, v20, v14, s2
	s_wait_alu 0xfffd
	v_cndmask_b32_e32 v15, v15, v16, vcc_lo
	s_or_b32 vcc_lo, s1, s25
	s_wait_alu 0xfffe
	v_cndmask_b32_e32 v14, v14, v25, vcc_lo
	v_cmp_o_f32_e32 vcc_lo, v7, v6
	s_wait_alu 0xfffd
	v_cndmask_b32_e32 v6, 0x7fc00000, v12, vcc_lo
	s_or_b32 vcc_lo, s4, s26
	s_wait_alu 0xfffe
	v_cndmask_b32_e32 v7, v15, v19, vcc_lo
	v_cmp_o_f32_e32 vcc_lo, v8, v4
	v_bfe_u32 v8, v6, 16, 1
	s_wait_alu 0xfffd
	v_cndmask_b32_e32 v4, 0x7fc00000, v13, vcc_lo
	v_cmp_o_f32_e32 vcc_lo, v10, v5
	s_delay_alu instid0(VALU_DEP_3)
	v_add3_u32 v8, v6, v8, 0x7fff
	s_wait_alu 0xfffd
	v_cndmask_b32_e32 v5, 0x7fc00000, v14, vcc_lo
	v_cmp_o_f32_e32 vcc_lo, v11, v9
	v_bfe_u32 v9, v4, 16, 1
	v_lshrrev_b32_e32 v8, 16, v8
	s_delay_alu instid0(VALU_DEP_4)
	v_bfe_u32 v10, v5, 16, 1
	s_wait_alu 0xfffd
	v_cndmask_b32_e32 v7, 0x7fc00000, v7, vcc_lo
	v_add3_u32 v9, v4, v9, 0x7fff
	v_add_co_u32 v0, vcc_lo, v0, s19
	s_wait_alu 0xfffd
	v_add_co_ci_u32_e64 v1, null, 0, v1, vcc_lo
	s_delay_alu instid0(VALU_DEP_3)
	v_and_b32_e32 v9, 0xffff0000, v9
	v_cmp_o_f32_e32 vcc_lo, v4, v4
	v_bfe_u32 v11, v7, 16, 1
	v_add3_u32 v10, v5, v10, 0x7fff
	s_wait_alu 0xfffd
	v_cndmask_b32_e32 v4, 0x7fc00000, v9, vcc_lo
	v_cmp_o_f32_e32 vcc_lo, v6, v6
	v_add3_u32 v11, v7, v11, 0x7fff
	v_and_b32_e32 v10, 0xffff0000, v10
	s_wait_alu 0xfffd
	v_cndmask_b32_e32 v6, 0x7fc0, v8, vcc_lo
	v_cmp_o_f32_e32 vcc_lo, v5, v5
	v_lshrrev_b32_e32 v11, 16, v11
	s_delay_alu instid0(VALU_DEP_3)
	v_or_b32_e32 v6, v6, v4
	s_wait_alu 0xfffd
	v_cndmask_b32_e32 v8, 0x7fc00000, v10, vcc_lo
	v_cmp_o_f32_e32 vcc_lo, v7, v7
	v_lshlrev_b64_e32 v[4:5], 2, v[0:1]
	v_or3_b32 v6, v6, 0, 0
	s_wait_alu 0xfffd
	v_cndmask_b32_e32 v7, 0x7fc0, v11, vcc_lo
	s_delay_alu instid0(VALU_DEP_3) | instskip(NEXT) | instid1(VALU_DEP_2)
	v_cmp_le_i64_e32 vcc_lo, s[16:17], v[4:5]
	v_or3_b32 v7, 0, v7, v8
	s_or_b32 s18, vcc_lo, s18
	global_store_b64 v[2:3], v[6:7], off
	v_add_co_u32 v2, s0, v2, s20
	s_wait_alu 0xf1ff
	v_add_co_ci_u32_e64 v3, null, 0, v3, s0
	s_wait_alu 0xfffe
	s_and_not1_b32 exec_lo, exec_lo, s18
	s_cbranch_execnz .LBB60_24
.LBB60_25:
	s_endpgm
	.section	.rodata,"a",@progbits
	.p2align	6, 0x0
	.amdhsa_kernel _ZN2at6native12_GLOBAL__N_125multi_tensor_apply_kernelINS1_18TensorListMetadataILi1EEENS1_21BinaryOpScalarFunctorIN3c108BFloat16ELi1ELi1ELi0EEEJNS1_13power_functorIfEEfEEEvT_T0_DpT1_
		.amdhsa_group_segment_fixed_size 0
		.amdhsa_private_segment_fixed_size 0
		.amdhsa_kernarg_size 3632
		.amdhsa_user_sgpr_count 2
		.amdhsa_user_sgpr_dispatch_ptr 0
		.amdhsa_user_sgpr_queue_ptr 0
		.amdhsa_user_sgpr_kernarg_segment_ptr 1
		.amdhsa_user_sgpr_dispatch_id 0
		.amdhsa_user_sgpr_private_segment_size 0
		.amdhsa_wavefront_size32 1
		.amdhsa_uses_dynamic_stack 0
		.amdhsa_enable_private_segment 0
		.amdhsa_system_sgpr_workgroup_id_x 1
		.amdhsa_system_sgpr_workgroup_id_y 0
		.amdhsa_system_sgpr_workgroup_id_z 0
		.amdhsa_system_sgpr_workgroup_info 0
		.amdhsa_system_vgpr_workitem_id 0
		.amdhsa_next_free_vgpr 71
		.amdhsa_next_free_sgpr 30
		.amdhsa_reserve_vcc 1
		.amdhsa_float_round_mode_32 0
		.amdhsa_float_round_mode_16_64 0
		.amdhsa_float_denorm_mode_32 3
		.amdhsa_float_denorm_mode_16_64 3
		.amdhsa_fp16_overflow 0
		.amdhsa_workgroup_processor_mode 1
		.amdhsa_memory_ordered 1
		.amdhsa_forward_progress 1
		.amdhsa_inst_pref_size 89
		.amdhsa_round_robin_scheduling 0
		.amdhsa_exception_fp_ieee_invalid_op 0
		.amdhsa_exception_fp_denorm_src 0
		.amdhsa_exception_fp_ieee_div_zero 0
		.amdhsa_exception_fp_ieee_overflow 0
		.amdhsa_exception_fp_ieee_underflow 0
		.amdhsa_exception_fp_ieee_inexact 0
		.amdhsa_exception_int_div_zero 0
	.end_amdhsa_kernel
	.section	.text._ZN2at6native12_GLOBAL__N_125multi_tensor_apply_kernelINS1_18TensorListMetadataILi1EEENS1_21BinaryOpScalarFunctorIN3c108BFloat16ELi1ELi1ELi0EEEJNS1_13power_functorIfEEfEEEvT_T0_DpT1_,"axG",@progbits,_ZN2at6native12_GLOBAL__N_125multi_tensor_apply_kernelINS1_18TensorListMetadataILi1EEENS1_21BinaryOpScalarFunctorIN3c108BFloat16ELi1ELi1ELi0EEEJNS1_13power_functorIfEEfEEEvT_T0_DpT1_,comdat
.Lfunc_end60:
	.size	_ZN2at6native12_GLOBAL__N_125multi_tensor_apply_kernelINS1_18TensorListMetadataILi1EEENS1_21BinaryOpScalarFunctorIN3c108BFloat16ELi1ELi1ELi0EEEJNS1_13power_functorIfEEfEEEvT_T0_DpT1_, .Lfunc_end60-_ZN2at6native12_GLOBAL__N_125multi_tensor_apply_kernelINS1_18TensorListMetadataILi1EEENS1_21BinaryOpScalarFunctorIN3c108BFloat16ELi1ELi1ELi0EEEJNS1_13power_functorIfEEfEEEvT_T0_DpT1_
                                        ; -- End function
	.set _ZN2at6native12_GLOBAL__N_125multi_tensor_apply_kernelINS1_18TensorListMetadataILi1EEENS1_21BinaryOpScalarFunctorIN3c108BFloat16ELi1ELi1ELi0EEEJNS1_13power_functorIfEEfEEEvT_T0_DpT1_.num_vgpr, 71
	.set _ZN2at6native12_GLOBAL__N_125multi_tensor_apply_kernelINS1_18TensorListMetadataILi1EEENS1_21BinaryOpScalarFunctorIN3c108BFloat16ELi1ELi1ELi0EEEJNS1_13power_functorIfEEfEEEvT_T0_DpT1_.num_agpr, 0
	.set _ZN2at6native12_GLOBAL__N_125multi_tensor_apply_kernelINS1_18TensorListMetadataILi1EEENS1_21BinaryOpScalarFunctorIN3c108BFloat16ELi1ELi1ELi0EEEJNS1_13power_functorIfEEfEEEvT_T0_DpT1_.numbered_sgpr, 30
	.set _ZN2at6native12_GLOBAL__N_125multi_tensor_apply_kernelINS1_18TensorListMetadataILi1EEENS1_21BinaryOpScalarFunctorIN3c108BFloat16ELi1ELi1ELi0EEEJNS1_13power_functorIfEEfEEEvT_T0_DpT1_.num_named_barrier, 0
	.set _ZN2at6native12_GLOBAL__N_125multi_tensor_apply_kernelINS1_18TensorListMetadataILi1EEENS1_21BinaryOpScalarFunctorIN3c108BFloat16ELi1ELi1ELi0EEEJNS1_13power_functorIfEEfEEEvT_T0_DpT1_.private_seg_size, 0
	.set _ZN2at6native12_GLOBAL__N_125multi_tensor_apply_kernelINS1_18TensorListMetadataILi1EEENS1_21BinaryOpScalarFunctorIN3c108BFloat16ELi1ELi1ELi0EEEJNS1_13power_functorIfEEfEEEvT_T0_DpT1_.uses_vcc, 1
	.set _ZN2at6native12_GLOBAL__N_125multi_tensor_apply_kernelINS1_18TensorListMetadataILi1EEENS1_21BinaryOpScalarFunctorIN3c108BFloat16ELi1ELi1ELi0EEEJNS1_13power_functorIfEEfEEEvT_T0_DpT1_.uses_flat_scratch, 0
	.set _ZN2at6native12_GLOBAL__N_125multi_tensor_apply_kernelINS1_18TensorListMetadataILi1EEENS1_21BinaryOpScalarFunctorIN3c108BFloat16ELi1ELi1ELi0EEEJNS1_13power_functorIfEEfEEEvT_T0_DpT1_.has_dyn_sized_stack, 0
	.set _ZN2at6native12_GLOBAL__N_125multi_tensor_apply_kernelINS1_18TensorListMetadataILi1EEENS1_21BinaryOpScalarFunctorIN3c108BFloat16ELi1ELi1ELi0EEEJNS1_13power_functorIfEEfEEEvT_T0_DpT1_.has_recursion, 0
	.set _ZN2at6native12_GLOBAL__N_125multi_tensor_apply_kernelINS1_18TensorListMetadataILi1EEENS1_21BinaryOpScalarFunctorIN3c108BFloat16ELi1ELi1ELi0EEEJNS1_13power_functorIfEEfEEEvT_T0_DpT1_.has_indirect_call, 0
	.section	.AMDGPU.csdata,"",@progbits
; Kernel info:
; codeLenInByte = 11280
; TotalNumSgprs: 32
; NumVgprs: 71
; ScratchSize: 0
; MemoryBound: 0
; FloatMode: 240
; IeeeMode: 1
; LDSByteSize: 0 bytes/workgroup (compile time only)
; SGPRBlocks: 0
; VGPRBlocks: 8
; NumSGPRsForWavesPerEU: 32
; NumVGPRsForWavesPerEU: 71
; Occupancy: 16
; WaveLimiterHint : 0
; COMPUTE_PGM_RSRC2:SCRATCH_EN: 0
; COMPUTE_PGM_RSRC2:USER_SGPR: 2
; COMPUTE_PGM_RSRC2:TRAP_HANDLER: 0
; COMPUTE_PGM_RSRC2:TGID_X_EN: 1
; COMPUTE_PGM_RSRC2:TGID_Y_EN: 0
; COMPUTE_PGM_RSRC2:TGID_Z_EN: 0
; COMPUTE_PGM_RSRC2:TIDIG_COMP_CNT: 0
	.section	.text._ZN2at6native12_GLOBAL__N_125multi_tensor_apply_kernelINS1_18TensorListMetadataILi2EEENS1_21BinaryOpScalarFunctorIhLi2ELi1ELi1EEEJNS1_13power_functorIhEEhEEEvT_T0_DpT1_,"axG",@progbits,_ZN2at6native12_GLOBAL__N_125multi_tensor_apply_kernelINS1_18TensorListMetadataILi2EEENS1_21BinaryOpScalarFunctorIhLi2ELi1ELi1EEEJNS1_13power_functorIhEEhEEEvT_T0_DpT1_,comdat
	.globl	_ZN2at6native12_GLOBAL__N_125multi_tensor_apply_kernelINS1_18TensorListMetadataILi2EEENS1_21BinaryOpScalarFunctorIhLi2ELi1ELi1EEEJNS1_13power_functorIhEEhEEEvT_T0_DpT1_ ; -- Begin function _ZN2at6native12_GLOBAL__N_125multi_tensor_apply_kernelINS1_18TensorListMetadataILi2EEENS1_21BinaryOpScalarFunctorIhLi2ELi1ELi1EEEJNS1_13power_functorIhEEhEEEvT_T0_DpT1_
	.p2align	8
	.type	_ZN2at6native12_GLOBAL__N_125multi_tensor_apply_kernelINS1_18TensorListMetadataILi2EEENS1_21BinaryOpScalarFunctorIhLi2ELi1ELi1EEEJNS1_13power_functorIhEEhEEEvT_T0_DpT1_,@function
_ZN2at6native12_GLOBAL__N_125multi_tensor_apply_kernelINS1_18TensorListMetadataILi2EEENS1_21BinaryOpScalarFunctorIhLi2ELi1ELi1EEEJNS1_13power_functorIhEEhEEEvT_T0_DpT1_: ; @_ZN2at6native12_GLOBAL__N_125multi_tensor_apply_kernelINS1_18TensorListMetadataILi2EEENS1_21BinaryOpScalarFunctorIhLi2ELi1ELi1EEEJNS1_13power_functorIhEEhEEEvT_T0_DpT1_
; %bb.0:
	s_load_u8 s6, s[0:1], ttmp9 offset:0x600
	s_mov_b32 s2, ttmp9
	s_mov_b32 s3, 0
	s_delay_alu instid0(SALU_CYCLE_1) | instskip(SKIP_1) | instid1(SALU_CYCLE_1)
	s_mul_u64 s[4:5], s[2:3], 3
	s_add_nc_u64 s[2:3], s[0:1], s[2:3]
	s_add_nc_u64 s[2:3], s[2:3], s[4:5]
	s_load_b32 s2, s[2:3], 0x740
	s_wait_kmcnt 0x0
	s_lshl_b32 s3, s6, 3
	s_clause 0x3
	s_load_b64 s[4:5], s[0:1], s3 offset:0x200
	s_load_b64 s[8:9], s[0:1], s3 offset:0x0
	;; [unrolled: 1-line block ×3, first 2 shown]
	s_load_b32 s21, s[0:1], 0xc48
	s_ashr_i32 s3, s2, 31
	s_delay_alu instid0(SALU_CYCLE_1)
	s_lshl_b64 s[2:3], s[2:3], 16
	s_wait_kmcnt 0x0
	s_add_nc_u64 s[6:7], s[4:5], s[2:3]
	s_add_nc_u64 s[8:9], s[8:9], s[2:3]
	s_or_b32 s4, s10, s6
	s_lshr_b32 s20, s21, 16
	s_or_b32 s4, s4, s8
	s_sub_nc_u64 s[10:11], s[10:11], s[2:3]
	s_and_b32 s4, s4, 3
	s_mov_b32 s2, -1
	s_cmp_eq_u32 s4, 0
	s_cbranch_scc1 .LBB61_33
; %bb.1:
	v_cmp_lt_i64_e64 s2, s[10:11], 1
	s_and_b32 vcc_lo, exec_lo, s2
	s_cbranch_vccnz .LBB61_32
; %bb.2:
	s_load_b32 s2, s[0:1], 0xc5c
	v_cmp_gt_i64_e64 s3, 0x10000, s[10:11]
	v_cmp_gt_u64_e64 s4, 0x10000, s[10:11]
	s_mov_b32 s17, 0
	s_mov_b64 s[18:19], 0
	s_and_b32 s3, s3, exec_lo
	s_cselect_b32 s13, s11, 0
	s_cselect_b32 s12, s10, 0x10000
	s_wait_kmcnt 0x0
	s_and_b32 s22, s2, 0xffff
	s_and_b32 s2, s4, exec_lo
	s_cselect_b32 s15, s11, 0
	s_cselect_b32 s14, s10, 0x10000
	s_bfe_u32 s2, s21, 0x80010
	s_lshl_b32 s23, s22, 1
	s_cmp_lg_u32 s2, 0
	s_mul_i32 s25, s22, 3
	s_cselect_b32 s24, -1, 0
	s_lshl_b32 s16, s22, 2
	s_branch .LBB61_4
.LBB61_3:                               ;   in Loop: Header=BB61_4 Depth=1
	s_wait_alu 0xfffe
	s_or_b32 exec_lo, exec_lo, s2
	s_add_nc_u64 s[18:19], s[18:19], s[16:17]
	s_wait_alu 0xfffe
	v_cmp_ge_i64_e64 s2, s[18:19], s[12:13]
	s_and_b32 vcc_lo, exec_lo, s2
	s_wait_alu 0xfffe
	s_cbranch_vccnz .LBB61_32
.LBB61_4:                               ; =>This Loop Header: Depth=1
                                        ;     Child Loop BB61_14 Depth 2
                                        ;     Child Loop BB61_17 Depth 2
	;; [unrolled: 1-line block ×4, first 2 shown]
	v_add_co_u32 v1, s2, s18, v0
	s_wait_alu 0xf1ff
	v_add_co_ci_u32_e64 v2, null, s19, 0, s2
	v_mov_b32_e32 v12, 0
	s_delay_alu instid0(VALU_DEP_2)
	v_cmp_gt_u64_e64 s2, s[14:15], v[1:2]
	s_and_saveexec_b32 s3, s2
	s_cbranch_execz .LBB61_6
; %bb.5:                                ;   in Loop: Header=BB61_4 Depth=1
	v_add_co_u32 v3, vcc_lo, s8, v1
	s_wait_alu 0xfffd
	v_add_co_ci_u32_e64 v4, null, s9, v2, vcc_lo
	global_load_u8 v12, v[3:4], off
.LBB61_6:                               ;   in Loop: Header=BB61_4 Depth=1
	s_wait_alu 0xfffe
	s_or_b32 exec_lo, exec_lo, s3
	v_add_co_u32 v3, vcc_lo, v1, s22
	s_wait_alu 0xfffd
	v_add_co_ci_u32_e64 v4, null, 0, v2, vcc_lo
	v_dual_mov_b32 v10, 0 :: v_dual_mov_b32 v13, 0
	s_delay_alu instid0(VALU_DEP_2)
	v_cmp_gt_u64_e64 s3, s[14:15], v[3:4]
	s_and_saveexec_b32 s4, s3
	s_cbranch_execz .LBB61_8
; %bb.7:                                ;   in Loop: Header=BB61_4 Depth=1
	v_add_co_u32 v5, vcc_lo, s8, v3
	s_wait_alu 0xfffd
	v_add_co_ci_u32_e64 v6, null, s9, v4, vcc_lo
	global_load_u8 v13, v[5:6], off
.LBB61_8:                               ;   in Loop: Header=BB61_4 Depth=1
	s_or_b32 exec_lo, exec_lo, s4
	v_add_co_u32 v5, vcc_lo, v1, s23
	s_wait_alu 0xfffd
	v_add_co_ci_u32_e64 v6, null, 0, v2, vcc_lo
	s_delay_alu instid0(VALU_DEP_1)
	v_cmp_gt_u64_e64 s4, s[14:15], v[5:6]
	s_and_saveexec_b32 s5, s4
	s_cbranch_execz .LBB61_10
; %bb.9:                                ;   in Loop: Header=BB61_4 Depth=1
	v_add_co_u32 v7, vcc_lo, s8, v5
	s_wait_alu 0xfffd
	v_add_co_ci_u32_e64 v8, null, s9, v6, vcc_lo
	global_load_u8 v10, v[7:8], off
.LBB61_10:                              ;   in Loop: Header=BB61_4 Depth=1
	s_or_b32 exec_lo, exec_lo, s5
	v_add_co_u32 v7, vcc_lo, v1, s25
	s_wait_alu 0xfffd
	v_add_co_ci_u32_e64 v8, null, 0, v2, vcc_lo
	v_mov_b32_e32 v11, 0
	s_delay_alu instid0(VALU_DEP_2)
	v_cmp_gt_u64_e64 s5, s[14:15], v[7:8]
	s_and_saveexec_b32 s26, s5
	s_cbranch_execz .LBB61_12
; %bb.11:                               ;   in Loop: Header=BB61_4 Depth=1
	v_add_co_u32 v14, vcc_lo, s8, v7
	s_wait_alu 0xfffd
	v_add_co_ci_u32_e64 v15, null, s9, v8, vcc_lo
	global_load_u8 v11, v[14:15], off
.LBB61_12:                              ;   in Loop: Header=BB61_4 Depth=1
	s_or_b32 exec_lo, exec_lo, s26
	v_mov_b32_e32 v9, 1
	s_and_not1_b32 vcc_lo, exec_lo, s24
	s_wait_alu 0xfffe
	s_cbranch_vccnz .LBB61_15
; %bb.13:                               ;   in Loop: Header=BB61_4 Depth=1
	s_mov_b32 s26, s20
.LBB61_14:                              ;   Parent Loop BB61_4 Depth=1
                                        ; =>  This Inner Loop Header: Depth=2
	s_delay_alu instid0(SALU_CYCLE_1)
	s_and_b32 s27, s26, 0xff
	s_bitcmp1_b32 s26, 0
	s_cselect_b32 vcc_lo, -1, 0
	s_bfe_u32 s26, s26, 0x70001
	s_wait_loadcnt 0x0
	s_wait_alu 0xfffe
	v_cndmask_b32_e32 v14, 1, v12, vcc_lo
	v_mul_lo_u16 v12, v12, v12
	s_cmp_gt_u32 s27, 1
	s_delay_alu instid0(VALU_DEP_2)
	v_mul_lo_u16 v9, v14, v9
	s_cbranch_scc1 .LBB61_14
.LBB61_15:                              ;   in Loop: Header=BB61_4 Depth=1
	s_and_not1_b32 vcc_lo, exec_lo, s24
	s_wait_alu 0xfffe
	s_cbranch_vccnz .LBB61_21
; %bb.16:                               ;   in Loop: Header=BB61_4 Depth=1
	s_wait_loadcnt 0x0
	v_mov_b32_e32 v12, 1
	s_mov_b32 s26, s20
.LBB61_17:                              ;   Parent Loop BB61_4 Depth=1
                                        ; =>  This Inner Loop Header: Depth=2
	s_delay_alu instid0(SALU_CYCLE_1)
	s_and_b32 s27, s26, 0xff
	s_bitcmp1_b32 s26, 0
	s_cselect_b32 vcc_lo, -1, 0
	s_bfe_u32 s26, s26, 0x70001
	s_wait_alu 0xfffe
	v_cndmask_b32_e32 v14, 1, v13, vcc_lo
	v_mul_lo_u16 v13, v13, v13
	s_cmp_gt_u32 s27, 1
	s_delay_alu instid0(VALU_DEP_2)
	v_mul_lo_u16 v12, v14, v12
	s_cbranch_scc1 .LBB61_17
; %bb.18:                               ;   in Loop: Header=BB61_4 Depth=1
	v_mov_b32_e32 v13, 1
	s_mov_b32 s26, s20
.LBB61_19:                              ;   Parent Loop BB61_4 Depth=1
                                        ; =>  This Inner Loop Header: Depth=2
	s_delay_alu instid0(SALU_CYCLE_1)
	s_and_b32 s27, s26, 0xff
	s_bitcmp1_b32 s26, 0
	s_cselect_b32 vcc_lo, -1, 0
	s_bfe_u32 s26, s26, 0x70001
	s_wait_alu 0xfffe
	v_cndmask_b32_e32 v14, 1, v10, vcc_lo
	v_mul_lo_u16 v10, v10, v10
	s_cmp_gt_u32 s27, 1
	s_delay_alu instid0(VALU_DEP_2)
	v_mul_lo_u16 v13, v14, v13
	s_cbranch_scc1 .LBB61_19
; %bb.20:                               ;   in Loop: Header=BB61_4 Depth=1
	v_mov_b32_e32 v10, 1
	s_and_not1_b32 vcc_lo, exec_lo, s24
	s_wait_alu 0xfffe
	s_cbranch_vccz .LBB61_22
	s_branch .LBB61_24
.LBB61_21:                              ;   in Loop: Header=BB61_4 Depth=1
	s_wait_loadcnt 0x0
	v_dual_mov_b32 v13, 1 :: v_dual_mov_b32 v12, 1
	v_mov_b32_e32 v10, 1
	s_and_not1_b32 vcc_lo, exec_lo, s24
	s_wait_alu 0xfffe
	s_cbranch_vccnz .LBB61_24
.LBB61_22:                              ;   in Loop: Header=BB61_4 Depth=1
	s_mov_b32 s26, s20
.LBB61_23:                              ;   Parent Loop BB61_4 Depth=1
                                        ; =>  This Inner Loop Header: Depth=2
	s_delay_alu instid0(SALU_CYCLE_1)
	s_and_b32 s27, s26, 0xff
	s_bitcmp1_b32 s26, 0
	s_cselect_b32 vcc_lo, -1, 0
	s_bfe_u32 s26, s26, 0x70001
	s_wait_alu 0xfffe
	v_cndmask_b32_e32 v14, 1, v11, vcc_lo
	v_mul_lo_u16 v11, v11, v11
	s_cmp_gt_u32 s27, 1
	s_delay_alu instid0(VALU_DEP_2)
	v_mul_lo_u16 v10, v14, v10
	s_cbranch_scc1 .LBB61_23
.LBB61_24:                              ;   in Loop: Header=BB61_4 Depth=1
	s_and_saveexec_b32 s26, s2
	s_delay_alu instid0(SALU_CYCLE_1)
	s_xor_b32 s2, exec_lo, s26
	s_cbranch_execz .LBB61_26
; %bb.25:                               ;   in Loop: Header=BB61_4 Depth=1
	v_add_co_u32 v1, vcc_lo, s6, v1
	s_wait_alu 0xfffd
	v_add_co_ci_u32_e64 v2, null, s7, v2, vcc_lo
	global_store_b8 v[1:2], v9, off
.LBB61_26:                              ;   in Loop: Header=BB61_4 Depth=1
	s_wait_alu 0xfffe
	s_or_b32 exec_lo, exec_lo, s2
	s_and_saveexec_b32 s2, s3
	s_cbranch_execnz .LBB61_29
; %bb.27:                               ;   in Loop: Header=BB61_4 Depth=1
	s_wait_alu 0xfffe
	s_or_b32 exec_lo, exec_lo, s2
	s_and_saveexec_b32 s2, s4
	s_cbranch_execnz .LBB61_30
.LBB61_28:                              ;   in Loop: Header=BB61_4 Depth=1
	s_wait_alu 0xfffe
	s_or_b32 exec_lo, exec_lo, s2
	s_and_saveexec_b32 s2, s5
	s_cbranch_execz .LBB61_3
	s_branch .LBB61_31
.LBB61_29:                              ;   in Loop: Header=BB61_4 Depth=1
	v_add_co_u32 v1, vcc_lo, s6, v3
	s_wait_alu 0xfffd
	v_add_co_ci_u32_e64 v2, null, s7, v4, vcc_lo
	global_store_b8 v[1:2], v12, off
	s_wait_alu 0xfffe
	s_or_b32 exec_lo, exec_lo, s2
	s_and_saveexec_b32 s2, s4
	s_cbranch_execz .LBB61_28
.LBB61_30:                              ;   in Loop: Header=BB61_4 Depth=1
	v_add_co_u32 v1, vcc_lo, s6, v5
	s_wait_alu 0xfffd
	v_add_co_ci_u32_e64 v2, null, s7, v6, vcc_lo
	global_store_b8 v[1:2], v13, off
	s_wait_alu 0xfffe
	s_or_b32 exec_lo, exec_lo, s2
	s_and_saveexec_b32 s2, s5
	s_cbranch_execz .LBB61_3
.LBB61_31:                              ;   in Loop: Header=BB61_4 Depth=1
	v_add_co_u32 v1, vcc_lo, s6, v7
	s_wait_alu 0xfffd
	v_add_co_ci_u32_e64 v2, null, s7, v8, vcc_lo
	global_store_b8 v[1:2], v10, off
	s_branch .LBB61_3
.LBB61_32:
	s_mov_b32 s2, 0
.LBB61_33:
	s_wait_alu 0xfffe
	s_and_not1_b32 vcc_lo, exec_lo, s2
	s_wait_alu 0xfffe
	s_cbranch_vccnz .LBB61_49
; %bb.34:
	v_cmp_gt_i64_e64 s2, 0x10000, s[10:11]
	v_dual_mov_b32 v2, 0 :: v_dual_lshlrev_b32 v1, 2, v0
	s_mov_b32 s4, 0
	s_mov_b32 s5, exec_lo
	s_and_b32 s2, s2, exec_lo
	s_cselect_b32 s3, s11, 0
	s_cselect_b32 s2, s10, 0x10000
	s_wait_alu 0xfffe
	v_cmpx_gt_i64_e64 s[2:3], v[1:2]
	s_cbranch_execz .LBB61_49
; %bb.35:
	s_load_b32 s0, s[0:1], 0xc5c
	s_bfe_u32 s1, s21, 0x80010
	v_mov_b32_e32 v1, v2
	s_cmp_lg_u32 s1, 0
	s_cselect_b32 s1, -1, 0
	s_wait_kmcnt 0x0
	s_and_b32 s5, s0, 0xffff
	s_branch .LBB61_38
.LBB61_36:                              ;   in Loop: Header=BB61_38 Depth=1
	s_wait_loadcnt 0x0
	v_dual_mov_b32 v6, 1 :: v_dual_mov_b32 v7, 1
.LBB61_37:                              ;   in Loop: Header=BB61_38 Depth=1
	v_add_co_u32 v0, vcc_lo, v0, s5
	s_wait_alu 0xfffd
	v_add_co_ci_u32_e64 v1, null, 0, v1, vcc_lo
	v_perm_b32 v8, v4, v5, 0xc0c0004
	v_perm_b32 v6, v7, v6, 0xc0c0004
	v_add_co_u32 v2, s0, s6, v2
	s_delay_alu instid0(VALU_DEP_4) | instskip(SKIP_3) | instid1(VALU_DEP_3)
	v_lshlrev_b64_e32 v[4:5], 2, v[0:1]
	s_wait_alu 0xf1ff
	v_add_co_ci_u32_e64 v3, null, s7, v3, s0
	v_lshl_or_b32 v6, v6, 16, v8
	v_cmp_le_i64_e32 vcc_lo, s[2:3], v[4:5]
	global_store_b32 v[2:3], v6, off
	s_or_b32 s4, vcc_lo, s4
	s_wait_alu 0xfffe
	s_and_not1_b32 exec_lo, exec_lo, s4
	s_cbranch_execz .LBB61_49
.LBB61_38:                              ; =>This Loop Header: Depth=1
                                        ;     Child Loop BB61_40 Depth 2
                                        ;     Child Loop BB61_42 Depth 2
	;; [unrolled: 1-line block ×4, first 2 shown]
	v_lshlrev_b64_e32 v[2:3], 2, v[0:1]
	s_delay_alu instid0(VALU_DEP_1) | instskip(SKIP_1) | instid1(VALU_DEP_2)
	v_add_co_u32 v4, vcc_lo, s8, v2
	s_wait_alu 0xfffd
	v_add_co_ci_u32_e64 v5, null, s9, v3, vcc_lo
	s_and_not1_b32 vcc_lo, exec_lo, s1
	global_load_b32 v6, v[4:5], off
	s_wait_alu 0xfffe
	s_cbranch_vccnz .LBB61_44
; %bb.39:                               ;   in Loop: Header=BB61_38 Depth=1
	s_wait_loadcnt 0x0
	v_dual_mov_b32 v4, 1 :: v_dual_mov_b32 v5, v6
	s_mov_b32 s0, s20
.LBB61_40:                              ;   Parent Loop BB61_38 Depth=1
                                        ; =>  This Inner Loop Header: Depth=2
	s_wait_alu 0xfffe
	s_and_b32 s10, s0, 0xff
	s_bitcmp1_b32 s0, 0
	s_cselect_b32 vcc_lo, -1, 0
	s_bfe_u32 s0, s0, 0x70001
	s_wait_alu 0xfffe
	v_cndmask_b32_e32 v7, 1, v5, vcc_lo
	v_mul_lo_u16 v5, v5, v5
	s_cmp_gt_u32 s10, 1
	s_delay_alu instid0(VALU_DEP_2)
	v_mul_lo_u16 v4, v7, v4
	s_cbranch_scc1 .LBB61_40
; %bb.41:                               ;   in Loop: Header=BB61_38 Depth=1
	v_lshrrev_b32_e32 v7, 8, v6
	v_mov_b32_e32 v5, 1
	s_mov_b32 s0, s20
.LBB61_42:                              ;   Parent Loop BB61_38 Depth=1
                                        ; =>  This Inner Loop Header: Depth=2
	s_wait_alu 0xfffe
	s_and_b32 s10, s0, 0xff
	s_bitcmp1_b32 s0, 0
	s_cselect_b32 vcc_lo, -1, 0
	s_bfe_u32 s0, s0, 0x70001
	s_wait_alu 0xfffe
	v_cndmask_b32_e32 v8, 1, v7, vcc_lo
	v_mul_lo_u16 v7, v7, v7
	s_cmp_gt_u32 s10, 1
	s_delay_alu instid0(VALU_DEP_2)
	v_mul_lo_u16 v5, v8, v5
	s_cbranch_scc1 .LBB61_42
; %bb.43:                               ;   in Loop: Header=BB61_38 Depth=1
	s_and_not1_b32 vcc_lo, exec_lo, s1
	s_wait_alu 0xfffe
	s_cbranch_vccz .LBB61_45
	s_branch .LBB61_36
.LBB61_44:                              ;   in Loop: Header=BB61_38 Depth=1
	v_dual_mov_b32 v5, 1 :: v_dual_mov_b32 v4, 1
	s_and_not1_b32 vcc_lo, exec_lo, s1
	s_wait_alu 0xfffe
	s_cbranch_vccnz .LBB61_36
.LBB61_45:                              ;   in Loop: Header=BB61_38 Depth=1
	s_wait_loadcnt 0x0
	v_lshrrev_b32_e32 v8, 16, v6
	v_mov_b32_e32 v7, 1
	s_mov_b32 s0, s20
.LBB61_46:                              ;   Parent Loop BB61_38 Depth=1
                                        ; =>  This Inner Loop Header: Depth=2
	s_wait_alu 0xfffe
	s_and_b32 s10, s0, 0xff
	s_bitcmp1_b32 s0, 0
	s_cselect_b32 vcc_lo, -1, 0
	s_bfe_u32 s0, s0, 0x70001
	s_wait_alu 0xfffe
	v_cndmask_b32_e32 v9, 1, v8, vcc_lo
	v_mul_lo_u16 v8, v8, v8
	s_cmp_gt_u32 s10, 1
	s_delay_alu instid0(VALU_DEP_2)
	v_mul_lo_u16 v7, v9, v7
	s_cbranch_scc1 .LBB61_46
; %bb.47:                               ;   in Loop: Header=BB61_38 Depth=1
	v_lshrrev_b32_e32 v8, 24, v6
	v_mov_b32_e32 v6, 1
	s_mov_b32 s0, s20
.LBB61_48:                              ;   Parent Loop BB61_38 Depth=1
                                        ; =>  This Inner Loop Header: Depth=2
	s_wait_alu 0xfffe
	s_and_b32 s10, s0, 0xff
	s_bitcmp1_b32 s0, 0
	s_cselect_b32 vcc_lo, -1, 0
	s_bfe_u32 s0, s0, 0x70001
	s_wait_alu 0xfffe
	v_cndmask_b32_e32 v9, 1, v8, vcc_lo
	v_mul_lo_u16 v8, v8, v8
	s_cmp_gt_u32 s10, 1
	s_delay_alu instid0(VALU_DEP_2)
	v_mul_lo_u16 v6, v9, v6
	s_cbranch_scc1 .LBB61_48
	s_branch .LBB61_37
.LBB61_49:
	s_endpgm
	.section	.rodata,"a",@progbits
	.p2align	6, 0x0
	.amdhsa_kernel _ZN2at6native12_GLOBAL__N_125multi_tensor_apply_kernelINS1_18TensorListMetadataILi2EEENS1_21BinaryOpScalarFunctorIhLi2ELi1ELi1EEEJNS1_13power_functorIhEEhEEEvT_T0_DpT1_
		.amdhsa_group_segment_fixed_size 0
		.amdhsa_private_segment_fixed_size 0
		.amdhsa_kernarg_size 3408
		.amdhsa_user_sgpr_count 2
		.amdhsa_user_sgpr_dispatch_ptr 0
		.amdhsa_user_sgpr_queue_ptr 0
		.amdhsa_user_sgpr_kernarg_segment_ptr 1
		.amdhsa_user_sgpr_dispatch_id 0
		.amdhsa_user_sgpr_private_segment_size 0
		.amdhsa_wavefront_size32 1
		.amdhsa_uses_dynamic_stack 0
		.amdhsa_enable_private_segment 0
		.amdhsa_system_sgpr_workgroup_id_x 1
		.amdhsa_system_sgpr_workgroup_id_y 0
		.amdhsa_system_sgpr_workgroup_id_z 0
		.amdhsa_system_sgpr_workgroup_info 0
		.amdhsa_system_vgpr_workitem_id 0
		.amdhsa_next_free_vgpr 16
		.amdhsa_next_free_sgpr 28
		.amdhsa_reserve_vcc 1
		.amdhsa_float_round_mode_32 0
		.amdhsa_float_round_mode_16_64 0
		.amdhsa_float_denorm_mode_32 3
		.amdhsa_float_denorm_mode_16_64 3
		.amdhsa_fp16_overflow 0
		.amdhsa_workgroup_processor_mode 1
		.amdhsa_memory_ordered 1
		.amdhsa_forward_progress 1
		.amdhsa_inst_pref_size 15
		.amdhsa_round_robin_scheduling 0
		.amdhsa_exception_fp_ieee_invalid_op 0
		.amdhsa_exception_fp_denorm_src 0
		.amdhsa_exception_fp_ieee_div_zero 0
		.amdhsa_exception_fp_ieee_overflow 0
		.amdhsa_exception_fp_ieee_underflow 0
		.amdhsa_exception_fp_ieee_inexact 0
		.amdhsa_exception_int_div_zero 0
	.end_amdhsa_kernel
	.section	.text._ZN2at6native12_GLOBAL__N_125multi_tensor_apply_kernelINS1_18TensorListMetadataILi2EEENS1_21BinaryOpScalarFunctorIhLi2ELi1ELi1EEEJNS1_13power_functorIhEEhEEEvT_T0_DpT1_,"axG",@progbits,_ZN2at6native12_GLOBAL__N_125multi_tensor_apply_kernelINS1_18TensorListMetadataILi2EEENS1_21BinaryOpScalarFunctorIhLi2ELi1ELi1EEEJNS1_13power_functorIhEEhEEEvT_T0_DpT1_,comdat
.Lfunc_end61:
	.size	_ZN2at6native12_GLOBAL__N_125multi_tensor_apply_kernelINS1_18TensorListMetadataILi2EEENS1_21BinaryOpScalarFunctorIhLi2ELi1ELi1EEEJNS1_13power_functorIhEEhEEEvT_T0_DpT1_, .Lfunc_end61-_ZN2at6native12_GLOBAL__N_125multi_tensor_apply_kernelINS1_18TensorListMetadataILi2EEENS1_21BinaryOpScalarFunctorIhLi2ELi1ELi1EEEJNS1_13power_functorIhEEhEEEvT_T0_DpT1_
                                        ; -- End function
	.set _ZN2at6native12_GLOBAL__N_125multi_tensor_apply_kernelINS1_18TensorListMetadataILi2EEENS1_21BinaryOpScalarFunctorIhLi2ELi1ELi1EEEJNS1_13power_functorIhEEhEEEvT_T0_DpT1_.num_vgpr, 16
	.set _ZN2at6native12_GLOBAL__N_125multi_tensor_apply_kernelINS1_18TensorListMetadataILi2EEENS1_21BinaryOpScalarFunctorIhLi2ELi1ELi1EEEJNS1_13power_functorIhEEhEEEvT_T0_DpT1_.num_agpr, 0
	.set _ZN2at6native12_GLOBAL__N_125multi_tensor_apply_kernelINS1_18TensorListMetadataILi2EEENS1_21BinaryOpScalarFunctorIhLi2ELi1ELi1EEEJNS1_13power_functorIhEEhEEEvT_T0_DpT1_.numbered_sgpr, 28
	.set _ZN2at6native12_GLOBAL__N_125multi_tensor_apply_kernelINS1_18TensorListMetadataILi2EEENS1_21BinaryOpScalarFunctorIhLi2ELi1ELi1EEEJNS1_13power_functorIhEEhEEEvT_T0_DpT1_.num_named_barrier, 0
	.set _ZN2at6native12_GLOBAL__N_125multi_tensor_apply_kernelINS1_18TensorListMetadataILi2EEENS1_21BinaryOpScalarFunctorIhLi2ELi1ELi1EEEJNS1_13power_functorIhEEhEEEvT_T0_DpT1_.private_seg_size, 0
	.set _ZN2at6native12_GLOBAL__N_125multi_tensor_apply_kernelINS1_18TensorListMetadataILi2EEENS1_21BinaryOpScalarFunctorIhLi2ELi1ELi1EEEJNS1_13power_functorIhEEhEEEvT_T0_DpT1_.uses_vcc, 1
	.set _ZN2at6native12_GLOBAL__N_125multi_tensor_apply_kernelINS1_18TensorListMetadataILi2EEENS1_21BinaryOpScalarFunctorIhLi2ELi1ELi1EEEJNS1_13power_functorIhEEhEEEvT_T0_DpT1_.uses_flat_scratch, 0
	.set _ZN2at6native12_GLOBAL__N_125multi_tensor_apply_kernelINS1_18TensorListMetadataILi2EEENS1_21BinaryOpScalarFunctorIhLi2ELi1ELi1EEEJNS1_13power_functorIhEEhEEEvT_T0_DpT1_.has_dyn_sized_stack, 0
	.set _ZN2at6native12_GLOBAL__N_125multi_tensor_apply_kernelINS1_18TensorListMetadataILi2EEENS1_21BinaryOpScalarFunctorIhLi2ELi1ELi1EEEJNS1_13power_functorIhEEhEEEvT_T0_DpT1_.has_recursion, 0
	.set _ZN2at6native12_GLOBAL__N_125multi_tensor_apply_kernelINS1_18TensorListMetadataILi2EEENS1_21BinaryOpScalarFunctorIhLi2ELi1ELi1EEEJNS1_13power_functorIhEEhEEEvT_T0_DpT1_.has_indirect_call, 0
	.section	.AMDGPU.csdata,"",@progbits
; Kernel info:
; codeLenInByte = 1884
; TotalNumSgprs: 30
; NumVgprs: 16
; ScratchSize: 0
; MemoryBound: 0
; FloatMode: 240
; IeeeMode: 1
; LDSByteSize: 0 bytes/workgroup (compile time only)
; SGPRBlocks: 0
; VGPRBlocks: 1
; NumSGPRsForWavesPerEU: 30
; NumVGPRsForWavesPerEU: 16
; Occupancy: 16
; WaveLimiterHint : 0
; COMPUTE_PGM_RSRC2:SCRATCH_EN: 0
; COMPUTE_PGM_RSRC2:USER_SGPR: 2
; COMPUTE_PGM_RSRC2:TRAP_HANDLER: 0
; COMPUTE_PGM_RSRC2:TGID_X_EN: 1
; COMPUTE_PGM_RSRC2:TGID_Y_EN: 0
; COMPUTE_PGM_RSRC2:TGID_Z_EN: 0
; COMPUTE_PGM_RSRC2:TIDIG_COMP_CNT: 0
	.section	.text._ZN2at6native12_GLOBAL__N_125multi_tensor_apply_kernelINS1_18TensorListMetadataILi2EEENS1_21BinaryOpScalarFunctorIaLi2ELi1ELi1EEEJNS1_13power_functorIaEEaEEEvT_T0_DpT1_,"axG",@progbits,_ZN2at6native12_GLOBAL__N_125multi_tensor_apply_kernelINS1_18TensorListMetadataILi2EEENS1_21BinaryOpScalarFunctorIaLi2ELi1ELi1EEEJNS1_13power_functorIaEEaEEEvT_T0_DpT1_,comdat
	.globl	_ZN2at6native12_GLOBAL__N_125multi_tensor_apply_kernelINS1_18TensorListMetadataILi2EEENS1_21BinaryOpScalarFunctorIaLi2ELi1ELi1EEEJNS1_13power_functorIaEEaEEEvT_T0_DpT1_ ; -- Begin function _ZN2at6native12_GLOBAL__N_125multi_tensor_apply_kernelINS1_18TensorListMetadataILi2EEENS1_21BinaryOpScalarFunctorIaLi2ELi1ELi1EEEJNS1_13power_functorIaEEaEEEvT_T0_DpT1_
	.p2align	8
	.type	_ZN2at6native12_GLOBAL__N_125multi_tensor_apply_kernelINS1_18TensorListMetadataILi2EEENS1_21BinaryOpScalarFunctorIaLi2ELi1ELi1EEEJNS1_13power_functorIaEEaEEEvT_T0_DpT1_,@function
_ZN2at6native12_GLOBAL__N_125multi_tensor_apply_kernelINS1_18TensorListMetadataILi2EEENS1_21BinaryOpScalarFunctorIaLi2ELi1ELi1EEEJNS1_13power_functorIaEEaEEEvT_T0_DpT1_: ; @_ZN2at6native12_GLOBAL__N_125multi_tensor_apply_kernelINS1_18TensorListMetadataILi2EEENS1_21BinaryOpScalarFunctorIaLi2ELi1ELi1EEEJNS1_13power_functorIaEEaEEEvT_T0_DpT1_
; %bb.0:
	s_load_u8 s6, s[0:1], ttmp9 offset:0x600
	s_mov_b32 s2, ttmp9
	s_mov_b32 s3, 0
	s_delay_alu instid0(SALU_CYCLE_1) | instskip(SKIP_1) | instid1(SALU_CYCLE_1)
	s_mul_u64 s[4:5], s[2:3], 3
	s_add_nc_u64 s[2:3], s[0:1], s[2:3]
	s_add_nc_u64 s[2:3], s[2:3], s[4:5]
	s_load_b32 s2, s[2:3], 0x740
	s_wait_kmcnt 0x0
	s_lshl_b32 s3, s6, 3
	s_clause 0x3
	s_load_b64 s[4:5], s[0:1], s3 offset:0x200
	s_load_b64 s[6:7], s[0:1], s3 offset:0x0
	;; [unrolled: 1-line block ×3, first 2 shown]
	s_load_b32 s22, s[0:1], 0xc48
	s_ashr_i32 s3, s2, 31
	s_delay_alu instid0(SALU_CYCLE_1)
	s_lshl_b64 s[2:3], s[2:3], 16
	s_wait_kmcnt 0x0
	s_add_nc_u64 s[8:9], s[4:5], s[2:3]
	s_add_nc_u64 s[10:11], s[6:7], s[2:3]
	s_or_b32 s4, s12, s8
	s_lshr_b32 s7, s22, 16
	s_or_b32 s4, s4, s10
	s_sub_nc_u64 s[12:13], s[12:13], s[2:3]
	s_and_b32 s4, s4, 3
	s_mov_b32 s2, -1
	s_cmp_eq_u32 s4, 0
	s_cbranch_scc1 .LBB62_73
; %bb.1:
	v_cmp_lt_i64_e64 s2, s[12:13], 1
	s_and_b32 vcc_lo, exec_lo, s2
	s_cbranch_vccnz .LBB62_72
; %bb.2:
	s_load_b32 s2, s[0:1], 0xc5c
	v_cmp_gt_i64_e64 s3, 0x10000, s[12:13]
	v_cmp_gt_u64_e64 s4, 0x10000, s[12:13]
	s_mov_b32 s19, 0
	s_mov_b64 s[20:21], 0
	s_and_b32 s3, s3, exec_lo
	s_cselect_b32 s15, s13, 0
	s_cselect_b32 s14, s12, 0x10000
	s_wait_kmcnt 0x0
	s_and_b32 s23, s2, 0xffff
	s_and_b32 s2, s4, exec_lo
	s_cselect_b32 s17, s13, 0
	s_cselect_b32 s16, s12, 0x10000
	s_bfe_i32 s2, s22, 0x80010
	s_lshl_b32 s24, s23, 1
	s_cmp_gt_i32 s2, -1
	s_mul_i32 s26, s23, 3
	s_cselect_b32 s25, -1, 0
	s_bfe_u32 s2, s22, 0x80010
	s_delay_alu instid0(SALU_CYCLE_1)
	s_cmp_lg_u32 s2, 0
	s_cselect_b32 s27, -1, 0
	s_bfe_u32 s2, s22, 0x10010
	v_cndmask_b32_e64 v9, 0, 1, s27
	s_cmp_eq_u32 s2, 0
	s_cselect_b32 s28, 1, 0xffff
	s_lshl_b32 s18, s23, 2
	s_branch .LBB62_4
.LBB62_3:                               ;   in Loop: Header=BB62_4 Depth=1
	s_wait_alu 0xfffe
	s_or_b32 exec_lo, exec_lo, s2
	s_add_nc_u64 s[20:21], s[20:21], s[18:19]
	s_wait_alu 0xfffe
	v_cmp_ge_i64_e64 s2, s[20:21], s[14:15]
	s_and_b32 vcc_lo, exec_lo, s2
	s_wait_alu 0xfffe
	s_cbranch_vccnz .LBB62_72
.LBB62_4:                               ; =>This Loop Header: Depth=1
                                        ;     Child Loop BB62_15 Depth 2
                                        ;     Child Loop BB62_20 Depth 2
	;; [unrolled: 1-line block ×4, first 2 shown]
	v_add_co_u32 v1, s2, s20, v0
	s_wait_alu 0xf1ff
	v_add_co_ci_u32_e64 v2, null, s21, 0, s2
	s_wait_loadcnt 0x0
	v_mov_b32_e32 v13, 0
	s_delay_alu instid0(VALU_DEP_2)
	v_cmp_gt_u64_e64 s2, s[16:17], v[1:2]
	s_and_saveexec_b32 s3, s2
	s_cbranch_execz .LBB62_6
; %bb.5:                                ;   in Loop: Header=BB62_4 Depth=1
	v_add_co_u32 v3, vcc_lo, s10, v1
	s_wait_alu 0xfffd
	v_add_co_ci_u32_e64 v4, null, s11, v2, vcc_lo
	global_load_u8 v13, v[3:4], off
.LBB62_6:                               ;   in Loop: Header=BB62_4 Depth=1
	s_wait_alu 0xfffe
	s_or_b32 exec_lo, exec_lo, s3
	v_add_co_u32 v3, vcc_lo, v1, s23
	s_wait_alu 0xfffd
	v_add_co_ci_u32_e64 v4, null, 0, v2, vcc_lo
	v_mov_b32_e32 v12, 0
	v_mov_b32_e32 v14, 0
	s_delay_alu instid0(VALU_DEP_3)
	v_cmp_gt_u64_e64 s3, s[16:17], v[3:4]
	s_and_saveexec_b32 s4, s3
	s_cbranch_execz .LBB62_8
; %bb.7:                                ;   in Loop: Header=BB62_4 Depth=1
	v_add_co_u32 v5, vcc_lo, s10, v3
	s_wait_alu 0xfffd
	v_add_co_ci_u32_e64 v6, null, s11, v4, vcc_lo
	global_load_u8 v14, v[5:6], off
.LBB62_8:                               ;   in Loop: Header=BB62_4 Depth=1
	s_or_b32 exec_lo, exec_lo, s4
	v_add_co_u32 v5, vcc_lo, v1, s24
	s_wait_alu 0xfffd
	v_add_co_ci_u32_e64 v6, null, 0, v2, vcc_lo
	s_delay_alu instid0(VALU_DEP_1)
	v_cmp_gt_u64_e64 s4, s[16:17], v[5:6]
	s_and_saveexec_b32 s5, s4
	s_cbranch_execz .LBB62_10
; %bb.9:                                ;   in Loop: Header=BB62_4 Depth=1
	v_add_co_u32 v7, vcc_lo, s10, v5
	s_wait_alu 0xfffd
	v_add_co_ci_u32_e64 v8, null, s11, v6, vcc_lo
	global_load_u8 v12, v[7:8], off
.LBB62_10:                              ;   in Loop: Header=BB62_4 Depth=1
	s_or_b32 exec_lo, exec_lo, s5
	v_add_co_u32 v7, vcc_lo, v1, s26
	s_wait_alu 0xfffd
	v_add_co_ci_u32_e64 v8, null, 0, v2, vcc_lo
	v_mov_b32_e32 v11, 0
	s_delay_alu instid0(VALU_DEP_2)
	v_cmp_gt_u64_e64 s5, s[16:17], v[7:8]
	s_and_saveexec_b32 s6, s5
	s_cbranch_execz .LBB62_12
; %bb.11:                               ;   in Loop: Header=BB62_4 Depth=1
	v_add_co_u32 v10, vcc_lo, s10, v7
	s_wait_alu 0xfffd
	v_add_co_ci_u32_e64 v11, null, s11, v8, vcc_lo
	global_load_u8 v11, v[10:11], off
.LBB62_12:                              ;   in Loop: Header=BB62_4 Depth=1
	s_or_b32 exec_lo, exec_lo, s6
	v_cmp_ne_u32_e64 s6, 1, v9
	s_and_b32 vcc_lo, exec_lo, s25
	s_mov_b32 s29, -1
                                        ; implicit-def: $vgpr10
	s_wait_alu 0xfffe
	s_cbranch_vccz .LBB62_36
; %bb.13:                               ;   in Loop: Header=BB62_4 Depth=1
	v_mov_b32_e32 v10, 1
	s_and_b32 vcc_lo, exec_lo, s6
	s_wait_alu 0xfffe
	s_cbranch_vccnz .LBB62_16
; %bb.14:                               ;   in Loop: Header=BB62_4 Depth=1
	s_wait_loadcnt 0x0
	v_mov_b32_e32 v15, v13
	s_mov_b32 s6, s7
.LBB62_15:                              ;   Parent Loop BB62_4 Depth=1
                                        ; =>  This Inner Loop Header: Depth=2
	s_delay_alu instid0(SALU_CYCLE_1)
	s_bfe_i32 s29, s6, 0x80000
	s_bitcmp1_b32 s6, 0
	s_wait_alu 0xfffe
	s_sext_i32_i16 s29, s29
	s_cselect_b32 vcc_lo, -1, 0
	s_bfe_u32 s6, s6, 0x70001
	s_wait_alu 0xfffe
	v_cndmask_b32_e32 v16, 1, v15, vcc_lo
	v_mul_lo_u16 v15, v15, v15
	s_cmp_gt_i32 s29, 1
	s_delay_alu instid0(VALU_DEP_2)
	v_mul_lo_u16 v10, v16, v10
	s_cbranch_scc1 .LBB62_15
.LBB62_16:                              ;   in Loop: Header=BB62_4 Depth=1
	s_cbranch_execz .LBB62_37
.LBB62_17:                              ;   in Loop: Header=BB62_4 Depth=1
	s_and_not1_b32 vcc_lo, exec_lo, s25
	s_mov_b32 s6, -1
                                        ; implicit-def: $vgpr13
	s_wait_alu 0xfffe
	s_cbranch_vccnz .LBB62_44
.LBB62_18:                              ;   in Loop: Header=BB62_4 Depth=1
	s_wait_loadcnt 0x0
	v_mov_b32_e32 v13, 1
	s_and_not1_b32 vcc_lo, exec_lo, s27
	s_wait_alu 0xfffe
	s_cbranch_vccnz .LBB62_21
; %bb.19:                               ;   in Loop: Header=BB62_4 Depth=1
	v_mov_b32_e32 v15, v14
	s_mov_b32 s6, s7
.LBB62_20:                              ;   Parent Loop BB62_4 Depth=1
                                        ; =>  This Inner Loop Header: Depth=2
	s_delay_alu instid0(SALU_CYCLE_1)
	s_bfe_i32 s29, s6, 0x80000
	s_bitcmp1_b32 s6, 0
	s_wait_alu 0xfffe
	s_sext_i32_i16 s29, s29
	s_cselect_b32 vcc_lo, -1, 0
	s_bfe_u32 s6, s6, 0x70001
	s_wait_alu 0xfffe
	v_cndmask_b32_e32 v16, 1, v15, vcc_lo
	v_mul_lo_u16 v15, v15, v15
	s_cmp_lt_i32 s29, 2
	s_delay_alu instid0(VALU_DEP_2)
	v_mul_lo_u16 v13, v16, v13
	s_cbranch_scc0 .LBB62_20
.LBB62_21:                              ;   in Loop: Header=BB62_4 Depth=1
	s_cbranch_execz .LBB62_45
.LBB62_22:                              ;   in Loop: Header=BB62_4 Depth=1
	s_and_not1_b32 vcc_lo, exec_lo, s25
	s_mov_b32 s6, -1
                                        ; implicit-def: $vgpr14
	s_wait_alu 0xfffe
	s_cbranch_vccnz .LBB62_52
.LBB62_23:                              ;   in Loop: Header=BB62_4 Depth=1
	s_wait_loadcnt 0x0
	v_mov_b32_e32 v14, 1
	s_and_not1_b32 vcc_lo, exec_lo, s27
	s_wait_alu 0xfffe
	s_cbranch_vccnz .LBB62_26
; %bb.24:                               ;   in Loop: Header=BB62_4 Depth=1
	v_mov_b32_e32 v15, v12
	s_mov_b32 s6, s7
.LBB62_25:                              ;   Parent Loop BB62_4 Depth=1
                                        ; =>  This Inner Loop Header: Depth=2
	s_delay_alu instid0(SALU_CYCLE_1)
	s_bfe_i32 s29, s6, 0x80000
	s_bitcmp1_b32 s6, 0
	s_wait_alu 0xfffe
	s_sext_i32_i16 s29, s29
	s_cselect_b32 vcc_lo, -1, 0
	s_bfe_u32 s6, s6, 0x70001
	s_wait_alu 0xfffe
	v_cndmask_b32_e32 v16, 1, v15, vcc_lo
	v_mul_lo_u16 v15, v15, v15
	s_cmp_lt_i32 s29, 2
	s_delay_alu instid0(VALU_DEP_2)
	v_mul_lo_u16 v14, v16, v14
	s_cbranch_scc0 .LBB62_25
.LBB62_26:                              ;   in Loop: Header=BB62_4 Depth=1
	s_cbranch_execz .LBB62_53
.LBB62_27:                              ;   in Loop: Header=BB62_4 Depth=1
	s_and_not1_b32 vcc_lo, exec_lo, s25
	s_mov_b32 s6, -1
                                        ; implicit-def: $vgpr12
	s_wait_alu 0xfffe
	s_cbranch_vccnz .LBB62_60
.LBB62_28:                              ;   in Loop: Header=BB62_4 Depth=1
	s_wait_loadcnt 0x0
	v_mov_b32_e32 v12, 1
	s_and_not1_b32 vcc_lo, exec_lo, s27
	s_wait_alu 0xfffe
	s_cbranch_vccnz .LBB62_31
; %bb.29:                               ;   in Loop: Header=BB62_4 Depth=1
	v_mov_b32_e32 v15, v11
	s_mov_b32 s6, s7
.LBB62_30:                              ;   Parent Loop BB62_4 Depth=1
                                        ; =>  This Inner Loop Header: Depth=2
	s_delay_alu instid0(SALU_CYCLE_1)
	s_bfe_i32 s29, s6, 0x80000
	s_bitcmp1_b32 s6, 0
	s_wait_alu 0xfffe
	s_sext_i32_i16 s29, s29
	s_cselect_b32 vcc_lo, -1, 0
	s_bfe_u32 s6, s6, 0x70001
	s_wait_alu 0xfffe
	v_cndmask_b32_e32 v16, 1, v15, vcc_lo
	v_mul_lo_u16 v15, v15, v15
	s_cmp_lt_i32 s29, 2
	s_delay_alu instid0(VALU_DEP_2)
	v_mul_lo_u16 v12, v16, v12
	s_cbranch_scc0 .LBB62_30
.LBB62_31:                              ;   in Loop: Header=BB62_4 Depth=1
	s_cbranch_execz .LBB62_61
.LBB62_32:                              ;   in Loop: Header=BB62_4 Depth=1
	s_and_saveexec_b32 s6, s2
	s_delay_alu instid0(SALU_CYCLE_1)
	s_xor_b32 s2, exec_lo, s6
	s_cbranch_execz .LBB62_68
.LBB62_33:                              ;   in Loop: Header=BB62_4 Depth=1
	v_add_co_u32 v1, vcc_lo, s8, v1
	s_wait_alu 0xfffd
	v_add_co_ci_u32_e64 v2, null, s9, v2, vcc_lo
	global_store_b8 v[1:2], v10, off
	s_wait_alu 0xfffe
	s_or_b32 exec_lo, exec_lo, s2
	s_and_saveexec_b32 s2, s3
	s_cbranch_execnz .LBB62_69
.LBB62_34:                              ;   in Loop: Header=BB62_4 Depth=1
	s_wait_alu 0xfffe
	s_or_b32 exec_lo, exec_lo, s2
	s_and_saveexec_b32 s2, s4
	s_cbranch_execz .LBB62_70
.LBB62_35:                              ;   in Loop: Header=BB62_4 Depth=1
	v_add_co_u32 v1, vcc_lo, s8, v5
	s_wait_alu 0xfffd
	v_add_co_ci_u32_e64 v2, null, s9, v6, vcc_lo
	s_wait_loadcnt 0x0
	global_store_b8 v[1:2], v14, off
	s_wait_alu 0xfffe
	s_or_b32 exec_lo, exec_lo, s2
	s_and_saveexec_b32 s2, s5
	s_cbranch_execz .LBB62_3
	s_branch .LBB62_71
.LBB62_36:                              ;   in Loop: Header=BB62_4 Depth=1
	s_and_not1_b32 vcc_lo, exec_lo, s29
	s_wait_alu 0xfffe
	s_cbranch_vccnz .LBB62_17
.LBB62_37:                              ;   in Loop: Header=BB62_4 Depth=1
	s_wait_loadcnt 0x0
	v_and_b32_e32 v13, 0xff, v13
	s_mov_b32 s6, exec_lo
	s_delay_alu instid0(VALU_DEP_1)
	v_cmpx_lt_i16_e32 0xfe, v13
	s_xor_b32 s6, exec_lo, s6
; %bb.38:                               ;   in Loop: Header=BB62_4 Depth=1
                                        ; implicit-def: $vgpr13
; %bb.39:                               ;   in Loop: Header=BB62_4 Depth=1
	s_delay_alu instid0(SALU_CYCLE_1)
	s_or_saveexec_b32 s6, s6
	v_mov_b32_e32 v10, s28
	s_xor_b32 exec_lo, exec_lo, s6
	s_cbranch_execz .LBB62_43
; %bb.40:                               ;   in Loop: Header=BB62_4 Depth=1
	v_mov_b32_e32 v10, 1
	s_mov_b32 s29, exec_lo
	v_cmpx_ne_u16_e32 1, v13
; %bb.41:                               ;   in Loop: Header=BB62_4 Depth=1
	v_mov_b32_e32 v10, 0
; %bb.42:                               ;   in Loop: Header=BB62_4 Depth=1
	s_wait_alu 0xfffe
	s_or_b32 exec_lo, exec_lo, s29
.LBB62_43:                              ;   in Loop: Header=BB62_4 Depth=1
	s_delay_alu instid0(SALU_CYCLE_1) | instskip(NEXT) | instid1(SALU_CYCLE_1)
	s_or_b32 exec_lo, exec_lo, s6
	s_and_not1_b32 vcc_lo, exec_lo, s25
	s_mov_b32 s6, -1
                                        ; implicit-def: $vgpr13
	s_wait_alu 0xfffe
	s_cbranch_vccz .LBB62_18
.LBB62_44:                              ;   in Loop: Header=BB62_4 Depth=1
	s_and_not1_b32 vcc_lo, exec_lo, s6
	s_wait_alu 0xfffe
	s_cbranch_vccnz .LBB62_22
.LBB62_45:                              ;   in Loop: Header=BB62_4 Depth=1
	s_wait_loadcnt 0x0
	v_and_b32_e32 v14, 0xff, v14
	s_mov_b32 s6, exec_lo
	s_delay_alu instid0(VALU_DEP_1)
	v_cmpx_lt_i16_e32 0xfe, v14
	s_xor_b32 s6, exec_lo, s6
; %bb.46:                               ;   in Loop: Header=BB62_4 Depth=1
                                        ; implicit-def: $vgpr14
; %bb.47:                               ;   in Loop: Header=BB62_4 Depth=1
	s_delay_alu instid0(SALU_CYCLE_1)
	s_or_saveexec_b32 s6, s6
	v_mov_b32_e32 v13, s28
	s_xor_b32 exec_lo, exec_lo, s6
	s_cbranch_execz .LBB62_51
; %bb.48:                               ;   in Loop: Header=BB62_4 Depth=1
	v_mov_b32_e32 v13, 1
	s_mov_b32 s29, exec_lo
	v_cmpx_ne_u16_e32 1, v14
; %bb.49:                               ;   in Loop: Header=BB62_4 Depth=1
	v_mov_b32_e32 v13, 0
; %bb.50:                               ;   in Loop: Header=BB62_4 Depth=1
	s_wait_alu 0xfffe
	s_or_b32 exec_lo, exec_lo, s29
.LBB62_51:                              ;   in Loop: Header=BB62_4 Depth=1
	s_delay_alu instid0(SALU_CYCLE_1) | instskip(NEXT) | instid1(SALU_CYCLE_1)
	s_or_b32 exec_lo, exec_lo, s6
	s_and_not1_b32 vcc_lo, exec_lo, s25
	s_mov_b32 s6, -1
                                        ; implicit-def: $vgpr14
	s_wait_alu 0xfffe
	s_cbranch_vccz .LBB62_23
.LBB62_52:                              ;   in Loop: Header=BB62_4 Depth=1
	s_and_not1_b32 vcc_lo, exec_lo, s6
	s_wait_alu 0xfffe
	s_cbranch_vccnz .LBB62_27
.LBB62_53:                              ;   in Loop: Header=BB62_4 Depth=1
	s_wait_loadcnt 0x0
	v_and_b32_e32 v12, 0xff, v12
	s_mov_b32 s6, exec_lo
	s_delay_alu instid0(VALU_DEP_1)
	v_cmpx_lt_i16_e32 0xfe, v12
	s_xor_b32 s6, exec_lo, s6
; %bb.54:                               ;   in Loop: Header=BB62_4 Depth=1
                                        ; implicit-def: $vgpr12
; %bb.55:                               ;   in Loop: Header=BB62_4 Depth=1
	s_delay_alu instid0(SALU_CYCLE_1)
	s_or_saveexec_b32 s6, s6
	v_mov_b32_e32 v14, s28
	s_xor_b32 exec_lo, exec_lo, s6
	s_cbranch_execz .LBB62_59
; %bb.56:                               ;   in Loop: Header=BB62_4 Depth=1
	v_mov_b32_e32 v14, 1
	s_mov_b32 s29, exec_lo
	v_cmpx_ne_u16_e32 1, v12
; %bb.57:                               ;   in Loop: Header=BB62_4 Depth=1
	v_mov_b32_e32 v14, 0
; %bb.58:                               ;   in Loop: Header=BB62_4 Depth=1
	s_wait_alu 0xfffe
	s_or_b32 exec_lo, exec_lo, s29
.LBB62_59:                              ;   in Loop: Header=BB62_4 Depth=1
	s_delay_alu instid0(SALU_CYCLE_1) | instskip(NEXT) | instid1(SALU_CYCLE_1)
	s_or_b32 exec_lo, exec_lo, s6
	s_and_not1_b32 vcc_lo, exec_lo, s25
	s_mov_b32 s6, -1
                                        ; implicit-def: $vgpr12
	s_wait_alu 0xfffe
	s_cbranch_vccz .LBB62_28
.LBB62_60:                              ;   in Loop: Header=BB62_4 Depth=1
	s_and_not1_b32 vcc_lo, exec_lo, s6
	s_wait_alu 0xfffe
	s_cbranch_vccnz .LBB62_32
.LBB62_61:                              ;   in Loop: Header=BB62_4 Depth=1
	s_wait_loadcnt 0x0
	v_and_b32_e32 v11, 0xff, v11
	s_mov_b32 s6, exec_lo
	s_delay_alu instid0(VALU_DEP_1)
	v_cmpx_lt_i16_e32 0xfe, v11
	s_xor_b32 s6, exec_lo, s6
; %bb.62:                               ;   in Loop: Header=BB62_4 Depth=1
                                        ; implicit-def: $vgpr11
; %bb.63:                               ;   in Loop: Header=BB62_4 Depth=1
	s_delay_alu instid0(SALU_CYCLE_1)
	s_or_saveexec_b32 s6, s6
	v_mov_b32_e32 v12, s28
	s_xor_b32 exec_lo, exec_lo, s6
	s_cbranch_execz .LBB62_67
; %bb.64:                               ;   in Loop: Header=BB62_4 Depth=1
	v_mov_b32_e32 v12, 1
	s_mov_b32 s29, exec_lo
	v_cmpx_ne_u16_e32 1, v11
; %bb.65:                               ;   in Loop: Header=BB62_4 Depth=1
	v_mov_b32_e32 v12, 0
; %bb.66:                               ;   in Loop: Header=BB62_4 Depth=1
	s_wait_alu 0xfffe
	s_or_b32 exec_lo, exec_lo, s29
.LBB62_67:                              ;   in Loop: Header=BB62_4 Depth=1
	s_delay_alu instid0(SALU_CYCLE_1) | instskip(SKIP_1) | instid1(SALU_CYCLE_1)
	s_or_b32 exec_lo, exec_lo, s6
	s_and_saveexec_b32 s6, s2
	s_xor_b32 s2, exec_lo, s6
	s_cbranch_execnz .LBB62_33
.LBB62_68:                              ;   in Loop: Header=BB62_4 Depth=1
	s_wait_alu 0xfffe
	s_or_b32 exec_lo, exec_lo, s2
	s_and_saveexec_b32 s2, s3
	s_cbranch_execz .LBB62_34
.LBB62_69:                              ;   in Loop: Header=BB62_4 Depth=1
	v_add_co_u32 v1, vcc_lo, s8, v3
	s_wait_alu 0xfffd
	v_add_co_ci_u32_e64 v2, null, s9, v4, vcc_lo
	s_wait_loadcnt 0x0
	global_store_b8 v[1:2], v13, off
	s_wait_alu 0xfffe
	s_or_b32 exec_lo, exec_lo, s2
	s_and_saveexec_b32 s2, s4
	s_cbranch_execnz .LBB62_35
.LBB62_70:                              ;   in Loop: Header=BB62_4 Depth=1
	s_wait_alu 0xfffe
	s_or_b32 exec_lo, exec_lo, s2
	s_and_saveexec_b32 s2, s5
	s_cbranch_execz .LBB62_3
.LBB62_71:                              ;   in Loop: Header=BB62_4 Depth=1
	v_add_co_u32 v1, vcc_lo, s8, v7
	s_wait_alu 0xfffd
	v_add_co_ci_u32_e64 v2, null, s9, v8, vcc_lo
	s_wait_loadcnt 0x0
	global_store_b8 v[1:2], v12, off
	s_branch .LBB62_3
.LBB62_72:
	s_mov_b32 s2, 0
.LBB62_73:
	s_wait_alu 0xfffe
	s_and_not1_b32 vcc_lo, exec_lo, s2
	s_wait_alu 0xfffe
	s_cbranch_vccnz .LBB62_129
; %bb.74:
	v_cmp_gt_i64_e64 s2, 0x10000, s[12:13]
	v_dual_mov_b32 v2, 0 :: v_dual_lshlrev_b32 v1, 2, v0
	s_mov_b32 s4, 0
	s_mov_b32 s5, exec_lo
	s_and_b32 s2, s2, exec_lo
	s_cselect_b32 s3, s13, 0
	s_cselect_b32 s2, s12, 0x10000
	s_wait_alu 0xfffe
	v_cmpx_gt_i64_e64 s[2:3], v[1:2]
	s_cbranch_execz .LBB62_129
; %bb.75:
	s_load_b32 s0, s[0:1], 0xc5c
	s_bfe_i32 s1, s22, 0x80010
	v_mov_b32_e32 v1, v2
	s_cmp_gt_i32 s1, -1
	s_cselect_b32 s1, -1, 0
	s_bfe_u32 s5, s22, 0x80010
	s_delay_alu instid0(SALU_CYCLE_1)
	s_cmp_lg_u32 s5, 0
	s_cselect_b32 s5, -1, 0
	s_bfe_u32 s6, s22, 0x10010
	v_cndmask_b32_e64 v4, 0, 1, s5
	s_cmp_eq_u32 s6, 0
	s_cselect_b32 s6, 1, 0xffff
	s_wait_kmcnt 0x0
	s_and_b32 s12, s0, 0xffff
	s_branch .LBB62_79
.LBB62_76:                              ;   in Loop: Header=BB62_79 Depth=1
	s_wait_alu 0xfffe
	s_or_b32 exec_lo, exec_lo, s13
.LBB62_77:                              ;   in Loop: Header=BB62_79 Depth=1
	s_delay_alu instid0(SALU_CYCLE_1)
	s_or_b32 exec_lo, exec_lo, s0
.LBB62_78:                              ;   in Loop: Header=BB62_79 Depth=1
	v_add_co_u32 v0, vcc_lo, v0, s12
	s_wait_alu 0xfffd
	v_add_co_ci_u32_e64 v1, null, 0, v1, vcc_lo
	v_perm_b32 v5, v5, v7, 0xc0c0004
	v_perm_b32 v6, v8, v6, 0xc0c0004
	v_add_co_u32 v2, s0, s8, v2
	s_delay_alu instid0(VALU_DEP_4) | instskip(SKIP_3) | instid1(VALU_DEP_3)
	v_lshlrev_b64_e32 v[9:10], 2, v[0:1]
	s_wait_alu 0xf1ff
	v_add_co_ci_u32_e64 v3, null, s9, v3, s0
	v_lshl_or_b32 v5, v6, 16, v5
	v_cmp_le_i64_e32 vcc_lo, s[2:3], v[9:10]
	global_store_b32 v[2:3], v5, off
	s_or_b32 s4, vcc_lo, s4
	s_wait_alu 0xfffe
	s_and_not1_b32 exec_lo, exec_lo, s4
	s_cbranch_execz .LBB62_129
.LBB62_79:                              ; =>This Loop Header: Depth=1
                                        ;     Child Loop BB62_82 Depth 2
                                        ;     Child Loop BB62_87 Depth 2
	;; [unrolled: 1-line block ×4, first 2 shown]
	v_lshlrev_b64_e32 v[2:3], 2, v[0:1]
	v_cmp_ne_u32_e64 s0, 1, v4
	s_mov_b32 s13, -1
	v_add_co_u32 v5, vcc_lo, s10, v2
	s_wait_alu 0xfffd
	v_add_co_ci_u32_e64 v6, null, s11, v3, vcc_lo
	s_and_b32 vcc_lo, exec_lo, s1
	global_load_b32 v6, v[5:6], off
                                        ; implicit-def: $vgpr5
	s_wait_alu 0xfffe
	s_cbranch_vccz .LBB62_99
; %bb.80:                               ;   in Loop: Header=BB62_79 Depth=1
	v_mov_b32_e32 v5, 1
	s_and_b32 vcc_lo, exec_lo, s0
	s_wait_alu 0xfffe
	s_cbranch_vccnz .LBB62_83
; %bb.81:                               ;   in Loop: Header=BB62_79 Depth=1
	s_wait_loadcnt 0x0
	v_mov_b32_e32 v7, v6
	s_mov_b32 s0, s7
.LBB62_82:                              ;   Parent Loop BB62_79 Depth=1
                                        ; =>  This Inner Loop Header: Depth=2
	s_wait_alu 0xfffe
	s_bfe_i32 s13, s0, 0x80000
	s_bitcmp1_b32 s0, 0
	s_wait_alu 0xfffe
	s_sext_i32_i16 s13, s13
	s_cselect_b32 vcc_lo, -1, 0
	s_bfe_u32 s0, s0, 0x70001
	s_wait_alu 0xfffe
	v_cndmask_b32_e32 v8, 1, v7, vcc_lo
	v_mul_lo_u16 v7, v7, v7
	s_cmp_gt_i32 s13, 1
	s_delay_alu instid0(VALU_DEP_2)
	v_mul_lo_u16 v5, v8, v5
	s_cbranch_scc1 .LBB62_82
.LBB62_83:                              ;   in Loop: Header=BB62_79 Depth=1
	s_cbranch_execz .LBB62_100
.LBB62_84:                              ;   in Loop: Header=BB62_79 Depth=1
	s_wait_loadcnt 0x0
	v_lshrrev_b32_e32 v8, 8, v6
	s_and_not1_b32 vcc_lo, exec_lo, s1
	s_mov_b32 s0, -1
                                        ; implicit-def: $vgpr7
	s_wait_alu 0xfffe
	s_cbranch_vccnz .LBB62_107
.LBB62_85:                              ;   in Loop: Header=BB62_79 Depth=1
	v_mov_b32_e32 v7, 1
	s_and_not1_b32 vcc_lo, exec_lo, s5
	s_wait_alu 0xfffe
	s_cbranch_vccnz .LBB62_88
; %bb.86:                               ;   in Loop: Header=BB62_79 Depth=1
	v_mov_b32_e32 v9, v8
	s_mov_b32 s0, s7
.LBB62_87:                              ;   Parent Loop BB62_79 Depth=1
                                        ; =>  This Inner Loop Header: Depth=2
	s_wait_alu 0xfffe
	s_bfe_i32 s13, s0, 0x80000
	s_bitcmp1_b32 s0, 0
	s_wait_alu 0xfffe
	s_sext_i32_i16 s13, s13
	s_cselect_b32 vcc_lo, -1, 0
	s_bfe_u32 s0, s0, 0x70001
	s_wait_alu 0xfffe
	v_cndmask_b32_e32 v10, 1, v9, vcc_lo
	v_mul_lo_u16 v9, v9, v9
	s_cmp_lt_i32 s13, 2
	s_delay_alu instid0(VALU_DEP_2)
	v_mul_lo_u16 v7, v10, v7
	s_cbranch_scc0 .LBB62_87
.LBB62_88:                              ;   in Loop: Header=BB62_79 Depth=1
	s_cbranch_execz .LBB62_108
.LBB62_89:                              ;   in Loop: Header=BB62_79 Depth=1
	v_lshrrev_b32_e32 v9, 16, v6
	s_and_not1_b32 vcc_lo, exec_lo, s1
	s_mov_b32 s0, -1
                                        ; implicit-def: $vgpr8
	s_wait_alu 0xfffe
	s_cbranch_vccnz .LBB62_115
.LBB62_90:                              ;   in Loop: Header=BB62_79 Depth=1
	v_mov_b32_e32 v8, 1
	s_and_not1_b32 vcc_lo, exec_lo, s5
	s_wait_alu 0xfffe
	s_cbranch_vccnz .LBB62_93
; %bb.91:                               ;   in Loop: Header=BB62_79 Depth=1
	v_mov_b32_e32 v10, v9
	s_mov_b32 s0, s7
.LBB62_92:                              ;   Parent Loop BB62_79 Depth=1
                                        ; =>  This Inner Loop Header: Depth=2
	s_wait_alu 0xfffe
	s_bfe_i32 s13, s0, 0x80000
	s_bitcmp1_b32 s0, 0
	s_wait_alu 0xfffe
	s_sext_i32_i16 s13, s13
	s_cselect_b32 vcc_lo, -1, 0
	s_bfe_u32 s0, s0, 0x70001
	s_wait_alu 0xfffe
	v_cndmask_b32_e32 v11, 1, v10, vcc_lo
	v_mul_lo_u16 v10, v10, v10
	s_cmp_lt_i32 s13, 2
	s_delay_alu instid0(VALU_DEP_2)
	v_mul_lo_u16 v8, v11, v8
	s_cbranch_scc0 .LBB62_92
.LBB62_93:                              ;   in Loop: Header=BB62_79 Depth=1
	s_cbranch_execz .LBB62_116
.LBB62_94:                              ;   in Loop: Header=BB62_79 Depth=1
	v_lshrrev_b32_e32 v9, 24, v6
	s_and_not1_b32 vcc_lo, exec_lo, s1
	s_mov_b32 s0, -1
                                        ; implicit-def: $vgpr6
	s_wait_alu 0xfffe
	s_cbranch_vccnz .LBB62_123
.LBB62_95:                              ;   in Loop: Header=BB62_79 Depth=1
	v_mov_b32_e32 v6, 1
	s_and_not1_b32 vcc_lo, exec_lo, s5
	s_wait_alu 0xfffe
	s_cbranch_vccnz .LBB62_98
; %bb.96:                               ;   in Loop: Header=BB62_79 Depth=1
	v_mov_b32_e32 v10, v9
	s_mov_b32 s0, s7
.LBB62_97:                              ;   Parent Loop BB62_79 Depth=1
                                        ; =>  This Inner Loop Header: Depth=2
	s_wait_alu 0xfffe
	s_bfe_i32 s13, s0, 0x80000
	s_bitcmp1_b32 s0, 0
	s_wait_alu 0xfffe
	s_sext_i32_i16 s13, s13
	s_cselect_b32 vcc_lo, -1, 0
	s_bfe_u32 s0, s0, 0x70001
	s_wait_alu 0xfffe
	v_cndmask_b32_e32 v11, 1, v10, vcc_lo
	v_mul_lo_u16 v10, v10, v10
	s_cmp_lt_i32 s13, 2
	s_delay_alu instid0(VALU_DEP_2)
	v_mul_lo_u16 v6, v11, v6
	s_cbranch_scc0 .LBB62_97
.LBB62_98:                              ;   in Loop: Header=BB62_79 Depth=1
	s_cbranch_execnz .LBB62_78
	s_branch .LBB62_124
.LBB62_99:                              ;   in Loop: Header=BB62_79 Depth=1
	s_and_not1_b32 vcc_lo, exec_lo, s13
	s_wait_alu 0xfffe
	s_cbranch_vccnz .LBB62_84
.LBB62_100:                             ;   in Loop: Header=BB62_79 Depth=1
	s_wait_loadcnt 0x0
	v_and_b32_e32 v7, 0xff, v6
	s_mov_b32 s0, exec_lo
	s_delay_alu instid0(VALU_DEP_1)
	v_cmpx_lt_i16_e32 0xfe, v7
	s_wait_alu 0xfffe
	s_xor_b32 s0, exec_lo, s0
; %bb.101:                              ;   in Loop: Header=BB62_79 Depth=1
                                        ; implicit-def: $vgpr7
; %bb.102:                              ;   in Loop: Header=BB62_79 Depth=1
	s_wait_alu 0xfffe
	s_or_saveexec_b32 s0, s0
	v_mov_b32_e32 v5, s6
	s_wait_alu 0xfffe
	s_xor_b32 exec_lo, exec_lo, s0
	s_cbranch_execz .LBB62_106
; %bb.103:                              ;   in Loop: Header=BB62_79 Depth=1
	v_mov_b32_e32 v5, 1
	s_mov_b32 s13, exec_lo
	v_cmpx_ne_u16_e32 1, v7
; %bb.104:                              ;   in Loop: Header=BB62_79 Depth=1
	v_mov_b32_e32 v5, 0
; %bb.105:                              ;   in Loop: Header=BB62_79 Depth=1
	s_wait_alu 0xfffe
	s_or_b32 exec_lo, exec_lo, s13
.LBB62_106:                             ;   in Loop: Header=BB62_79 Depth=1
	s_delay_alu instid0(SALU_CYCLE_1)
	s_or_b32 exec_lo, exec_lo, s0
	v_lshrrev_b32_e32 v8, 8, v6
	s_and_not1_b32 vcc_lo, exec_lo, s1
	s_mov_b32 s0, -1
                                        ; implicit-def: $vgpr7
	s_wait_alu 0xfffe
	s_cbranch_vccz .LBB62_85
.LBB62_107:                             ;   in Loop: Header=BB62_79 Depth=1
	s_and_not1_b32 vcc_lo, exec_lo, s0
	s_wait_alu 0xfffe
	s_cbranch_vccnz .LBB62_89
.LBB62_108:                             ;   in Loop: Header=BB62_79 Depth=1
	v_and_b32_e32 v8, 0xff, v8
	s_mov_b32 s0, exec_lo
	s_delay_alu instid0(VALU_DEP_1)
	v_cmpx_lt_i16_e32 0xfe, v8
	s_wait_alu 0xfffe
	s_xor_b32 s0, exec_lo, s0
; %bb.109:                              ;   in Loop: Header=BB62_79 Depth=1
                                        ; implicit-def: $vgpr8
; %bb.110:                              ;   in Loop: Header=BB62_79 Depth=1
	s_wait_alu 0xfffe
	s_or_saveexec_b32 s0, s0
	v_mov_b32_e32 v7, s6
	s_wait_alu 0xfffe
	s_xor_b32 exec_lo, exec_lo, s0
	s_cbranch_execz .LBB62_114
; %bb.111:                              ;   in Loop: Header=BB62_79 Depth=1
	v_mov_b32_e32 v7, 1
	s_mov_b32 s13, exec_lo
	v_cmpx_ne_u16_e32 1, v8
; %bb.112:                              ;   in Loop: Header=BB62_79 Depth=1
	v_mov_b32_e32 v7, 0
; %bb.113:                              ;   in Loop: Header=BB62_79 Depth=1
	s_wait_alu 0xfffe
	s_or_b32 exec_lo, exec_lo, s13
.LBB62_114:                             ;   in Loop: Header=BB62_79 Depth=1
	s_delay_alu instid0(SALU_CYCLE_1)
	s_or_b32 exec_lo, exec_lo, s0
	v_lshrrev_b32_e32 v9, 16, v6
	s_and_not1_b32 vcc_lo, exec_lo, s1
	s_mov_b32 s0, -1
                                        ; implicit-def: $vgpr8
	s_wait_alu 0xfffe
	s_cbranch_vccz .LBB62_90
.LBB62_115:                             ;   in Loop: Header=BB62_79 Depth=1
	s_and_not1_b32 vcc_lo, exec_lo, s0
	s_wait_alu 0xfffe
	s_cbranch_vccnz .LBB62_94
.LBB62_116:                             ;   in Loop: Header=BB62_79 Depth=1
	v_and_b32_e32 v9, 0xff, v9
	s_mov_b32 s0, exec_lo
	s_delay_alu instid0(VALU_DEP_1)
	v_cmpx_lt_i16_e32 0xfe, v9
	s_wait_alu 0xfffe
	s_xor_b32 s0, exec_lo, s0
; %bb.117:                              ;   in Loop: Header=BB62_79 Depth=1
                                        ; implicit-def: $vgpr9
; %bb.118:                              ;   in Loop: Header=BB62_79 Depth=1
	s_wait_alu 0xfffe
	s_or_saveexec_b32 s0, s0
	v_mov_b32_e32 v8, s6
	s_wait_alu 0xfffe
	s_xor_b32 exec_lo, exec_lo, s0
	s_cbranch_execz .LBB62_122
; %bb.119:                              ;   in Loop: Header=BB62_79 Depth=1
	v_mov_b32_e32 v8, 1
	s_mov_b32 s13, exec_lo
	v_cmpx_ne_u16_e32 1, v9
; %bb.120:                              ;   in Loop: Header=BB62_79 Depth=1
	v_mov_b32_e32 v8, 0
; %bb.121:                              ;   in Loop: Header=BB62_79 Depth=1
	s_wait_alu 0xfffe
	s_or_b32 exec_lo, exec_lo, s13
.LBB62_122:                             ;   in Loop: Header=BB62_79 Depth=1
	s_delay_alu instid0(SALU_CYCLE_1)
	s_or_b32 exec_lo, exec_lo, s0
	v_lshrrev_b32_e32 v9, 24, v6
	s_and_not1_b32 vcc_lo, exec_lo, s1
	s_mov_b32 s0, -1
                                        ; implicit-def: $vgpr6
	s_wait_alu 0xfffe
	s_cbranch_vccz .LBB62_95
.LBB62_123:                             ;   in Loop: Header=BB62_79 Depth=1
	s_and_not1_b32 vcc_lo, exec_lo, s0
	s_wait_alu 0xfffe
	s_cbranch_vccnz .LBB62_78
.LBB62_124:                             ;   in Loop: Header=BB62_79 Depth=1
	s_mov_b32 s0, exec_lo
	v_cmpx_lt_i16_e32 0xfe, v9
	s_wait_alu 0xfffe
	s_xor_b32 s0, exec_lo, s0
; %bb.125:                              ;   in Loop: Header=BB62_79 Depth=1
                                        ; implicit-def: $vgpr9
; %bb.126:                              ;   in Loop: Header=BB62_79 Depth=1
	s_wait_alu 0xfffe
	s_or_saveexec_b32 s0, s0
	v_mov_b32_e32 v6, s6
	s_wait_alu 0xfffe
	s_xor_b32 exec_lo, exec_lo, s0
	s_cbranch_execz .LBB62_77
; %bb.127:                              ;   in Loop: Header=BB62_79 Depth=1
	v_mov_b32_e32 v6, 1
	s_mov_b32 s13, exec_lo
	v_cmpx_ne_u16_e32 1, v9
	s_cbranch_execz .LBB62_76
; %bb.128:                              ;   in Loop: Header=BB62_79 Depth=1
	v_mov_b32_e32 v6, 0
	s_branch .LBB62_76
.LBB62_129:
	s_endpgm
	.section	.rodata,"a",@progbits
	.p2align	6, 0x0
	.amdhsa_kernel _ZN2at6native12_GLOBAL__N_125multi_tensor_apply_kernelINS1_18TensorListMetadataILi2EEENS1_21BinaryOpScalarFunctorIaLi2ELi1ELi1EEEJNS1_13power_functorIaEEaEEEvT_T0_DpT1_
		.amdhsa_group_segment_fixed_size 0
		.amdhsa_private_segment_fixed_size 0
		.amdhsa_kernarg_size 3408
		.amdhsa_user_sgpr_count 2
		.amdhsa_user_sgpr_dispatch_ptr 0
		.amdhsa_user_sgpr_queue_ptr 0
		.amdhsa_user_sgpr_kernarg_segment_ptr 1
		.amdhsa_user_sgpr_dispatch_id 0
		.amdhsa_user_sgpr_private_segment_size 0
		.amdhsa_wavefront_size32 1
		.amdhsa_uses_dynamic_stack 0
		.amdhsa_enable_private_segment 0
		.amdhsa_system_sgpr_workgroup_id_x 1
		.amdhsa_system_sgpr_workgroup_id_y 0
		.amdhsa_system_sgpr_workgroup_id_z 0
		.amdhsa_system_sgpr_workgroup_info 0
		.amdhsa_system_vgpr_workitem_id 0
		.amdhsa_next_free_vgpr 17
		.amdhsa_next_free_sgpr 30
		.amdhsa_reserve_vcc 1
		.amdhsa_float_round_mode_32 0
		.amdhsa_float_round_mode_16_64 0
		.amdhsa_float_denorm_mode_32 3
		.amdhsa_float_denorm_mode_16_64 3
		.amdhsa_fp16_overflow 0
		.amdhsa_workgroup_processor_mode 1
		.amdhsa_memory_ordered 1
		.amdhsa_forward_progress 1
		.amdhsa_inst_pref_size 25
		.amdhsa_round_robin_scheduling 0
		.amdhsa_exception_fp_ieee_invalid_op 0
		.amdhsa_exception_fp_denorm_src 0
		.amdhsa_exception_fp_ieee_div_zero 0
		.amdhsa_exception_fp_ieee_overflow 0
		.amdhsa_exception_fp_ieee_underflow 0
		.amdhsa_exception_fp_ieee_inexact 0
		.amdhsa_exception_int_div_zero 0
	.end_amdhsa_kernel
	.section	.text._ZN2at6native12_GLOBAL__N_125multi_tensor_apply_kernelINS1_18TensorListMetadataILi2EEENS1_21BinaryOpScalarFunctorIaLi2ELi1ELi1EEEJNS1_13power_functorIaEEaEEEvT_T0_DpT1_,"axG",@progbits,_ZN2at6native12_GLOBAL__N_125multi_tensor_apply_kernelINS1_18TensorListMetadataILi2EEENS1_21BinaryOpScalarFunctorIaLi2ELi1ELi1EEEJNS1_13power_functorIaEEaEEEvT_T0_DpT1_,comdat
.Lfunc_end62:
	.size	_ZN2at6native12_GLOBAL__N_125multi_tensor_apply_kernelINS1_18TensorListMetadataILi2EEENS1_21BinaryOpScalarFunctorIaLi2ELi1ELi1EEEJNS1_13power_functorIaEEaEEEvT_T0_DpT1_, .Lfunc_end62-_ZN2at6native12_GLOBAL__N_125multi_tensor_apply_kernelINS1_18TensorListMetadataILi2EEENS1_21BinaryOpScalarFunctorIaLi2ELi1ELi1EEEJNS1_13power_functorIaEEaEEEvT_T0_DpT1_
                                        ; -- End function
	.set _ZN2at6native12_GLOBAL__N_125multi_tensor_apply_kernelINS1_18TensorListMetadataILi2EEENS1_21BinaryOpScalarFunctorIaLi2ELi1ELi1EEEJNS1_13power_functorIaEEaEEEvT_T0_DpT1_.num_vgpr, 17
	.set _ZN2at6native12_GLOBAL__N_125multi_tensor_apply_kernelINS1_18TensorListMetadataILi2EEENS1_21BinaryOpScalarFunctorIaLi2ELi1ELi1EEEJNS1_13power_functorIaEEaEEEvT_T0_DpT1_.num_agpr, 0
	.set _ZN2at6native12_GLOBAL__N_125multi_tensor_apply_kernelINS1_18TensorListMetadataILi2EEENS1_21BinaryOpScalarFunctorIaLi2ELi1ELi1EEEJNS1_13power_functorIaEEaEEEvT_T0_DpT1_.numbered_sgpr, 30
	.set _ZN2at6native12_GLOBAL__N_125multi_tensor_apply_kernelINS1_18TensorListMetadataILi2EEENS1_21BinaryOpScalarFunctorIaLi2ELi1ELi1EEEJNS1_13power_functorIaEEaEEEvT_T0_DpT1_.num_named_barrier, 0
	.set _ZN2at6native12_GLOBAL__N_125multi_tensor_apply_kernelINS1_18TensorListMetadataILi2EEENS1_21BinaryOpScalarFunctorIaLi2ELi1ELi1EEEJNS1_13power_functorIaEEaEEEvT_T0_DpT1_.private_seg_size, 0
	.set _ZN2at6native12_GLOBAL__N_125multi_tensor_apply_kernelINS1_18TensorListMetadataILi2EEENS1_21BinaryOpScalarFunctorIaLi2ELi1ELi1EEEJNS1_13power_functorIaEEaEEEvT_T0_DpT1_.uses_vcc, 1
	.set _ZN2at6native12_GLOBAL__N_125multi_tensor_apply_kernelINS1_18TensorListMetadataILi2EEENS1_21BinaryOpScalarFunctorIaLi2ELi1ELi1EEEJNS1_13power_functorIaEEaEEEvT_T0_DpT1_.uses_flat_scratch, 0
	.set _ZN2at6native12_GLOBAL__N_125multi_tensor_apply_kernelINS1_18TensorListMetadataILi2EEENS1_21BinaryOpScalarFunctorIaLi2ELi1ELi1EEEJNS1_13power_functorIaEEaEEEvT_T0_DpT1_.has_dyn_sized_stack, 0
	.set _ZN2at6native12_GLOBAL__N_125multi_tensor_apply_kernelINS1_18TensorListMetadataILi2EEENS1_21BinaryOpScalarFunctorIaLi2ELi1ELi1EEEJNS1_13power_functorIaEEaEEEvT_T0_DpT1_.has_recursion, 0
	.set _ZN2at6native12_GLOBAL__N_125multi_tensor_apply_kernelINS1_18TensorListMetadataILi2EEENS1_21BinaryOpScalarFunctorIaLi2ELi1ELi1EEEJNS1_13power_functorIaEEaEEEvT_T0_DpT1_.has_indirect_call, 0
	.section	.AMDGPU.csdata,"",@progbits
; Kernel info:
; codeLenInByte = 3156
; TotalNumSgprs: 32
; NumVgprs: 17
; ScratchSize: 0
; MemoryBound: 0
; FloatMode: 240
; IeeeMode: 1
; LDSByteSize: 0 bytes/workgroup (compile time only)
; SGPRBlocks: 0
; VGPRBlocks: 2
; NumSGPRsForWavesPerEU: 32
; NumVGPRsForWavesPerEU: 17
; Occupancy: 16
; WaveLimiterHint : 0
; COMPUTE_PGM_RSRC2:SCRATCH_EN: 0
; COMPUTE_PGM_RSRC2:USER_SGPR: 2
; COMPUTE_PGM_RSRC2:TRAP_HANDLER: 0
; COMPUTE_PGM_RSRC2:TGID_X_EN: 1
; COMPUTE_PGM_RSRC2:TGID_Y_EN: 0
; COMPUTE_PGM_RSRC2:TGID_Z_EN: 0
; COMPUTE_PGM_RSRC2:TIDIG_COMP_CNT: 0
	.section	.text._ZN2at6native12_GLOBAL__N_125multi_tensor_apply_kernelINS1_18TensorListMetadataILi2EEENS1_21BinaryOpScalarFunctorIiLi2ELi1ELi1EEEJNS1_13power_functorIiEEiEEEvT_T0_DpT1_,"axG",@progbits,_ZN2at6native12_GLOBAL__N_125multi_tensor_apply_kernelINS1_18TensorListMetadataILi2EEENS1_21BinaryOpScalarFunctorIiLi2ELi1ELi1EEEJNS1_13power_functorIiEEiEEEvT_T0_DpT1_,comdat
	.globl	_ZN2at6native12_GLOBAL__N_125multi_tensor_apply_kernelINS1_18TensorListMetadataILi2EEENS1_21BinaryOpScalarFunctorIiLi2ELi1ELi1EEEJNS1_13power_functorIiEEiEEEvT_T0_DpT1_ ; -- Begin function _ZN2at6native12_GLOBAL__N_125multi_tensor_apply_kernelINS1_18TensorListMetadataILi2EEENS1_21BinaryOpScalarFunctorIiLi2ELi1ELi1EEEJNS1_13power_functorIiEEiEEEvT_T0_DpT1_
	.p2align	8
	.type	_ZN2at6native12_GLOBAL__N_125multi_tensor_apply_kernelINS1_18TensorListMetadataILi2EEENS1_21BinaryOpScalarFunctorIiLi2ELi1ELi1EEEJNS1_13power_functorIiEEiEEEvT_T0_DpT1_,@function
_ZN2at6native12_GLOBAL__N_125multi_tensor_apply_kernelINS1_18TensorListMetadataILi2EEENS1_21BinaryOpScalarFunctorIiLi2ELi1ELi1EEEJNS1_13power_functorIiEEiEEEvT_T0_DpT1_: ; @_ZN2at6native12_GLOBAL__N_125multi_tensor_apply_kernelINS1_18TensorListMetadataILi2EEENS1_21BinaryOpScalarFunctorIiLi2ELi1ELi1EEEJNS1_13power_functorIiEEiEEEvT_T0_DpT1_
; %bb.0:
	s_load_u8 s8, s[0:1], ttmp9 offset:0x600
	s_mov_b32 s2, ttmp9
	s_mov_b32 s3, 0
	s_delay_alu instid0(SALU_CYCLE_1)
	s_mul_u64 s[4:5], s[2:3], 3
	s_add_nc_u64 s[6:7], s[0:1], s[2:3]
	s_mov_b32 s17, s3
	s_add_nc_u64 s[4:5], s[6:7], s[4:5]
	s_load_b32 s4, s[4:5], 0x740
	s_wait_kmcnt 0x0
	s_lshl_b32 s2, s8, 3
	s_clause 0x3
	s_load_b64 s[8:9], s[0:1], s2 offset:0x0
	s_load_b64 s[10:11], s[0:1], s2 offset:0x200
	;; [unrolled: 1-line block ×3, first 2 shown]
	s_load_b32 s7, s[0:1], 0xc4c
	s_ashr_i32 s5, s4, 31
	s_delay_alu instid0(SALU_CYCLE_1)
	s_lshl_b64 s[14:15], s[4:5], 18
	s_lshl_b64 s[4:5], s[4:5], 16
	s_wait_kmcnt 0x0
	s_add_nc_u64 s[8:9], s[8:9], s[14:15]
	s_add_nc_u64 s[10:11], s[10:11], s[14:15]
	s_and_b32 s14, s12, 3
	s_and_b32 s16, s10, 15
	s_mov_b32 s15, s3
	s_and_b32 s2, s8, 15
	s_or_b64 s[14:15], s[16:17], s[14:15]
	s_sub_nc_u64 s[12:13], s[12:13], s[4:5]
	s_or_b64 s[2:3], s[14:15], s[2:3]
	s_delay_alu instid0(SALU_CYCLE_1)
	s_cmp_eq_u64 s[2:3], 0
	s_mov_b32 s2, -1
	s_cbranch_scc1 .LBB63_81
; %bb.1:
	v_cmp_lt_i64_e64 s2, s[12:13], 1
	s_and_b32 vcc_lo, exec_lo, s2
	s_cbranch_vccnz .LBB63_80
; %bb.2:
	s_load_b32 s2, s[0:1], 0xc5c
	v_cmp_gt_i64_e64 s3, 0x10000, s[12:13]
	v_cmp_gt_u64_e64 s4, 0x10000, s[12:13]
	s_mov_b32 s15, 0
	s_mov_b64 s[20:21], 0
	s_and_b32 s3, s3, exec_lo
	s_cselect_b32 s17, s13, 0
	s_cselect_b32 s16, s12, 0x10000
	s_wait_kmcnt 0x0
	s_and_b32 s22, s2, 0xffff
	s_and_b32 s2, s4, exec_lo
	s_cselect_b32 s19, s13, 0
	s_cselect_b32 s18, s12, 0x10000
	s_lshl_b32 s23, s22, 1
	s_cmp_gt_i32 s7, -1
	s_mul_i32 s24, s22, 3
	s_cselect_b32 s25, -1, 0
	s_cmp_lg_u32 s7, 0
	s_cselect_b32 s26, -1, 0
	s_bitcmp0_b32 s7, 0
	v_cndmask_b32_e64 v9, 0, 1, s26
	s_cselect_b32 s27, 1, -1
	s_lshl_b32 s14, s22, 2
	s_branch .LBB63_4
.LBB63_3:                               ;   in Loop: Header=BB63_4 Depth=1
	s_wait_alu 0xfffe
	s_or_b32 exec_lo, exec_lo, s2
	s_add_nc_u64 s[20:21], s[20:21], s[14:15]
	s_wait_alu 0xfffe
	v_cmp_ge_i64_e64 s2, s[20:21], s[16:17]
	s_and_b32 vcc_lo, exec_lo, s2
	s_wait_alu 0xfffe
	s_cbranch_vccnz .LBB63_80
.LBB63_4:                               ; =>This Loop Header: Depth=1
                                        ;     Child Loop BB63_26 Depth 2
                                        ;     Child Loop BB63_36 Depth 2
	;; [unrolled: 1-line block ×4, first 2 shown]
	v_add_co_u32 v7, s2, s20, v0
	s_wait_alu 0xf1ff
	v_add_co_ci_u32_e64 v8, null, s21, 0, s2
	s_wait_loadcnt 0x0
	v_mov_b32_e32 v13, 0
	s_delay_alu instid0(VALU_DEP_2)
	v_cmp_gt_u64_e64 s2, s[18:19], v[7:8]
	v_lshlrev_b64_e32 v[1:2], 2, v[7:8]
	s_and_saveexec_b32 s3, s2
	s_cbranch_execz .LBB63_6
; %bb.5:                                ;   in Loop: Header=BB63_4 Depth=1
	s_delay_alu instid0(VALU_DEP_1) | instskip(SKIP_1) | instid1(VALU_DEP_2)
	v_add_co_u32 v3, vcc_lo, s8, v1
	s_wait_alu 0xfffd
	v_add_co_ci_u32_e64 v4, null, s9, v2, vcc_lo
	global_load_b32 v13, v[3:4], off
.LBB63_6:                               ;   in Loop: Header=BB63_4 Depth=1
	s_wait_alu 0xfffe
	s_or_b32 exec_lo, exec_lo, s3
	v_add_co_u32 v3, vcc_lo, v7, s22
	s_wait_alu 0xfffd
	v_add_co_ci_u32_e64 v4, null, 0, v8, vcc_lo
	v_mov_b32_e32 v12, 0
	v_mov_b32_e32 v14, 0
	s_delay_alu instid0(VALU_DEP_3)
	v_cmp_gt_u64_e64 s3, s[18:19], v[3:4]
	v_lshlrev_b64_e32 v[3:4], 2, v[3:4]
	s_and_saveexec_b32 s4, s3
	s_cbranch_execz .LBB63_8
; %bb.7:                                ;   in Loop: Header=BB63_4 Depth=1
	s_delay_alu instid0(VALU_DEP_1) | instskip(SKIP_1) | instid1(VALU_DEP_2)
	v_add_co_u32 v5, vcc_lo, s8, v3
	s_wait_alu 0xfffd
	v_add_co_ci_u32_e64 v6, null, s9, v4, vcc_lo
	global_load_b32 v14, v[5:6], off
.LBB63_8:                               ;   in Loop: Header=BB63_4 Depth=1
	s_or_b32 exec_lo, exec_lo, s4
	v_add_co_u32 v5, vcc_lo, v7, s23
	s_wait_alu 0xfffd
	v_add_co_ci_u32_e64 v6, null, 0, v8, vcc_lo
	s_delay_alu instid0(VALU_DEP_1)
	v_cmp_gt_u64_e64 s4, s[18:19], v[5:6]
	v_lshlrev_b64_e32 v[5:6], 2, v[5:6]
	s_and_saveexec_b32 s5, s4
	s_cbranch_execz .LBB63_10
; %bb.9:                                ;   in Loop: Header=BB63_4 Depth=1
	s_delay_alu instid0(VALU_DEP_1) | instskip(SKIP_1) | instid1(VALU_DEP_2)
	v_add_co_u32 v10, vcc_lo, s8, v5
	s_wait_alu 0xfffd
	v_add_co_ci_u32_e64 v11, null, s9, v6, vcc_lo
	global_load_b32 v12, v[10:11], off
.LBB63_10:                              ;   in Loop: Header=BB63_4 Depth=1
	s_or_b32 exec_lo, exec_lo, s5
	v_add_co_u32 v7, vcc_lo, v7, s24
	s_wait_alu 0xfffd
	v_add_co_ci_u32_e64 v8, null, 0, v8, vcc_lo
	v_mov_b32_e32 v10, 0
	s_delay_alu instid0(VALU_DEP_2)
	v_cmp_gt_u64_e64 s5, s[18:19], v[7:8]
	v_lshlrev_b64_e32 v[7:8], 2, v[7:8]
	s_and_saveexec_b32 s6, s5
	s_cbranch_execz .LBB63_12
; %bb.11:                               ;   in Loop: Header=BB63_4 Depth=1
	s_delay_alu instid0(VALU_DEP_1) | instskip(SKIP_1) | instid1(VALU_DEP_2)
	v_add_co_u32 v10, vcc_lo, s8, v7
	s_wait_alu 0xfffd
	v_add_co_ci_u32_e64 v11, null, s9, v8, vcc_lo
	global_load_b32 v10, v[10:11], off
.LBB63_12:                              ;   in Loop: Header=BB63_4 Depth=1
	s_or_b32 exec_lo, exec_lo, s6
	v_cmp_ne_u32_e64 s6, 1, v9
	s_and_b32 vcc_lo, exec_lo, s25
	s_mov_b32 s28, -1
                                        ; implicit-def: $vgpr11
	s_wait_alu 0xfffe
	s_cbranch_vccnz .LBB63_24
; %bb.13:                               ;   in Loop: Header=BB63_4 Depth=1
	s_and_not1_b32 vcc_lo, exec_lo, s28
	s_wait_alu 0xfffe
	s_cbranch_vccz .LBB63_28
.LBB63_14:                              ;   in Loop: Header=BB63_4 Depth=1
	s_and_not1_b32 vcc_lo, exec_lo, s25
	s_mov_b32 s6, -1
                                        ; implicit-def: $vgpr13
	s_wait_alu 0xfffe
	s_cbranch_vccz .LBB63_34
.LBB63_15:                              ;   in Loop: Header=BB63_4 Depth=1
	s_and_not1_b32 vcc_lo, exec_lo, s6
	s_wait_alu 0xfffe
	s_cbranch_vccz .LBB63_38
.LBB63_16:                              ;   in Loop: Header=BB63_4 Depth=1
	s_and_not1_b32 vcc_lo, exec_lo, s25
	s_mov_b32 s6, -1
                                        ; implicit-def: $vgpr14
	s_wait_alu 0xfffe
	s_cbranch_vccz .LBB63_44
.LBB63_17:                              ;   in Loop: Header=BB63_4 Depth=1
	s_and_not1_b32 vcc_lo, exec_lo, s6
	s_wait_alu 0xfffe
	s_cbranch_vccz .LBB63_48
.LBB63_18:                              ;   in Loop: Header=BB63_4 Depth=1
	s_and_not1_b32 vcc_lo, exec_lo, s25
	s_mov_b32 s6, -1
                                        ; implicit-def: $vgpr12
	s_wait_alu 0xfffe
	s_cbranch_vccz .LBB63_54
.LBB63_19:                              ;   in Loop: Header=BB63_4 Depth=1
	s_and_not1_b32 vcc_lo, exec_lo, s6
	s_wait_alu 0xfffe
	s_cbranch_vccz .LBB63_58
.LBB63_20:                              ;   in Loop: Header=BB63_4 Depth=1
	s_and_saveexec_b32 s6, s2
	s_delay_alu instid0(SALU_CYCLE_1)
	s_xor_b32 s2, exec_lo, s6
	s_cbranch_execnz .LBB63_64
.LBB63_21:                              ;   in Loop: Header=BB63_4 Depth=1
	s_wait_alu 0xfffe
	s_or_b32 exec_lo, exec_lo, s2
	s_and_saveexec_b32 s2, s3
	s_cbranch_execnz .LBB63_65
.LBB63_22:                              ;   in Loop: Header=BB63_4 Depth=1
	s_wait_alu 0xfffe
	s_or_b32 exec_lo, exec_lo, s2
	s_and_saveexec_b32 s2, s4
	s_cbranch_execnz .LBB63_66
.LBB63_23:                              ;   in Loop: Header=BB63_4 Depth=1
	s_wait_alu 0xfffe
	s_or_b32 exec_lo, exec_lo, s2
	s_and_saveexec_b32 s2, s5
	s_cbranch_execz .LBB63_3
	s_branch .LBB63_67
.LBB63_24:                              ;   in Loop: Header=BB63_4 Depth=1
	v_mov_b32_e32 v11, 1
	s_and_b32 vcc_lo, exec_lo, s6
	s_wait_alu 0xfffe
	s_cbranch_vccnz .LBB63_27
; %bb.25:                               ;   in Loop: Header=BB63_4 Depth=1
	s_wait_loadcnt 0x0
	v_mov_b32_e32 v15, v13
	s_mov_b32 s6, s7
.LBB63_26:                              ;   Parent Loop BB63_4 Depth=1
                                        ; =>  This Inner Loop Header: Depth=2
	s_delay_alu instid0(SALU_CYCLE_1)
	s_bitcmp1_b32 s6, 0
	s_cselect_b32 vcc_lo, -1, 0
	s_lshr_b32 s28, s6, 1
	s_wait_alu 0xfffe
	v_cndmask_b32_e32 v16, 1, v15, vcc_lo
	v_mul_lo_u32 v15, v15, v15
	s_cmp_gt_u32 s6, 1
	s_mov_b32 s6, s28
	s_delay_alu instid0(VALU_DEP_2)
	v_mul_lo_u32 v11, v16, v11
	s_cbranch_scc1 .LBB63_26
.LBB63_27:                              ;   in Loop: Header=BB63_4 Depth=1
	s_cbranch_execnz .LBB63_14
.LBB63_28:                              ;   in Loop: Header=BB63_4 Depth=1
	s_mov_b32 s6, 0
	s_mov_b32 s28, 0
	s_mov_b32 s29, exec_lo
	s_wait_loadcnt 0x0
	v_cmpx_lt_i32_e32 0, v13
	s_xor_b32 s29, exec_lo, s29
	s_cbranch_execnz .LBB63_68
; %bb.29:                               ;   in Loop: Header=BB63_4 Depth=1
	s_and_not1_saveexec_b32 s29, s29
	s_cbranch_execnz .LBB63_69
.LBB63_30:                              ;   in Loop: Header=BB63_4 Depth=1
	s_or_b32 exec_lo, exec_lo, s29
	s_and_saveexec_b32 s29, s28
	s_delay_alu instid0(SALU_CYCLE_1)
	s_xor_b32 s28, exec_lo, s29
	s_cbranch_execnz .LBB63_70
.LBB63_31:                              ;   in Loop: Header=BB63_4 Depth=1
	s_or_b32 exec_lo, exec_lo, s28
	s_and_saveexec_b32 s28, s6
.LBB63_32:                              ;   in Loop: Header=BB63_4 Depth=1
	v_mov_b32_e32 v13, s27
.LBB63_33:                              ;   in Loop: Header=BB63_4 Depth=1
	s_or_b32 exec_lo, exec_lo, s28
	s_delay_alu instid0(VALU_DEP_1)
	v_mov_b32_e32 v11, v13
	s_and_not1_b32 vcc_lo, exec_lo, s25
	s_mov_b32 s6, -1
                                        ; implicit-def: $vgpr13
	s_wait_alu 0xfffe
	s_cbranch_vccnz .LBB63_15
.LBB63_34:                              ;   in Loop: Header=BB63_4 Depth=1
	s_wait_loadcnt 0x0
	v_mov_b32_e32 v13, 1
	s_and_not1_b32 vcc_lo, exec_lo, s26
	s_wait_alu 0xfffe
	s_cbranch_vccnz .LBB63_37
; %bb.35:                               ;   in Loop: Header=BB63_4 Depth=1
	v_mov_b32_e32 v15, v14
	s_mov_b32 s6, s7
.LBB63_36:                              ;   Parent Loop BB63_4 Depth=1
                                        ; =>  This Inner Loop Header: Depth=2
	s_delay_alu instid0(SALU_CYCLE_1)
	s_bitcmp1_b32 s6, 0
	s_cselect_b32 vcc_lo, -1, 0
	s_lshr_b32 s28, s6, 1
	s_wait_alu 0xfffe
	v_cndmask_b32_e32 v16, 1, v15, vcc_lo
	v_mul_lo_u32 v15, v15, v15
	s_cmp_lt_u32 s6, 2
	s_mov_b32 s6, s28
	s_delay_alu instid0(VALU_DEP_2)
	v_mul_lo_u32 v13, v16, v13
	s_cbranch_scc0 .LBB63_36
.LBB63_37:                              ;   in Loop: Header=BB63_4 Depth=1
	s_cbranch_execnz .LBB63_16
.LBB63_38:                              ;   in Loop: Header=BB63_4 Depth=1
	s_mov_b32 s6, 0
	s_mov_b32 s28, 0
	s_mov_b32 s29, exec_lo
	s_wait_loadcnt 0x0
	v_cmpx_lt_i32_e32 0, v14
	s_xor_b32 s29, exec_lo, s29
	s_cbranch_execnz .LBB63_71
; %bb.39:                               ;   in Loop: Header=BB63_4 Depth=1
	s_and_not1_saveexec_b32 s29, s29
	s_cbranch_execnz .LBB63_72
.LBB63_40:                              ;   in Loop: Header=BB63_4 Depth=1
	s_or_b32 exec_lo, exec_lo, s29
	s_and_saveexec_b32 s29, s28
	s_delay_alu instid0(SALU_CYCLE_1)
	s_xor_b32 s28, exec_lo, s29
	s_cbranch_execnz .LBB63_73
.LBB63_41:                              ;   in Loop: Header=BB63_4 Depth=1
	s_or_b32 exec_lo, exec_lo, s28
	s_and_saveexec_b32 s28, s6
.LBB63_42:                              ;   in Loop: Header=BB63_4 Depth=1
	v_mov_b32_e32 v14, s27
.LBB63_43:                              ;   in Loop: Header=BB63_4 Depth=1
	s_or_b32 exec_lo, exec_lo, s28
	s_delay_alu instid0(VALU_DEP_1)
	v_mov_b32_e32 v13, v14
	s_and_not1_b32 vcc_lo, exec_lo, s25
	s_mov_b32 s6, -1
                                        ; implicit-def: $vgpr14
	s_wait_alu 0xfffe
	s_cbranch_vccnz .LBB63_17
.LBB63_44:                              ;   in Loop: Header=BB63_4 Depth=1
	s_wait_loadcnt 0x0
	v_mov_b32_e32 v14, 1
	s_and_not1_b32 vcc_lo, exec_lo, s26
	s_wait_alu 0xfffe
	s_cbranch_vccnz .LBB63_47
; %bb.45:                               ;   in Loop: Header=BB63_4 Depth=1
	v_mov_b32_e32 v15, v12
	s_mov_b32 s6, s7
.LBB63_46:                              ;   Parent Loop BB63_4 Depth=1
                                        ; =>  This Inner Loop Header: Depth=2
	s_delay_alu instid0(SALU_CYCLE_1)
	s_bitcmp1_b32 s6, 0
	s_cselect_b32 vcc_lo, -1, 0
	s_lshr_b32 s28, s6, 1
	s_wait_alu 0xfffe
	v_cndmask_b32_e32 v16, 1, v15, vcc_lo
	v_mul_lo_u32 v15, v15, v15
	s_cmp_lt_u32 s6, 2
	s_mov_b32 s6, s28
	s_delay_alu instid0(VALU_DEP_2)
	v_mul_lo_u32 v14, v16, v14
	s_cbranch_scc0 .LBB63_46
.LBB63_47:                              ;   in Loop: Header=BB63_4 Depth=1
	s_cbranch_execnz .LBB63_18
.LBB63_48:                              ;   in Loop: Header=BB63_4 Depth=1
	s_mov_b32 s6, 0
	s_mov_b32 s28, 0
	s_mov_b32 s29, exec_lo
	s_wait_loadcnt 0x0
	v_cmpx_lt_i32_e32 0, v12
	s_xor_b32 s29, exec_lo, s29
	s_cbranch_execnz .LBB63_74
; %bb.49:                               ;   in Loop: Header=BB63_4 Depth=1
	s_and_not1_saveexec_b32 s29, s29
	s_cbranch_execnz .LBB63_75
.LBB63_50:                              ;   in Loop: Header=BB63_4 Depth=1
	s_or_b32 exec_lo, exec_lo, s29
	s_and_saveexec_b32 s29, s28
	s_delay_alu instid0(SALU_CYCLE_1)
	s_xor_b32 s28, exec_lo, s29
	s_cbranch_execnz .LBB63_76
.LBB63_51:                              ;   in Loop: Header=BB63_4 Depth=1
	s_or_b32 exec_lo, exec_lo, s28
	s_and_saveexec_b32 s28, s6
.LBB63_52:                              ;   in Loop: Header=BB63_4 Depth=1
	v_mov_b32_e32 v12, s27
.LBB63_53:                              ;   in Loop: Header=BB63_4 Depth=1
	s_or_b32 exec_lo, exec_lo, s28
	s_delay_alu instid0(VALU_DEP_1)
	v_mov_b32_e32 v14, v12
	s_and_not1_b32 vcc_lo, exec_lo, s25
	s_mov_b32 s6, -1
                                        ; implicit-def: $vgpr12
	s_wait_alu 0xfffe
	s_cbranch_vccnz .LBB63_19
.LBB63_54:                              ;   in Loop: Header=BB63_4 Depth=1
	s_wait_loadcnt 0x0
	v_mov_b32_e32 v12, 1
	s_and_not1_b32 vcc_lo, exec_lo, s26
	s_wait_alu 0xfffe
	s_cbranch_vccnz .LBB63_57
; %bb.55:                               ;   in Loop: Header=BB63_4 Depth=1
	v_mov_b32_e32 v15, v10
	s_mov_b32 s6, s7
.LBB63_56:                              ;   Parent Loop BB63_4 Depth=1
                                        ; =>  This Inner Loop Header: Depth=2
	s_delay_alu instid0(SALU_CYCLE_1)
	s_bitcmp1_b32 s6, 0
	s_cselect_b32 vcc_lo, -1, 0
	s_lshr_b32 s28, s6, 1
	s_wait_alu 0xfffe
	v_cndmask_b32_e32 v16, 1, v15, vcc_lo
	v_mul_lo_u32 v15, v15, v15
	s_cmp_lt_u32 s6, 2
	s_mov_b32 s6, s28
	s_delay_alu instid0(VALU_DEP_2)
	v_mul_lo_u32 v12, v16, v12
	s_cbranch_scc0 .LBB63_56
.LBB63_57:                              ;   in Loop: Header=BB63_4 Depth=1
	s_cbranch_execnz .LBB63_20
.LBB63_58:                              ;   in Loop: Header=BB63_4 Depth=1
	s_mov_b32 s6, 0
	s_mov_b32 s28, 0
	s_mov_b32 s29, exec_lo
	s_wait_loadcnt 0x0
	v_cmpx_lt_i32_e32 0, v10
	s_xor_b32 s29, exec_lo, s29
	s_cbranch_execnz .LBB63_77
; %bb.59:                               ;   in Loop: Header=BB63_4 Depth=1
	s_and_not1_saveexec_b32 s29, s29
	s_cbranch_execnz .LBB63_78
.LBB63_60:                              ;   in Loop: Header=BB63_4 Depth=1
	s_or_b32 exec_lo, exec_lo, s29
	s_and_saveexec_b32 s29, s28
	s_delay_alu instid0(SALU_CYCLE_1)
	s_xor_b32 s28, exec_lo, s29
	s_cbranch_execnz .LBB63_79
.LBB63_61:                              ;   in Loop: Header=BB63_4 Depth=1
	s_or_b32 exec_lo, exec_lo, s28
	s_and_saveexec_b32 s28, s6
.LBB63_62:                              ;   in Loop: Header=BB63_4 Depth=1
	v_mov_b32_e32 v10, s27
.LBB63_63:                              ;   in Loop: Header=BB63_4 Depth=1
	s_or_b32 exec_lo, exec_lo, s28
	s_delay_alu instid0(VALU_DEP_1) | instskip(SKIP_1) | instid1(SALU_CYCLE_1)
	v_mov_b32_e32 v12, v10
	s_and_saveexec_b32 s6, s2
	s_xor_b32 s2, exec_lo, s6
	s_cbranch_execz .LBB63_21
.LBB63_64:                              ;   in Loop: Header=BB63_4 Depth=1
	v_add_co_u32 v1, vcc_lo, s10, v1
	s_wait_alu 0xfffd
	v_add_co_ci_u32_e64 v2, null, s11, v2, vcc_lo
	global_store_b32 v[1:2], v11, off
	s_wait_alu 0xfffe
	s_or_b32 exec_lo, exec_lo, s2
	s_and_saveexec_b32 s2, s3
	s_cbranch_execz .LBB63_22
.LBB63_65:                              ;   in Loop: Header=BB63_4 Depth=1
	v_add_co_u32 v1, vcc_lo, s10, v3
	s_wait_alu 0xfffd
	v_add_co_ci_u32_e64 v2, null, s11, v4, vcc_lo
	s_wait_loadcnt 0x0
	global_store_b32 v[1:2], v13, off
	s_wait_alu 0xfffe
	s_or_b32 exec_lo, exec_lo, s2
	s_and_saveexec_b32 s2, s4
	s_cbranch_execz .LBB63_23
.LBB63_66:                              ;   in Loop: Header=BB63_4 Depth=1
	v_add_co_u32 v1, vcc_lo, s10, v5
	s_wait_alu 0xfffd
	v_add_co_ci_u32_e64 v2, null, s11, v6, vcc_lo
	s_wait_loadcnt 0x0
	global_store_b32 v[1:2], v14, off
	s_wait_alu 0xfffe
	s_or_b32 exec_lo, exec_lo, s2
	s_and_saveexec_b32 s2, s5
	s_cbranch_execz .LBB63_3
.LBB63_67:                              ;   in Loop: Header=BB63_4 Depth=1
	v_add_co_u32 v1, vcc_lo, s10, v7
	s_wait_alu 0xfffd
	v_add_co_ci_u32_e64 v2, null, s11, v8, vcc_lo
	s_wait_loadcnt 0x0
	global_store_b32 v[1:2], v12, off
	s_branch .LBB63_3
.LBB63_68:                              ;   in Loop: Header=BB63_4 Depth=1
	v_cmp_ne_u32_e32 vcc_lo, 1, v13
	s_and_b32 s28, vcc_lo, exec_lo
	s_and_not1_saveexec_b32 s29, s29
	s_cbranch_execz .LBB63_30
.LBB63_69:                              ;   in Loop: Header=BB63_4 Depth=1
	v_cmp_ne_u32_e32 vcc_lo, -1, v13
	s_and_not1_b32 s28, s28, exec_lo
	s_mov_b32 s6, exec_lo
	s_and_b32 s30, vcc_lo, exec_lo
	s_delay_alu instid0(SALU_CYCLE_1) | instskip(SKIP_2) | instid1(SALU_CYCLE_1)
	s_or_b32 s28, s28, s30
	s_or_b32 exec_lo, exec_lo, s29
	s_and_saveexec_b32 s29, s28
	s_xor_b32 s28, exec_lo, s29
	s_cbranch_execz .LBB63_31
.LBB63_70:                              ;   in Loop: Header=BB63_4 Depth=1
	v_mov_b32_e32 v13, 0
	s_and_not1_b32 s6, s6, exec_lo
	s_or_b32 exec_lo, exec_lo, s28
	s_and_saveexec_b32 s28, s6
	s_cbranch_execnz .LBB63_32
	s_branch .LBB63_33
.LBB63_71:                              ;   in Loop: Header=BB63_4 Depth=1
	v_cmp_ne_u32_e32 vcc_lo, 1, v14
	s_and_b32 s28, vcc_lo, exec_lo
	s_and_not1_saveexec_b32 s29, s29
	s_cbranch_execz .LBB63_40
.LBB63_72:                              ;   in Loop: Header=BB63_4 Depth=1
	v_cmp_ne_u32_e32 vcc_lo, -1, v14
	s_and_not1_b32 s28, s28, exec_lo
	s_mov_b32 s6, exec_lo
	s_and_b32 s30, vcc_lo, exec_lo
	s_delay_alu instid0(SALU_CYCLE_1) | instskip(SKIP_2) | instid1(SALU_CYCLE_1)
	s_or_b32 s28, s28, s30
	s_or_b32 exec_lo, exec_lo, s29
	s_and_saveexec_b32 s29, s28
	s_xor_b32 s28, exec_lo, s29
	s_cbranch_execz .LBB63_41
.LBB63_73:                              ;   in Loop: Header=BB63_4 Depth=1
	v_mov_b32_e32 v14, 0
	s_and_not1_b32 s6, s6, exec_lo
	s_or_b32 exec_lo, exec_lo, s28
	s_and_saveexec_b32 s28, s6
	s_cbranch_execnz .LBB63_42
	s_branch .LBB63_43
.LBB63_74:                              ;   in Loop: Header=BB63_4 Depth=1
	v_cmp_ne_u32_e32 vcc_lo, 1, v12
	s_and_b32 s28, vcc_lo, exec_lo
	s_and_not1_saveexec_b32 s29, s29
	s_cbranch_execz .LBB63_50
.LBB63_75:                              ;   in Loop: Header=BB63_4 Depth=1
	v_cmp_ne_u32_e32 vcc_lo, -1, v12
	s_and_not1_b32 s28, s28, exec_lo
	s_mov_b32 s6, exec_lo
	s_and_b32 s30, vcc_lo, exec_lo
	s_delay_alu instid0(SALU_CYCLE_1) | instskip(SKIP_2) | instid1(SALU_CYCLE_1)
	s_or_b32 s28, s28, s30
	s_or_b32 exec_lo, exec_lo, s29
	s_and_saveexec_b32 s29, s28
	s_xor_b32 s28, exec_lo, s29
	s_cbranch_execz .LBB63_51
.LBB63_76:                              ;   in Loop: Header=BB63_4 Depth=1
	v_mov_b32_e32 v12, 0
	s_and_not1_b32 s6, s6, exec_lo
	s_or_b32 exec_lo, exec_lo, s28
	s_and_saveexec_b32 s28, s6
	s_cbranch_execnz .LBB63_52
	s_branch .LBB63_53
.LBB63_77:                              ;   in Loop: Header=BB63_4 Depth=1
	v_cmp_ne_u32_e32 vcc_lo, 1, v10
	s_and_b32 s28, vcc_lo, exec_lo
	s_and_not1_saveexec_b32 s29, s29
	s_cbranch_execz .LBB63_60
.LBB63_78:                              ;   in Loop: Header=BB63_4 Depth=1
	v_cmp_ne_u32_e32 vcc_lo, -1, v10
	s_and_not1_b32 s28, s28, exec_lo
	s_mov_b32 s6, exec_lo
	s_and_b32 s30, vcc_lo, exec_lo
	s_delay_alu instid0(SALU_CYCLE_1) | instskip(SKIP_2) | instid1(SALU_CYCLE_1)
	s_or_b32 s28, s28, s30
	s_or_b32 exec_lo, exec_lo, s29
	s_and_saveexec_b32 s29, s28
	s_xor_b32 s28, exec_lo, s29
	s_cbranch_execz .LBB63_61
.LBB63_79:                              ;   in Loop: Header=BB63_4 Depth=1
	v_mov_b32_e32 v10, 0
	s_and_not1_b32 s6, s6, exec_lo
	s_or_b32 exec_lo, exec_lo, s28
	s_and_saveexec_b32 s28, s6
	s_cbranch_execnz .LBB63_62
	s_branch .LBB63_63
.LBB63_80:
	s_mov_b32 s2, 0
.LBB63_81:
	s_wait_alu 0xfffe
	s_and_not1_b32 vcc_lo, exec_lo, s2
	s_wait_alu 0xfffe
	s_cbranch_vccnz .LBB63_145
; %bb.82:
	v_cmp_gt_i64_e64 s2, 0x10000, s[12:13]
	v_dual_mov_b32 v2, 0 :: v_dual_lshlrev_b32 v1, 2, v0
	s_mov_b32 s4, 0
	s_mov_b32 s5, exec_lo
	s_and_b32 s2, s2, exec_lo
	s_cselect_b32 s3, s13, 0
	s_cselect_b32 s2, s12, 0x10000
	s_wait_alu 0xfffe
	v_cmpx_gt_i64_e64 s[2:3], v[1:2]
	s_cbranch_execz .LBB63_145
; %bb.83:
	s_load_b32 s0, s[0:1], 0xc5c
	s_cmp_gt_i32 s7, -1
	v_mov_b32_e32 v1, v2
	s_cselect_b32 s1, -1, 0
	s_cmp_lg_u32 s7, 0
	s_cselect_b32 s5, -1, 0
	s_bitcmp0_b32 s7, 0
	s_wait_loadcnt 0x0
	v_cndmask_b32_e64 v12, 0, 1, s5
	s_cselect_b32 s6, 1, -1
	s_wait_kmcnt 0x0
	s_and_b32 s12, s0, 0xffff
	s_branch .LBB63_86
.LBB63_84:                              ;   in Loop: Header=BB63_86 Depth=1
	s_wait_alu 0xfffe
	s_or_b32 exec_lo, exec_lo, s13
	s_delay_alu instid0(VALU_DEP_1)
	v_mov_b32_e32 v9, v5
.LBB63_85:                              ;   in Loop: Header=BB63_86 Depth=1
	v_add_co_u32 v0, vcc_lo, v0, s12
	s_wait_alu 0xfffd
	v_add_co_ci_u32_e64 v1, null, 0, v1, vcc_lo
	s_wait_loadcnt 0x0
	s_delay_alu instid0(VALU_DEP_1) | instskip(NEXT) | instid1(VALU_DEP_1)
	v_lshlrev_b64_e32 v[2:3], 2, v[0:1]
	v_cmp_le_i64_e32 vcc_lo, s[2:3], v[2:3]
	v_add_co_u32 v2, s0, s10, v10
	s_wait_alu 0xf1fe
	v_add_co_ci_u32_e64 v3, null, s11, v11, s0
	s_or_b32 s4, vcc_lo, s4
	global_store_b128 v[2:3], v[6:9], off
	s_wait_alu 0xfffe
	s_and_not1_b32 exec_lo, exec_lo, s4
	s_cbranch_execz .LBB63_145
.LBB63_86:                              ; =>This Loop Header: Depth=1
                                        ;     Child Loop BB63_96 Depth 2
                                        ;     Child Loop BB63_109 Depth 2
	;; [unrolled: 1-line block ×4, first 2 shown]
	v_lshlrev_b64_e32 v[10:11], 4, v[0:1]
	v_cmp_ne_u32_e64 s0, 1, v12
	s_mov_b32 s13, -1
                                        ; implicit-def: $vgpr6
	v_add_co_u32 v2, vcc_lo, s8, v10
	s_wait_alu 0xfffd
	v_add_co_ci_u32_e64 v3, null, s9, v11, vcc_lo
	s_and_b32 vcc_lo, exec_lo, s1
	global_load_b128 v[2:5], v[2:3], off
	s_wait_alu 0xfffe
	s_cbranch_vccnz .LBB63_94
; %bb.87:                               ;   in Loop: Header=BB63_86 Depth=1
	s_and_not1_b32 vcc_lo, exec_lo, s13
	s_wait_alu 0xfffe
	s_cbranch_vccz .LBB63_98
.LBB63_88:                              ;   in Loop: Header=BB63_86 Depth=1
	s_and_not1_b32 vcc_lo, exec_lo, s1
	s_mov_b32 s0, -1
	s_wait_alu 0xfffe
	s_cbranch_vccz .LBB63_107
.LBB63_89:                              ;   in Loop: Header=BB63_86 Depth=1
	s_and_not1_b32 vcc_lo, exec_lo, s0
	s_wait_alu 0xfffe
	s_cbranch_vccz .LBB63_111
.LBB63_90:                              ;   in Loop: Header=BB63_86 Depth=1
	s_and_not1_b32 vcc_lo, exec_lo, s1
	s_mov_b32 s0, -1
	s_wait_alu 0xfffe
	s_cbranch_vccz .LBB63_117
.LBB63_91:                              ;   in Loop: Header=BB63_86 Depth=1
	s_and_not1_b32 vcc_lo, exec_lo, s0
	s_wait_alu 0xfffe
	s_cbranch_vccz .LBB63_121
.LBB63_92:                              ;   in Loop: Header=BB63_86 Depth=1
	s_and_not1_b32 vcc_lo, exec_lo, s1
	s_mov_b32 s0, -1
	s_wait_alu 0xfffe
	s_cbranch_vccz .LBB63_127
.LBB63_93:                              ;   in Loop: Header=BB63_86 Depth=1
	s_and_not1_b32 vcc_lo, exec_lo, s0
	s_wait_alu 0xfffe
	s_cbranch_vccnz .LBB63_85
	s_branch .LBB63_131
.LBB63_94:                              ;   in Loop: Header=BB63_86 Depth=1
	v_mov_b32_e32 v6, 1
	s_and_b32 vcc_lo, exec_lo, s0
	s_wait_alu 0xfffe
	s_cbranch_vccnz .LBB63_97
; %bb.95:                               ;   in Loop: Header=BB63_86 Depth=1
	s_wait_loadcnt 0x0
	v_mov_b32_e32 v7, v2
	s_mov_b32 s0, s7
.LBB63_96:                              ;   Parent Loop BB63_86 Depth=1
                                        ; =>  This Inner Loop Header: Depth=2
	s_wait_alu 0xfffe
	s_bitcmp1_b32 s0, 0
	s_cselect_b32 vcc_lo, -1, 0
	s_lshr_b32 s13, s0, 1
	s_wait_alu 0xfffe
	v_cndmask_b32_e32 v8, 1, v7, vcc_lo
	v_mul_lo_u32 v7, v7, v7
	s_cmp_gt_u32 s0, 1
	s_mov_b32 s0, s13
	s_delay_alu instid0(VALU_DEP_2)
	v_mul_lo_u32 v6, v8, v6
	s_cbranch_scc1 .LBB63_96
.LBB63_97:                              ;   in Loop: Header=BB63_86 Depth=1
	s_cbranch_execnz .LBB63_88
.LBB63_98:                              ;   in Loop: Header=BB63_86 Depth=1
	s_mov_b32 s0, 0
	s_mov_b32 s13, 0
	s_mov_b32 s14, exec_lo
	s_wait_loadcnt 0x0
	v_cmpx_lt_i32_e32 0, v2
	s_xor_b32 s14, exec_lo, s14
; %bb.99:                               ;   in Loop: Header=BB63_86 Depth=1
	v_cmp_ne_u32_e32 vcc_lo, 1, v2
	s_and_b32 s13, vcc_lo, exec_lo
; %bb.100:                              ;   in Loop: Header=BB63_86 Depth=1
	s_and_not1_saveexec_b32 s14, s14
; %bb.101:                              ;   in Loop: Header=BB63_86 Depth=1
	v_cmp_ne_u32_e32 vcc_lo, -1, v2
	s_wait_alu 0xfffe
	s_and_not1_b32 s13, s13, exec_lo
	s_mov_b32 s0, exec_lo
	s_and_b32 s15, vcc_lo, exec_lo
	s_wait_alu 0xfffe
	s_or_b32 s13, s13, s15
; %bb.102:                              ;   in Loop: Header=BB63_86 Depth=1
	s_or_b32 exec_lo, exec_lo, s14
	v_mov_b32_e32 v6, v2
	s_wait_alu 0xfffe
	s_and_saveexec_b32 s14, s13
	s_delay_alu instid0(SALU_CYCLE_1)
	s_xor_b32 s13, exec_lo, s14
; %bb.103:                              ;   in Loop: Header=BB63_86 Depth=1
	v_mov_b32_e32 v6, 0
	s_and_not1_b32 s0, s0, exec_lo
; %bb.104:                              ;   in Loop: Header=BB63_86 Depth=1
	s_wait_alu 0xfffe
	s_or_b32 exec_lo, exec_lo, s13
	s_and_saveexec_b32 s13, s0
; %bb.105:                              ;   in Loop: Header=BB63_86 Depth=1
	v_mov_b32_e32 v6, s6
; %bb.106:                              ;   in Loop: Header=BB63_86 Depth=1
	s_wait_alu 0xfffe
	s_or_b32 exec_lo, exec_lo, s13
	s_delay_alu instid0(SALU_CYCLE_1)
	s_and_not1_b32 vcc_lo, exec_lo, s1
	s_mov_b32 s0, -1
	s_wait_alu 0xfffe
	s_cbranch_vccnz .LBB63_89
.LBB63_107:                             ;   in Loop: Header=BB63_86 Depth=1
	v_mov_b32_e32 v7, 1
	s_and_not1_b32 vcc_lo, exec_lo, s5
	s_wait_alu 0xfffe
	s_cbranch_vccnz .LBB63_110
; %bb.108:                              ;   in Loop: Header=BB63_86 Depth=1
	s_wait_loadcnt 0x0
	v_mov_b32_e32 v2, v3
	s_mov_b32 s0, s7
.LBB63_109:                             ;   Parent Loop BB63_86 Depth=1
                                        ; =>  This Inner Loop Header: Depth=2
	s_wait_alu 0xfffe
	s_bitcmp1_b32 s0, 0
	s_cselect_b32 vcc_lo, -1, 0
	s_lshr_b32 s13, s0, 1
	s_wait_alu 0xfffe
	v_cndmask_b32_e32 v8, 1, v2, vcc_lo
	v_mul_lo_u32 v2, v2, v2
	s_cmp_lt_u32 s0, 2
	s_mov_b32 s0, s13
	s_delay_alu instid0(VALU_DEP_2)
	v_mul_lo_u32 v7, v8, v7
	s_cbranch_scc0 .LBB63_109
.LBB63_110:                             ;   in Loop: Header=BB63_86 Depth=1
	s_cbranch_execnz .LBB63_90
.LBB63_111:                             ;   in Loop: Header=BB63_86 Depth=1
	s_mov_b32 s0, 0
	s_mov_b32 s13, 0
	s_mov_b32 s14, exec_lo
	s_wait_loadcnt 0x0
	v_cmpx_lt_i32_e32 0, v3
	s_xor_b32 s14, exec_lo, s14
	s_cbranch_execnz .LBB63_135
; %bb.112:                              ;   in Loop: Header=BB63_86 Depth=1
	s_and_not1_saveexec_b32 s14, s14
	s_cbranch_execnz .LBB63_136
.LBB63_113:                             ;   in Loop: Header=BB63_86 Depth=1
	s_or_b32 exec_lo, exec_lo, s14
	s_wait_alu 0xfffe
	s_and_saveexec_b32 s14, s13
	s_delay_alu instid0(SALU_CYCLE_1)
	s_xor_b32 s13, exec_lo, s14
	s_cbranch_execnz .LBB63_137
.LBB63_114:                             ;   in Loop: Header=BB63_86 Depth=1
	s_wait_alu 0xfffe
	s_or_b32 exec_lo, exec_lo, s13
	s_and_saveexec_b32 s13, s0
.LBB63_115:                             ;   in Loop: Header=BB63_86 Depth=1
	v_mov_b32_e32 v3, s6
.LBB63_116:                             ;   in Loop: Header=BB63_86 Depth=1
	s_wait_alu 0xfffe
	s_or_b32 exec_lo, exec_lo, s13
	s_delay_alu instid0(VALU_DEP_1)
	v_mov_b32_e32 v7, v3
	s_and_not1_b32 vcc_lo, exec_lo, s1
	s_mov_b32 s0, -1
	s_wait_alu 0xfffe
	s_cbranch_vccnz .LBB63_91
.LBB63_117:                             ;   in Loop: Header=BB63_86 Depth=1
	v_mov_b32_e32 v8, 1
	s_and_not1_b32 vcc_lo, exec_lo, s5
	s_wait_alu 0xfffe
	s_cbranch_vccnz .LBB63_120
; %bb.118:                              ;   in Loop: Header=BB63_86 Depth=1
	s_wait_loadcnt 0x0
	v_mov_b32_e32 v2, v4
	s_mov_b32 s0, s7
.LBB63_119:                             ;   Parent Loop BB63_86 Depth=1
                                        ; =>  This Inner Loop Header: Depth=2
	s_wait_alu 0xfffe
	s_bitcmp1_b32 s0, 0
	s_cselect_b32 vcc_lo, -1, 0
	s_lshr_b32 s13, s0, 1
	s_wait_alu 0xfffe
	v_cndmask_b32_e32 v3, 1, v2, vcc_lo
	v_mul_lo_u32 v2, v2, v2
	s_cmp_lt_u32 s0, 2
	s_mov_b32 s0, s13
	s_delay_alu instid0(VALU_DEP_2)
	v_mul_lo_u32 v8, v3, v8
	s_cbranch_scc0 .LBB63_119
.LBB63_120:                             ;   in Loop: Header=BB63_86 Depth=1
	s_cbranch_execnz .LBB63_92
.LBB63_121:                             ;   in Loop: Header=BB63_86 Depth=1
	s_mov_b32 s0, 0
	s_mov_b32 s13, 0
	s_mov_b32 s14, exec_lo
	s_wait_loadcnt 0x0
	v_cmpx_lt_i32_e32 0, v4
	s_xor_b32 s14, exec_lo, s14
	s_cbranch_execnz .LBB63_138
; %bb.122:                              ;   in Loop: Header=BB63_86 Depth=1
	s_and_not1_saveexec_b32 s14, s14
	s_cbranch_execnz .LBB63_139
.LBB63_123:                             ;   in Loop: Header=BB63_86 Depth=1
	s_or_b32 exec_lo, exec_lo, s14
	s_wait_alu 0xfffe
	s_and_saveexec_b32 s14, s13
	s_delay_alu instid0(SALU_CYCLE_1)
	s_xor_b32 s13, exec_lo, s14
	s_cbranch_execnz .LBB63_140
.LBB63_124:                             ;   in Loop: Header=BB63_86 Depth=1
	s_wait_alu 0xfffe
	s_or_b32 exec_lo, exec_lo, s13
	s_and_saveexec_b32 s13, s0
.LBB63_125:                             ;   in Loop: Header=BB63_86 Depth=1
	v_mov_b32_e32 v4, s6
.LBB63_126:                             ;   in Loop: Header=BB63_86 Depth=1
	s_wait_alu 0xfffe
	s_or_b32 exec_lo, exec_lo, s13
	s_delay_alu instid0(VALU_DEP_1)
	v_mov_b32_e32 v8, v4
	s_and_not1_b32 vcc_lo, exec_lo, s1
	s_mov_b32 s0, -1
	s_wait_alu 0xfffe
	s_cbranch_vccnz .LBB63_93
.LBB63_127:                             ;   in Loop: Header=BB63_86 Depth=1
	v_mov_b32_e32 v9, 1
	s_and_not1_b32 vcc_lo, exec_lo, s5
	s_wait_alu 0xfffe
	s_cbranch_vccnz .LBB63_130
; %bb.128:                              ;   in Loop: Header=BB63_86 Depth=1
	s_wait_loadcnt 0x0
	v_mov_b32_e32 v2, v5
	s_mov_b32 s0, s7
.LBB63_129:                             ;   Parent Loop BB63_86 Depth=1
                                        ; =>  This Inner Loop Header: Depth=2
	s_wait_alu 0xfffe
	s_bitcmp1_b32 s0, 0
	s_cselect_b32 vcc_lo, -1, 0
	s_lshr_b32 s13, s0, 1
	s_wait_alu 0xfffe
	v_cndmask_b32_e32 v3, 1, v2, vcc_lo
	v_mul_lo_u32 v2, v2, v2
	s_cmp_lt_u32 s0, 2
	s_mov_b32 s0, s13
	s_delay_alu instid0(VALU_DEP_2)
	v_mul_lo_u32 v9, v3, v9
	s_cbranch_scc0 .LBB63_129
.LBB63_130:                             ;   in Loop: Header=BB63_86 Depth=1
	s_cbranch_execnz .LBB63_85
.LBB63_131:                             ;   in Loop: Header=BB63_86 Depth=1
	s_mov_b32 s0, 0
	s_mov_b32 s13, 0
	s_mov_b32 s14, exec_lo
	s_wait_loadcnt 0x0
	v_cmpx_lt_i32_e32 0, v5
	s_xor_b32 s14, exec_lo, s14
	s_cbranch_execnz .LBB63_141
; %bb.132:                              ;   in Loop: Header=BB63_86 Depth=1
	s_and_not1_saveexec_b32 s14, s14
	s_cbranch_execnz .LBB63_142
.LBB63_133:                             ;   in Loop: Header=BB63_86 Depth=1
	s_or_b32 exec_lo, exec_lo, s14
	s_wait_alu 0xfffe
	s_and_saveexec_b32 s14, s13
	s_delay_alu instid0(SALU_CYCLE_1)
	s_xor_b32 s13, exec_lo, s14
	s_cbranch_execnz .LBB63_143
.LBB63_134:                             ;   in Loop: Header=BB63_86 Depth=1
	s_wait_alu 0xfffe
	s_or_b32 exec_lo, exec_lo, s13
	s_and_saveexec_b32 s13, s0
	s_cbranch_execz .LBB63_84
	s_branch .LBB63_144
.LBB63_135:                             ;   in Loop: Header=BB63_86 Depth=1
	v_cmp_ne_u32_e32 vcc_lo, 1, v3
	s_and_b32 s13, vcc_lo, exec_lo
	s_and_not1_saveexec_b32 s14, s14
	s_cbranch_execz .LBB63_113
.LBB63_136:                             ;   in Loop: Header=BB63_86 Depth=1
	v_cmp_ne_u32_e32 vcc_lo, -1, v3
	s_wait_alu 0xfffe
	s_and_not1_b32 s13, s13, exec_lo
	s_mov_b32 s0, exec_lo
	s_and_b32 s15, vcc_lo, exec_lo
	s_wait_alu 0xfffe
	s_or_b32 s13, s13, s15
	s_or_b32 exec_lo, exec_lo, s14
	s_wait_alu 0xfffe
	s_and_saveexec_b32 s14, s13
	s_delay_alu instid0(SALU_CYCLE_1)
	s_xor_b32 s13, exec_lo, s14
	s_cbranch_execz .LBB63_114
.LBB63_137:                             ;   in Loop: Header=BB63_86 Depth=1
	v_mov_b32_e32 v3, 0
	s_and_not1_b32 s0, s0, exec_lo
	s_wait_alu 0xfffe
	s_or_b32 exec_lo, exec_lo, s13
	s_and_saveexec_b32 s13, s0
	s_cbranch_execnz .LBB63_115
	s_branch .LBB63_116
.LBB63_138:                             ;   in Loop: Header=BB63_86 Depth=1
	v_cmp_ne_u32_e32 vcc_lo, 1, v4
	s_and_b32 s13, vcc_lo, exec_lo
	s_and_not1_saveexec_b32 s14, s14
	s_cbranch_execz .LBB63_123
.LBB63_139:                             ;   in Loop: Header=BB63_86 Depth=1
	v_cmp_ne_u32_e32 vcc_lo, -1, v4
	s_wait_alu 0xfffe
	s_and_not1_b32 s13, s13, exec_lo
	s_mov_b32 s0, exec_lo
	s_and_b32 s15, vcc_lo, exec_lo
	s_wait_alu 0xfffe
	s_or_b32 s13, s13, s15
	s_or_b32 exec_lo, exec_lo, s14
	s_wait_alu 0xfffe
	s_and_saveexec_b32 s14, s13
	s_delay_alu instid0(SALU_CYCLE_1)
	s_xor_b32 s13, exec_lo, s14
	s_cbranch_execz .LBB63_124
.LBB63_140:                             ;   in Loop: Header=BB63_86 Depth=1
	v_mov_b32_e32 v4, 0
	s_and_not1_b32 s0, s0, exec_lo
	s_wait_alu 0xfffe
	s_or_b32 exec_lo, exec_lo, s13
	s_and_saveexec_b32 s13, s0
	s_cbranch_execnz .LBB63_125
	s_branch .LBB63_126
.LBB63_141:                             ;   in Loop: Header=BB63_86 Depth=1
	v_cmp_ne_u32_e32 vcc_lo, 1, v5
	s_and_b32 s13, vcc_lo, exec_lo
	s_and_not1_saveexec_b32 s14, s14
	s_cbranch_execz .LBB63_133
.LBB63_142:                             ;   in Loop: Header=BB63_86 Depth=1
	v_cmp_ne_u32_e32 vcc_lo, -1, v5
	s_wait_alu 0xfffe
	s_and_not1_b32 s13, s13, exec_lo
	s_mov_b32 s0, exec_lo
	s_and_b32 s15, vcc_lo, exec_lo
	s_wait_alu 0xfffe
	s_or_b32 s13, s13, s15
	s_or_b32 exec_lo, exec_lo, s14
	s_wait_alu 0xfffe
	s_and_saveexec_b32 s14, s13
	s_delay_alu instid0(SALU_CYCLE_1)
	s_xor_b32 s13, exec_lo, s14
	s_cbranch_execz .LBB63_134
.LBB63_143:                             ;   in Loop: Header=BB63_86 Depth=1
	v_mov_b32_e32 v5, 0
	s_and_not1_b32 s0, s0, exec_lo
	s_wait_alu 0xfffe
	s_or_b32 exec_lo, exec_lo, s13
	s_and_saveexec_b32 s13, s0
	s_cbranch_execz .LBB63_84
.LBB63_144:                             ;   in Loop: Header=BB63_86 Depth=1
	v_mov_b32_e32 v5, s6
	s_branch .LBB63_84
.LBB63_145:
	s_endpgm
	.section	.rodata,"a",@progbits
	.p2align	6, 0x0
	.amdhsa_kernel _ZN2at6native12_GLOBAL__N_125multi_tensor_apply_kernelINS1_18TensorListMetadataILi2EEENS1_21BinaryOpScalarFunctorIiLi2ELi1ELi1EEEJNS1_13power_functorIiEEiEEEvT_T0_DpT1_
		.amdhsa_group_segment_fixed_size 0
		.amdhsa_private_segment_fixed_size 0
		.amdhsa_kernarg_size 3408
		.amdhsa_user_sgpr_count 2
		.amdhsa_user_sgpr_dispatch_ptr 0
		.amdhsa_user_sgpr_queue_ptr 0
		.amdhsa_user_sgpr_kernarg_segment_ptr 1
		.amdhsa_user_sgpr_dispatch_id 0
		.amdhsa_user_sgpr_private_segment_size 0
		.amdhsa_wavefront_size32 1
		.amdhsa_uses_dynamic_stack 0
		.amdhsa_enable_private_segment 0
		.amdhsa_system_sgpr_workgroup_id_x 1
		.amdhsa_system_sgpr_workgroup_id_y 0
		.amdhsa_system_sgpr_workgroup_id_z 0
		.amdhsa_system_sgpr_workgroup_info 0
		.amdhsa_system_vgpr_workitem_id 0
		.amdhsa_next_free_vgpr 17
		.amdhsa_next_free_sgpr 31
		.amdhsa_reserve_vcc 1
		.amdhsa_float_round_mode_32 0
		.amdhsa_float_round_mode_16_64 0
		.amdhsa_float_denorm_mode_32 3
		.amdhsa_float_denorm_mode_16_64 3
		.amdhsa_fp16_overflow 0
		.amdhsa_workgroup_processor_mode 1
		.amdhsa_memory_ordered 1
		.amdhsa_forward_progress 1
		.amdhsa_inst_pref_size 29
		.amdhsa_round_robin_scheduling 0
		.amdhsa_exception_fp_ieee_invalid_op 0
		.amdhsa_exception_fp_denorm_src 0
		.amdhsa_exception_fp_ieee_div_zero 0
		.amdhsa_exception_fp_ieee_overflow 0
		.amdhsa_exception_fp_ieee_underflow 0
		.amdhsa_exception_fp_ieee_inexact 0
		.amdhsa_exception_int_div_zero 0
	.end_amdhsa_kernel
	.section	.text._ZN2at6native12_GLOBAL__N_125multi_tensor_apply_kernelINS1_18TensorListMetadataILi2EEENS1_21BinaryOpScalarFunctorIiLi2ELi1ELi1EEEJNS1_13power_functorIiEEiEEEvT_T0_DpT1_,"axG",@progbits,_ZN2at6native12_GLOBAL__N_125multi_tensor_apply_kernelINS1_18TensorListMetadataILi2EEENS1_21BinaryOpScalarFunctorIiLi2ELi1ELi1EEEJNS1_13power_functorIiEEiEEEvT_T0_DpT1_,comdat
.Lfunc_end63:
	.size	_ZN2at6native12_GLOBAL__N_125multi_tensor_apply_kernelINS1_18TensorListMetadataILi2EEENS1_21BinaryOpScalarFunctorIiLi2ELi1ELi1EEEJNS1_13power_functorIiEEiEEEvT_T0_DpT1_, .Lfunc_end63-_ZN2at6native12_GLOBAL__N_125multi_tensor_apply_kernelINS1_18TensorListMetadataILi2EEENS1_21BinaryOpScalarFunctorIiLi2ELi1ELi1EEEJNS1_13power_functorIiEEiEEEvT_T0_DpT1_
                                        ; -- End function
	.set _ZN2at6native12_GLOBAL__N_125multi_tensor_apply_kernelINS1_18TensorListMetadataILi2EEENS1_21BinaryOpScalarFunctorIiLi2ELi1ELi1EEEJNS1_13power_functorIiEEiEEEvT_T0_DpT1_.num_vgpr, 17
	.set _ZN2at6native12_GLOBAL__N_125multi_tensor_apply_kernelINS1_18TensorListMetadataILi2EEENS1_21BinaryOpScalarFunctorIiLi2ELi1ELi1EEEJNS1_13power_functorIiEEiEEEvT_T0_DpT1_.num_agpr, 0
	.set _ZN2at6native12_GLOBAL__N_125multi_tensor_apply_kernelINS1_18TensorListMetadataILi2EEENS1_21BinaryOpScalarFunctorIiLi2ELi1ELi1EEEJNS1_13power_functorIiEEiEEEvT_T0_DpT1_.numbered_sgpr, 31
	.set _ZN2at6native12_GLOBAL__N_125multi_tensor_apply_kernelINS1_18TensorListMetadataILi2EEENS1_21BinaryOpScalarFunctorIiLi2ELi1ELi1EEEJNS1_13power_functorIiEEiEEEvT_T0_DpT1_.num_named_barrier, 0
	.set _ZN2at6native12_GLOBAL__N_125multi_tensor_apply_kernelINS1_18TensorListMetadataILi2EEENS1_21BinaryOpScalarFunctorIiLi2ELi1ELi1EEEJNS1_13power_functorIiEEiEEEvT_T0_DpT1_.private_seg_size, 0
	.set _ZN2at6native12_GLOBAL__N_125multi_tensor_apply_kernelINS1_18TensorListMetadataILi2EEENS1_21BinaryOpScalarFunctorIiLi2ELi1ELi1EEEJNS1_13power_functorIiEEiEEEvT_T0_DpT1_.uses_vcc, 1
	.set _ZN2at6native12_GLOBAL__N_125multi_tensor_apply_kernelINS1_18TensorListMetadataILi2EEENS1_21BinaryOpScalarFunctorIiLi2ELi1ELi1EEEJNS1_13power_functorIiEEiEEEvT_T0_DpT1_.uses_flat_scratch, 0
	.set _ZN2at6native12_GLOBAL__N_125multi_tensor_apply_kernelINS1_18TensorListMetadataILi2EEENS1_21BinaryOpScalarFunctorIiLi2ELi1ELi1EEEJNS1_13power_functorIiEEiEEEvT_T0_DpT1_.has_dyn_sized_stack, 0
	.set _ZN2at6native12_GLOBAL__N_125multi_tensor_apply_kernelINS1_18TensorListMetadataILi2EEENS1_21BinaryOpScalarFunctorIiLi2ELi1ELi1EEEJNS1_13power_functorIiEEiEEEvT_T0_DpT1_.has_recursion, 0
	.set _ZN2at6native12_GLOBAL__N_125multi_tensor_apply_kernelINS1_18TensorListMetadataILi2EEENS1_21BinaryOpScalarFunctorIiLi2ELi1ELi1EEEJNS1_13power_functorIiEEiEEEvT_T0_DpT1_.has_indirect_call, 0
	.section	.AMDGPU.csdata,"",@progbits
; Kernel info:
; codeLenInByte = 3624
; TotalNumSgprs: 33
; NumVgprs: 17
; ScratchSize: 0
; MemoryBound: 1
; FloatMode: 240
; IeeeMode: 1
; LDSByteSize: 0 bytes/workgroup (compile time only)
; SGPRBlocks: 0
; VGPRBlocks: 2
; NumSGPRsForWavesPerEU: 33
; NumVGPRsForWavesPerEU: 17
; Occupancy: 16
; WaveLimiterHint : 0
; COMPUTE_PGM_RSRC2:SCRATCH_EN: 0
; COMPUTE_PGM_RSRC2:USER_SGPR: 2
; COMPUTE_PGM_RSRC2:TRAP_HANDLER: 0
; COMPUTE_PGM_RSRC2:TGID_X_EN: 1
; COMPUTE_PGM_RSRC2:TGID_Y_EN: 0
; COMPUTE_PGM_RSRC2:TGID_Z_EN: 0
; COMPUTE_PGM_RSRC2:TIDIG_COMP_CNT: 0
	.section	.text._ZN2at6native12_GLOBAL__N_125multi_tensor_apply_kernelINS1_18TensorListMetadataILi2EEENS1_21BinaryOpScalarFunctorIlLi2ELi1ELi1EEEJNS1_13power_functorIlEElEEEvT_T0_DpT1_,"axG",@progbits,_ZN2at6native12_GLOBAL__N_125multi_tensor_apply_kernelINS1_18TensorListMetadataILi2EEENS1_21BinaryOpScalarFunctorIlLi2ELi1ELi1EEEJNS1_13power_functorIlEElEEEvT_T0_DpT1_,comdat
	.globl	_ZN2at6native12_GLOBAL__N_125multi_tensor_apply_kernelINS1_18TensorListMetadataILi2EEENS1_21BinaryOpScalarFunctorIlLi2ELi1ELi1EEEJNS1_13power_functorIlEElEEEvT_T0_DpT1_ ; -- Begin function _ZN2at6native12_GLOBAL__N_125multi_tensor_apply_kernelINS1_18TensorListMetadataILi2EEENS1_21BinaryOpScalarFunctorIlLi2ELi1ELi1EEEJNS1_13power_functorIlEElEEEvT_T0_DpT1_
	.p2align	8
	.type	_ZN2at6native12_GLOBAL__N_125multi_tensor_apply_kernelINS1_18TensorListMetadataILi2EEENS1_21BinaryOpScalarFunctorIlLi2ELi1ELi1EEEJNS1_13power_functorIlEElEEEvT_T0_DpT1_,@function
_ZN2at6native12_GLOBAL__N_125multi_tensor_apply_kernelINS1_18TensorListMetadataILi2EEENS1_21BinaryOpScalarFunctorIlLi2ELi1ELi1EEEJNS1_13power_functorIlEElEEEvT_T0_DpT1_: ; @_ZN2at6native12_GLOBAL__N_125multi_tensor_apply_kernelINS1_18TensorListMetadataILi2EEENS1_21BinaryOpScalarFunctorIlLi2ELi1ELi1EEEJNS1_13power_functorIlEElEEEvT_T0_DpT1_
; %bb.0:
	s_load_u8 s8, s[0:1], ttmp9 offset:0x600
	s_mov_b32 s2, ttmp9
	s_mov_b32 s3, 0
	s_delay_alu instid0(SALU_CYCLE_1)
	s_mul_u64 s[4:5], s[2:3], 3
	s_add_nc_u64 s[6:7], s[0:1], s[2:3]
	s_mov_b32 s19, s3
	s_add_nc_u64 s[4:5], s[6:7], s[4:5]
	s_load_b32 s4, s[4:5], 0x740
	s_wait_kmcnt 0x0
	s_lshl_b32 s2, s8, 3
	s_clause 0x3
	s_load_b64 s[6:7], s[0:1], s2 offset:0x0
	s_load_b64 s[12:13], s[0:1], s2 offset:0x200
	;; [unrolled: 1-line block ×3, first 2 shown]
	s_load_b64 s[8:9], s[0:1], 0xc50
	s_ashr_i32 s5, s4, 31
	s_delay_alu instid0(SALU_CYCLE_1)
	s_lshl_b64 s[16:17], s[4:5], 19
	s_lshl_b64 s[4:5], s[4:5], 16
	s_wait_kmcnt 0x0
	s_add_nc_u64 s[10:11], s[6:7], s[16:17]
	s_add_nc_u64 s[12:13], s[12:13], s[16:17]
	s_and_b32 s6, s14, 3
	s_and_b32 s18, s12, 31
	s_mov_b32 s7, s3
	s_and_b32 s2, s10, 31
	s_or_b64 s[6:7], s[18:19], s[6:7]
	s_sub_nc_u64 s[14:15], s[14:15], s[4:5]
	s_or_b64 s[2:3], s[6:7], s[2:3]
	s_delay_alu instid0(SALU_CYCLE_1)
	s_cmp_eq_u64 s[2:3], 0
	s_mov_b32 s2, -1
	s_cbranch_scc1 .LBB64_81
; %bb.1:
	v_cmp_lt_i64_e64 s2, s[14:15], 1
	s_and_b32 vcc_lo, exec_lo, s2
	s_cbranch_vccnz .LBB64_80
; %bb.2:
	s_load_b32 s2, s[0:1], 0xc64
	v_cmp_gt_i64_e64 s3, 0x10000, s[14:15]
	v_cmp_gt_u64_e64 s4, 0x10000, s[14:15]
	s_mov_b32 s17, 0
	v_cmp_gt_i64_e64 s28, s[8:9], -1
	s_mov_b64 s[18:19], 0
	s_and_b32 s3, s3, exec_lo
	s_cselect_b32 s21, s15, 0
	s_cselect_b32 s20, s14, 0x10000
	s_wait_kmcnt 0x0
	s_and_b32 s26, s2, 0xffff
	s_and_b32 s2, s4, exec_lo
	s_cselect_b32 s23, s15, 0
	s_cselect_b32 s22, s14, 0x10000
	s_lshl_b32 s27, s26, 1
	s_cmp_lg_u64 s[8:9], 0
	s_mul_i32 s30, s26, 3
	s_cselect_b32 s29, -1, 0
	s_and_b32 s16, s8, 1
	v_cndmask_b32_e64 v21, 0, 1, s29
	s_cmp_eq_u64 s[16:17], 0
	s_cselect_b32 s25, 0, -1
	s_cselect_b32 s24, 1, -1
	s_lshl_b32 s16, s26, 2
	s_branch .LBB64_4
.LBB64_3:                               ;   in Loop: Header=BB64_4 Depth=1
	s_wait_alu 0xfffe
	s_or_b32 exec_lo, exec_lo, s2
	s_add_nc_u64 s[18:19], s[18:19], s[16:17]
	s_wait_alu 0xfffe
	v_cmp_ge_i64_e64 s2, s[18:19], s[20:21]
	s_and_b32 vcc_lo, exec_lo, s2
	s_wait_alu 0xfffe
	s_cbranch_vccnz .LBB64_80
.LBB64_4:                               ; =>This Loop Header: Depth=1
                                        ;     Child Loop BB64_26 Depth 2
                                        ;     Child Loop BB64_36 Depth 2
	;; [unrolled: 1-line block ×4, first 2 shown]
	v_add_co_u32 v7, s2, s18, v0
	s_wait_alu 0xf1ff
	v_add_co_ci_u32_e64 v8, null, s19, 0, s2
	s_wait_loadcnt 0x0
	v_mov_b32_e32 v17, 0
	v_dual_mov_b32 v18, 0 :: v_dual_mov_b32 v15, 0
	s_delay_alu instid0(VALU_DEP_3)
	v_cmp_gt_u64_e64 s2, s[22:23], v[7:8]
	v_lshlrev_b64_e32 v[1:2], 3, v[7:8]
	v_mov_b32_e32 v16, 0
	s_and_saveexec_b32 s3, s2
	s_cbranch_execz .LBB64_6
; %bb.5:                                ;   in Loop: Header=BB64_4 Depth=1
	s_delay_alu instid0(VALU_DEP_2)
	v_add_co_u32 v3, vcc_lo, s10, v1
	s_wait_alu 0xfffd
	v_add_co_ci_u32_e64 v4, null, s11, v2, vcc_lo
	global_load_b64 v[15:16], v[3:4], off
.LBB64_6:                               ;   in Loop: Header=BB64_4 Depth=1
	s_wait_alu 0xfffe
	s_or_b32 exec_lo, exec_lo, s3
	v_add_co_u32 v3, vcc_lo, v7, s26
	s_wait_alu 0xfffd
	v_add_co_ci_u32_e64 v4, null, 0, v8, vcc_lo
	s_delay_alu instid0(VALU_DEP_1)
	v_cmp_gt_u64_e64 s3, s[22:23], v[3:4]
	v_lshlrev_b64_e32 v[3:4], 3, v[3:4]
	s_and_saveexec_b32 s4, s3
	s_cbranch_execz .LBB64_8
; %bb.7:                                ;   in Loop: Header=BB64_4 Depth=1
	s_delay_alu instid0(VALU_DEP_1) | instskip(SKIP_1) | instid1(VALU_DEP_2)
	v_add_co_u32 v5, vcc_lo, s10, v3
	s_wait_alu 0xfffd
	v_add_co_ci_u32_e64 v6, null, s11, v4, vcc_lo
	global_load_b64 v[17:18], v[5:6], off
.LBB64_8:                               ;   in Loop: Header=BB64_4 Depth=1
	s_or_b32 exec_lo, exec_lo, s4
	v_add_co_u32 v5, vcc_lo, v7, s27
	s_wait_alu 0xfffd
	v_add_co_ci_u32_e64 v6, null, 0, v8, vcc_lo
	v_mov_b32_e32 v9, 0
	v_dual_mov_b32 v10, 0 :: v_dual_mov_b32 v13, 0
	s_delay_alu instid0(VALU_DEP_3)
	v_cmp_gt_u64_e64 s4, s[22:23], v[5:6]
	v_lshlrev_b64_e32 v[5:6], 3, v[5:6]
	v_mov_b32_e32 v14, 0
	s_and_saveexec_b32 s5, s4
	s_cbranch_execz .LBB64_10
; %bb.9:                                ;   in Loop: Header=BB64_4 Depth=1
	s_delay_alu instid0(VALU_DEP_2)
	v_add_co_u32 v11, vcc_lo, s10, v5
	s_wait_alu 0xfffd
	v_add_co_ci_u32_e64 v12, null, s11, v6, vcc_lo
	global_load_b64 v[13:14], v[11:12], off
.LBB64_10:                              ;   in Loop: Header=BB64_4 Depth=1
	s_or_b32 exec_lo, exec_lo, s5
	v_add_co_u32 v7, vcc_lo, v7, s30
	s_wait_alu 0xfffd
	v_add_co_ci_u32_e64 v8, null, 0, v8, vcc_lo
	s_delay_alu instid0(VALU_DEP_1)
	v_cmp_gt_u64_e64 s5, s[22:23], v[7:8]
	v_lshlrev_b64_e32 v[7:8], 3, v[7:8]
	s_and_saveexec_b32 s6, s5
	s_cbranch_execz .LBB64_12
; %bb.11:                               ;   in Loop: Header=BB64_4 Depth=1
	s_delay_alu instid0(VALU_DEP_1) | instskip(SKIP_1) | instid1(VALU_DEP_2)
	v_add_co_u32 v9, vcc_lo, s10, v7
	s_wait_alu 0xfffd
	v_add_co_ci_u32_e64 v10, null, s11, v8, vcc_lo
	global_load_b64 v[9:10], v[9:10], off
.LBB64_12:                              ;   in Loop: Header=BB64_4 Depth=1
	s_wait_alu 0xfffe
	s_or_b32 exec_lo, exec_lo, s6
	v_cmp_ne_u32_e64 s6, 1, v21
	s_and_b32 vcc_lo, exec_lo, s28
	s_mov_b32 s7, -1
                                        ; implicit-def: $vgpr11_vgpr12
	s_wait_alu 0xfffe
	s_cbranch_vccnz .LBB64_24
; %bb.13:                               ;   in Loop: Header=BB64_4 Depth=1
	s_and_not1_b32 vcc_lo, exec_lo, s7
	s_wait_alu 0xfffe
	s_cbranch_vccz .LBB64_28
.LBB64_14:                              ;   in Loop: Header=BB64_4 Depth=1
	s_and_not1_b32 vcc_lo, exec_lo, s28
	s_mov_b32 s6, -1
                                        ; implicit-def: $vgpr15_vgpr16
	s_wait_alu 0xfffe
	s_cbranch_vccz .LBB64_34
.LBB64_15:                              ;   in Loop: Header=BB64_4 Depth=1
	s_and_not1_b32 vcc_lo, exec_lo, s6
	s_wait_alu 0xfffe
	s_cbranch_vccz .LBB64_38
.LBB64_16:                              ;   in Loop: Header=BB64_4 Depth=1
	s_and_not1_b32 vcc_lo, exec_lo, s28
	s_mov_b32 s6, -1
                                        ; implicit-def: $vgpr17_vgpr18
	s_wait_alu 0xfffe
	s_cbranch_vccz .LBB64_44
.LBB64_17:                              ;   in Loop: Header=BB64_4 Depth=1
	s_and_not1_b32 vcc_lo, exec_lo, s6
	s_wait_alu 0xfffe
	s_cbranch_vccz .LBB64_48
.LBB64_18:                              ;   in Loop: Header=BB64_4 Depth=1
	s_and_not1_b32 vcc_lo, exec_lo, s28
	s_mov_b32 s6, -1
                                        ; implicit-def: $vgpr13_vgpr14
	s_wait_alu 0xfffe
	s_cbranch_vccz .LBB64_54
.LBB64_19:                              ;   in Loop: Header=BB64_4 Depth=1
	s_and_not1_b32 vcc_lo, exec_lo, s6
	s_wait_alu 0xfffe
	s_cbranch_vccz .LBB64_58
.LBB64_20:                              ;   in Loop: Header=BB64_4 Depth=1
	s_and_saveexec_b32 s6, s2
	s_wait_alu 0xfffe
	s_xor_b32 s2, exec_lo, s6
	s_cbranch_execnz .LBB64_64
.LBB64_21:                              ;   in Loop: Header=BB64_4 Depth=1
	s_wait_alu 0xfffe
	s_or_b32 exec_lo, exec_lo, s2
	s_and_saveexec_b32 s2, s3
	s_cbranch_execnz .LBB64_65
.LBB64_22:                              ;   in Loop: Header=BB64_4 Depth=1
	s_wait_alu 0xfffe
	s_or_b32 exec_lo, exec_lo, s2
	s_and_saveexec_b32 s2, s4
	s_cbranch_execnz .LBB64_66
.LBB64_23:                              ;   in Loop: Header=BB64_4 Depth=1
	s_wait_alu 0xfffe
	s_or_b32 exec_lo, exec_lo, s2
	s_and_saveexec_b32 s2, s5
	s_cbranch_execz .LBB64_3
	s_branch .LBB64_67
.LBB64_24:                              ;   in Loop: Header=BB64_4 Depth=1
	v_mov_b32_e32 v11, 1
	v_mov_b32_e32 v12, 0
	s_and_b32 vcc_lo, exec_lo, s6
	s_wait_alu 0xfffe
	s_cbranch_vccnz .LBB64_27
; %bb.25:                               ;   in Loop: Header=BB64_4 Depth=1
	s_wait_loadcnt 0x0
	v_dual_mov_b32 v20, v16 :: v_dual_mov_b32 v19, v15
	s_mov_b64 s[6:7], s[8:9]
.LBB64_26:                              ;   Parent Loop BB64_4 Depth=1
                                        ; =>  This Inner Loop Header: Depth=2
	s_wait_alu 0xfffe
	s_bitcmp1_b32 s6, 0
	s_delay_alu instid0(VALU_DEP_1)
	v_mul_lo_u32 v22, v19, v20
	s_cselect_b32 vcc_lo, -1, 0
	v_cmp_gt_u64_e64 s31, s[6:7], 1
	s_wait_alu 0xfffe
	v_dual_cndmask_b32 v23, 1, v19 :: v_dual_cndmask_b32 v24, 0, v20
	v_mad_co_u64_u32 v[19:20], null, v19, v19, 0
	s_lshr_b64 s[6:7], s[6:7], 1
	v_mul_lo_u32 v25, v23, v12
	v_mul_lo_u32 v24, v24, v11
	v_mad_co_u64_u32 v[11:12], null, v23, v11, 0
	s_and_b32 vcc_lo, exec_lo, s31
	v_add3_u32 v20, v20, v22, v22
	v_add3_u32 v12, v12, v25, v24
	s_wait_alu 0xfffe
	s_cbranch_vccnz .LBB64_26
.LBB64_27:                              ;   in Loop: Header=BB64_4 Depth=1
	s_cbranch_execnz .LBB64_14
.LBB64_28:                              ;   in Loop: Header=BB64_4 Depth=1
	s_mov_b32 s6, 0
	s_mov_b32 s7, 0
	s_mov_b32 s31, exec_lo
	s_wait_loadcnt 0x0
	v_cmpx_lt_i64_e32 0, v[15:16]
	s_wait_alu 0xfffe
	s_xor_b32 s31, exec_lo, s31
	s_cbranch_execnz .LBB64_68
; %bb.29:                               ;   in Loop: Header=BB64_4 Depth=1
	s_wait_alu 0xfffe
	s_and_not1_saveexec_b32 s31, s31
	s_cbranch_execnz .LBB64_69
.LBB64_30:                              ;   in Loop: Header=BB64_4 Depth=1
	s_wait_alu 0xfffe
	s_or_b32 exec_lo, exec_lo, s31
	s_and_saveexec_b32 s31, s7
	s_wait_alu 0xfffe
	s_xor_b32 s7, exec_lo, s31
	s_cbranch_execnz .LBB64_70
.LBB64_31:                              ;   in Loop: Header=BB64_4 Depth=1
	s_wait_alu 0xfffe
	s_or_b32 exec_lo, exec_lo, s7
	s_and_saveexec_b32 s7, s6
.LBB64_32:                              ;   in Loop: Header=BB64_4 Depth=1
	v_dual_mov_b32 v15, s24 :: v_dual_mov_b32 v16, s25
.LBB64_33:                              ;   in Loop: Header=BB64_4 Depth=1
	s_wait_alu 0xfffe
	s_or_b32 exec_lo, exec_lo, s7
	s_delay_alu instid0(VALU_DEP_1)
	v_dual_mov_b32 v11, v15 :: v_dual_mov_b32 v12, v16
	s_and_not1_b32 vcc_lo, exec_lo, s28
	s_mov_b32 s6, -1
                                        ; implicit-def: $vgpr15_vgpr16
	s_wait_alu 0xfffe
	s_cbranch_vccnz .LBB64_15
.LBB64_34:                              ;   in Loop: Header=BB64_4 Depth=1
	s_wait_loadcnt 0x0
	v_mov_b32_e32 v15, 1
	v_mov_b32_e32 v16, 0
	s_and_not1_b32 vcc_lo, exec_lo, s29
	s_wait_alu 0xfffe
	s_cbranch_vccnz .LBB64_37
; %bb.35:                               ;   in Loop: Header=BB64_4 Depth=1
	v_dual_mov_b32 v20, v18 :: v_dual_mov_b32 v19, v17
	s_mov_b64 s[6:7], s[8:9]
.LBB64_36:                              ;   Parent Loop BB64_4 Depth=1
                                        ; =>  This Inner Loop Header: Depth=2
	s_wait_alu 0xfffe
	s_bitcmp1_b32 s6, 0
	s_delay_alu instid0(VALU_DEP_1)
	v_mul_lo_u32 v22, v19, v20
	s_cselect_b32 vcc_lo, -1, 0
	v_cmp_lt_u64_e64 s31, s[6:7], 2
	s_wait_alu 0xfffe
	v_dual_cndmask_b32 v23, 1, v19 :: v_dual_cndmask_b32 v24, 0, v20
	v_mad_co_u64_u32 v[19:20], null, v19, v19, 0
	s_lshr_b64 s[6:7], s[6:7], 1
	v_mul_lo_u32 v25, v23, v16
	v_mul_lo_u32 v24, v24, v15
	v_mad_co_u64_u32 v[15:16], null, v23, v15, 0
	s_and_b32 vcc_lo, exec_lo, s31
	v_add3_u32 v20, v20, v22, v22
	v_add3_u32 v16, v16, v25, v24
	s_wait_alu 0xfffe
	s_cbranch_vccz .LBB64_36
.LBB64_37:                              ;   in Loop: Header=BB64_4 Depth=1
	s_cbranch_execnz .LBB64_16
.LBB64_38:                              ;   in Loop: Header=BB64_4 Depth=1
	s_mov_b32 s6, 0
	s_mov_b32 s7, 0
	s_mov_b32 s31, exec_lo
	s_wait_loadcnt 0x0
	v_cmpx_lt_i64_e32 0, v[17:18]
	s_wait_alu 0xfffe
	s_xor_b32 s31, exec_lo, s31
	s_cbranch_execnz .LBB64_71
; %bb.39:                               ;   in Loop: Header=BB64_4 Depth=1
	s_wait_alu 0xfffe
	s_and_not1_saveexec_b32 s31, s31
	s_cbranch_execnz .LBB64_72
.LBB64_40:                              ;   in Loop: Header=BB64_4 Depth=1
	s_wait_alu 0xfffe
	s_or_b32 exec_lo, exec_lo, s31
	s_and_saveexec_b32 s31, s7
	s_wait_alu 0xfffe
	s_xor_b32 s7, exec_lo, s31
	s_cbranch_execnz .LBB64_73
.LBB64_41:                              ;   in Loop: Header=BB64_4 Depth=1
	s_wait_alu 0xfffe
	s_or_b32 exec_lo, exec_lo, s7
	s_and_saveexec_b32 s7, s6
.LBB64_42:                              ;   in Loop: Header=BB64_4 Depth=1
	v_dual_mov_b32 v17, s24 :: v_dual_mov_b32 v18, s25
.LBB64_43:                              ;   in Loop: Header=BB64_4 Depth=1
	s_wait_alu 0xfffe
	s_or_b32 exec_lo, exec_lo, s7
	s_delay_alu instid0(VALU_DEP_1)
	v_dual_mov_b32 v15, v17 :: v_dual_mov_b32 v16, v18
	s_and_not1_b32 vcc_lo, exec_lo, s28
	s_mov_b32 s6, -1
                                        ; implicit-def: $vgpr17_vgpr18
	s_wait_alu 0xfffe
	s_cbranch_vccnz .LBB64_17
.LBB64_44:                              ;   in Loop: Header=BB64_4 Depth=1
	s_wait_loadcnt 0x0
	v_mov_b32_e32 v17, 1
	v_mov_b32_e32 v18, 0
	s_and_not1_b32 vcc_lo, exec_lo, s29
	s_wait_alu 0xfffe
	s_cbranch_vccnz .LBB64_47
; %bb.45:                               ;   in Loop: Header=BB64_4 Depth=1
	v_dual_mov_b32 v20, v14 :: v_dual_mov_b32 v19, v13
	s_mov_b64 s[6:7], s[8:9]
.LBB64_46:                              ;   Parent Loop BB64_4 Depth=1
                                        ; =>  This Inner Loop Header: Depth=2
	s_wait_alu 0xfffe
	s_bitcmp1_b32 s6, 0
	s_delay_alu instid0(VALU_DEP_1)
	v_mul_lo_u32 v22, v19, v20
	s_cselect_b32 vcc_lo, -1, 0
	v_cmp_lt_u64_e64 s31, s[6:7], 2
	s_wait_alu 0xfffe
	v_dual_cndmask_b32 v23, 1, v19 :: v_dual_cndmask_b32 v24, 0, v20
	v_mad_co_u64_u32 v[19:20], null, v19, v19, 0
	s_lshr_b64 s[6:7], s[6:7], 1
	v_mul_lo_u32 v25, v23, v18
	v_mul_lo_u32 v24, v24, v17
	v_mad_co_u64_u32 v[17:18], null, v23, v17, 0
	s_and_b32 vcc_lo, exec_lo, s31
	v_add3_u32 v20, v20, v22, v22
	v_add3_u32 v18, v18, v25, v24
	s_wait_alu 0xfffe
	s_cbranch_vccz .LBB64_46
.LBB64_47:                              ;   in Loop: Header=BB64_4 Depth=1
	s_cbranch_execnz .LBB64_18
.LBB64_48:                              ;   in Loop: Header=BB64_4 Depth=1
	s_mov_b32 s6, 0
	s_mov_b32 s7, 0
	s_mov_b32 s31, exec_lo
	s_wait_loadcnt 0x0
	v_cmpx_lt_i64_e32 0, v[13:14]
	s_wait_alu 0xfffe
	s_xor_b32 s31, exec_lo, s31
	s_cbranch_execnz .LBB64_74
; %bb.49:                               ;   in Loop: Header=BB64_4 Depth=1
	s_wait_alu 0xfffe
	s_and_not1_saveexec_b32 s31, s31
	s_cbranch_execnz .LBB64_75
.LBB64_50:                              ;   in Loop: Header=BB64_4 Depth=1
	s_wait_alu 0xfffe
	s_or_b32 exec_lo, exec_lo, s31
	s_and_saveexec_b32 s31, s7
	s_wait_alu 0xfffe
	s_xor_b32 s7, exec_lo, s31
	s_cbranch_execnz .LBB64_76
.LBB64_51:                              ;   in Loop: Header=BB64_4 Depth=1
	s_wait_alu 0xfffe
	s_or_b32 exec_lo, exec_lo, s7
	s_and_saveexec_b32 s7, s6
.LBB64_52:                              ;   in Loop: Header=BB64_4 Depth=1
	v_dual_mov_b32 v13, s24 :: v_dual_mov_b32 v14, s25
.LBB64_53:                              ;   in Loop: Header=BB64_4 Depth=1
	s_wait_alu 0xfffe
	s_or_b32 exec_lo, exec_lo, s7
	s_delay_alu instid0(VALU_DEP_1)
	v_dual_mov_b32 v18, v14 :: v_dual_mov_b32 v17, v13
	s_and_not1_b32 vcc_lo, exec_lo, s28
	s_mov_b32 s6, -1
                                        ; implicit-def: $vgpr13_vgpr14
	s_wait_alu 0xfffe
	s_cbranch_vccnz .LBB64_19
.LBB64_54:                              ;   in Loop: Header=BB64_4 Depth=1
	s_wait_loadcnt 0x0
	v_mov_b32_e32 v13, 1
	v_mov_b32_e32 v14, 0
	s_and_not1_b32 vcc_lo, exec_lo, s29
	s_wait_alu 0xfffe
	s_cbranch_vccnz .LBB64_57
; %bb.55:                               ;   in Loop: Header=BB64_4 Depth=1
	v_dual_mov_b32 v20, v10 :: v_dual_mov_b32 v19, v9
	s_mov_b64 s[6:7], s[8:9]
.LBB64_56:                              ;   Parent Loop BB64_4 Depth=1
                                        ; =>  This Inner Loop Header: Depth=2
	s_wait_alu 0xfffe
	s_bitcmp1_b32 s6, 0
	s_delay_alu instid0(VALU_DEP_1)
	v_mul_lo_u32 v22, v19, v20
	s_cselect_b32 vcc_lo, -1, 0
	v_cmp_lt_u64_e64 s31, s[6:7], 2
	s_wait_alu 0xfffe
	v_dual_cndmask_b32 v23, 1, v19 :: v_dual_cndmask_b32 v24, 0, v20
	v_mad_co_u64_u32 v[19:20], null, v19, v19, 0
	s_lshr_b64 s[6:7], s[6:7], 1
	v_mul_lo_u32 v25, v23, v14
	v_mul_lo_u32 v24, v24, v13
	v_mad_co_u64_u32 v[13:14], null, v23, v13, 0
	s_and_b32 vcc_lo, exec_lo, s31
	v_add3_u32 v20, v20, v22, v22
	v_add3_u32 v14, v14, v25, v24
	s_wait_alu 0xfffe
	s_cbranch_vccz .LBB64_56
.LBB64_57:                              ;   in Loop: Header=BB64_4 Depth=1
	s_cbranch_execnz .LBB64_20
.LBB64_58:                              ;   in Loop: Header=BB64_4 Depth=1
	s_mov_b32 s6, 0
	s_mov_b32 s7, 0
	s_mov_b32 s31, exec_lo
	s_wait_loadcnt 0x0
	v_cmpx_lt_i64_e32 0, v[9:10]
	s_wait_alu 0xfffe
	s_xor_b32 s31, exec_lo, s31
	s_cbranch_execnz .LBB64_77
; %bb.59:                               ;   in Loop: Header=BB64_4 Depth=1
	s_wait_alu 0xfffe
	s_and_not1_saveexec_b32 s31, s31
	s_cbranch_execnz .LBB64_78
.LBB64_60:                              ;   in Loop: Header=BB64_4 Depth=1
	s_wait_alu 0xfffe
	s_or_b32 exec_lo, exec_lo, s31
	s_and_saveexec_b32 s31, s7
	s_wait_alu 0xfffe
	s_xor_b32 s7, exec_lo, s31
	s_cbranch_execnz .LBB64_79
.LBB64_61:                              ;   in Loop: Header=BB64_4 Depth=1
	s_wait_alu 0xfffe
	s_or_b32 exec_lo, exec_lo, s7
	s_and_saveexec_b32 s7, s6
.LBB64_62:                              ;   in Loop: Header=BB64_4 Depth=1
	v_dual_mov_b32 v9, s24 :: v_dual_mov_b32 v10, s25
.LBB64_63:                              ;   in Loop: Header=BB64_4 Depth=1
	s_wait_alu 0xfffe
	s_or_b32 exec_lo, exec_lo, s7
	s_delay_alu instid0(VALU_DEP_1)
	v_dual_mov_b32 v14, v10 :: v_dual_mov_b32 v13, v9
	s_and_saveexec_b32 s6, s2
	s_wait_alu 0xfffe
	s_xor_b32 s2, exec_lo, s6
	s_cbranch_execz .LBB64_21
.LBB64_64:                              ;   in Loop: Header=BB64_4 Depth=1
	v_add_co_u32 v1, vcc_lo, s12, v1
	s_wait_alu 0xfffd
	v_add_co_ci_u32_e64 v2, null, s13, v2, vcc_lo
	global_store_b64 v[1:2], v[11:12], off
	s_wait_alu 0xfffe
	s_or_b32 exec_lo, exec_lo, s2
	s_and_saveexec_b32 s2, s3
	s_cbranch_execz .LBB64_22
.LBB64_65:                              ;   in Loop: Header=BB64_4 Depth=1
	v_add_co_u32 v1, vcc_lo, s12, v3
	s_wait_alu 0xfffd
	v_add_co_ci_u32_e64 v2, null, s13, v4, vcc_lo
	s_wait_loadcnt 0x0
	global_store_b64 v[1:2], v[15:16], off
	s_wait_alu 0xfffe
	s_or_b32 exec_lo, exec_lo, s2
	s_and_saveexec_b32 s2, s4
	s_cbranch_execz .LBB64_23
.LBB64_66:                              ;   in Loop: Header=BB64_4 Depth=1
	v_add_co_u32 v1, vcc_lo, s12, v5
	s_wait_alu 0xfffd
	v_add_co_ci_u32_e64 v2, null, s13, v6, vcc_lo
	s_wait_loadcnt 0x0
	global_store_b64 v[1:2], v[17:18], off
	s_wait_alu 0xfffe
	s_or_b32 exec_lo, exec_lo, s2
	s_and_saveexec_b32 s2, s5
	s_cbranch_execz .LBB64_3
.LBB64_67:                              ;   in Loop: Header=BB64_4 Depth=1
	v_add_co_u32 v1, vcc_lo, s12, v7
	s_wait_alu 0xfffd
	v_add_co_ci_u32_e64 v2, null, s13, v8, vcc_lo
	s_wait_loadcnt 0x0
	global_store_b64 v[1:2], v[13:14], off
	s_branch .LBB64_3
.LBB64_68:                              ;   in Loop: Header=BB64_4 Depth=1
	v_cmp_ne_u64_e32 vcc_lo, 1, v[15:16]
	s_and_b32 s7, vcc_lo, exec_lo
	s_wait_alu 0xfffe
	s_and_not1_saveexec_b32 s31, s31
	s_cbranch_execz .LBB64_30
.LBB64_69:                              ;   in Loop: Header=BB64_4 Depth=1
	v_cmp_ne_u64_e32 vcc_lo, -1, v[15:16]
	s_and_not1_b32 s7, s7, exec_lo
	s_mov_b32 s6, exec_lo
	s_and_b32 s33, vcc_lo, exec_lo
	s_wait_alu 0xfffe
	s_or_b32 s7, s7, s33
	s_or_b32 exec_lo, exec_lo, s31
	s_wait_alu 0xfffe
	s_and_saveexec_b32 s31, s7
	s_wait_alu 0xfffe
	s_xor_b32 s7, exec_lo, s31
	s_cbranch_execz .LBB64_31
.LBB64_70:                              ;   in Loop: Header=BB64_4 Depth=1
	v_mov_b32_e32 v15, 0
	v_mov_b32_e32 v16, 0
	s_and_not1_b32 s6, s6, exec_lo
	s_wait_alu 0xfffe
	s_or_b32 exec_lo, exec_lo, s7
	s_and_saveexec_b32 s7, s6
	s_cbranch_execnz .LBB64_32
	s_branch .LBB64_33
.LBB64_71:                              ;   in Loop: Header=BB64_4 Depth=1
	v_cmp_ne_u64_e32 vcc_lo, 1, v[17:18]
	s_and_b32 s7, vcc_lo, exec_lo
	s_wait_alu 0xfffe
	s_and_not1_saveexec_b32 s31, s31
	s_cbranch_execz .LBB64_40
.LBB64_72:                              ;   in Loop: Header=BB64_4 Depth=1
	v_cmp_ne_u64_e32 vcc_lo, -1, v[17:18]
	s_and_not1_b32 s7, s7, exec_lo
	s_mov_b32 s6, exec_lo
	s_and_b32 s33, vcc_lo, exec_lo
	s_wait_alu 0xfffe
	s_or_b32 s7, s7, s33
	s_or_b32 exec_lo, exec_lo, s31
	s_wait_alu 0xfffe
	s_and_saveexec_b32 s31, s7
	s_wait_alu 0xfffe
	s_xor_b32 s7, exec_lo, s31
	s_cbranch_execz .LBB64_41
.LBB64_73:                              ;   in Loop: Header=BB64_4 Depth=1
	v_mov_b32_e32 v17, 0
	v_mov_b32_e32 v18, 0
	s_and_not1_b32 s6, s6, exec_lo
	s_wait_alu 0xfffe
	s_or_b32 exec_lo, exec_lo, s7
	s_and_saveexec_b32 s7, s6
	s_cbranch_execnz .LBB64_42
	s_branch .LBB64_43
.LBB64_74:                              ;   in Loop: Header=BB64_4 Depth=1
	v_cmp_ne_u64_e32 vcc_lo, 1, v[13:14]
	s_and_b32 s7, vcc_lo, exec_lo
	s_wait_alu 0xfffe
	s_and_not1_saveexec_b32 s31, s31
	s_cbranch_execz .LBB64_50
.LBB64_75:                              ;   in Loop: Header=BB64_4 Depth=1
	v_cmp_ne_u64_e32 vcc_lo, -1, v[13:14]
	s_and_not1_b32 s7, s7, exec_lo
	s_mov_b32 s6, exec_lo
	s_and_b32 s33, vcc_lo, exec_lo
	s_wait_alu 0xfffe
	s_or_b32 s7, s7, s33
	s_or_b32 exec_lo, exec_lo, s31
	s_wait_alu 0xfffe
	s_and_saveexec_b32 s31, s7
	s_wait_alu 0xfffe
	s_xor_b32 s7, exec_lo, s31
	s_cbranch_execz .LBB64_51
.LBB64_76:                              ;   in Loop: Header=BB64_4 Depth=1
	v_mov_b32_e32 v13, 0
	v_mov_b32_e32 v14, 0
	s_and_not1_b32 s6, s6, exec_lo
	s_wait_alu 0xfffe
	s_or_b32 exec_lo, exec_lo, s7
	s_and_saveexec_b32 s7, s6
	s_cbranch_execnz .LBB64_52
	s_branch .LBB64_53
.LBB64_77:                              ;   in Loop: Header=BB64_4 Depth=1
	v_cmp_ne_u64_e32 vcc_lo, 1, v[9:10]
	s_and_b32 s7, vcc_lo, exec_lo
	s_wait_alu 0xfffe
	s_and_not1_saveexec_b32 s31, s31
	s_cbranch_execz .LBB64_60
.LBB64_78:                              ;   in Loop: Header=BB64_4 Depth=1
	v_cmp_ne_u64_e32 vcc_lo, -1, v[9:10]
	s_and_not1_b32 s7, s7, exec_lo
	s_mov_b32 s6, exec_lo
	s_and_b32 s33, vcc_lo, exec_lo
	s_wait_alu 0xfffe
	s_or_b32 s7, s7, s33
	s_or_b32 exec_lo, exec_lo, s31
	s_wait_alu 0xfffe
	s_and_saveexec_b32 s31, s7
	s_wait_alu 0xfffe
	s_xor_b32 s7, exec_lo, s31
	s_cbranch_execz .LBB64_61
.LBB64_79:                              ;   in Loop: Header=BB64_4 Depth=1
	v_mov_b32_e32 v9, 0
	v_mov_b32_e32 v10, 0
	s_and_not1_b32 s6, s6, exec_lo
	s_wait_alu 0xfffe
	s_or_b32 exec_lo, exec_lo, s7
	s_and_saveexec_b32 s7, s6
	s_cbranch_execnz .LBB64_62
	s_branch .LBB64_63
.LBB64_80:
	s_mov_b32 s2, 0
.LBB64_81:
	s_wait_alu 0xfffe
	s_and_not1_b32 vcc_lo, exec_lo, s2
	s_wait_alu 0xfffe
	s_cbranch_vccnz .LBB64_145
; %bb.82:
	v_cmp_gt_i64_e64 s2, 0x10000, s[14:15]
	v_dual_mov_b32 v2, 0 :: v_dual_lshlrev_b32 v1, 2, v0
	s_mov_b32 s5, 0
	s_mov_b32 s4, exec_lo
	s_and_b32 s2, s2, exec_lo
	s_cselect_b32 s3, s15, 0
	s_cselect_b32 s2, s14, 0x10000
	s_wait_alu 0xfffe
	v_cmpx_gt_i64_e64 s[2:3], v[1:2]
	s_cbranch_execz .LBB64_145
; %bb.83:
	s_load_b32 s0, s[0:1], 0xc64
	s_cmp_lg_u64 s[8:9], 0
	v_mov_b32_e32 v1, v2
	s_cselect_b32 s14, -1, 0
	s_and_b32 s4, s8, 1
	s_wait_loadcnt 0x0
	s_wait_alu 0xfffe
	v_cndmask_b32_e64 v16, 0, 1, s14
	s_cmp_eq_u64 s[4:5], 0
	v_cmp_gt_i64_e64 s4, s[8:9], -1
	s_cselect_b32 s7, 0, -1
	s_cselect_b32 s6, 1, -1
	s_wait_kmcnt 0x0
	s_and_b32 s15, s0, 0xffff
	s_branch .LBB64_86
.LBB64_84:                              ;   in Loop: Header=BB64_86 Depth=1
	s_wait_alu 0xfffe
	s_or_b32 exec_lo, exec_lo, s1
	s_delay_alu instid0(VALU_DEP_1)
	v_dual_mov_b32 v13, v5 :: v_dual_mov_b32 v12, v4
.LBB64_85:                              ;   in Loop: Header=BB64_86 Depth=1
	v_add_co_u32 v0, vcc_lo, v0, s15
	s_wait_alu 0xfffd
	v_add_co_ci_u32_e64 v1, null, 0, v1, vcc_lo
	s_wait_loadcnt 0x1
	s_delay_alu instid0(VALU_DEP_1) | instskip(NEXT) | instid1(VALU_DEP_1)
	v_lshlrev_b64_e32 v[2:3], 2, v[0:1]
	v_cmp_le_i64_e32 vcc_lo, s[2:3], v[2:3]
	v_add_co_u32 v2, s0, s12, v14
	s_wait_alu 0xf1ff
	v_add_co_ci_u32_e64 v3, null, s13, v15, s0
	s_wait_loadcnt 0x0
	s_clause 0x1
	global_store_b128 v[2:3], v[6:9], off
	global_store_b128 v[2:3], v[10:13], off offset:16
	s_or_b32 s5, vcc_lo, s5
	s_delay_alu instid0(SALU_CYCLE_1)
	s_and_not1_b32 exec_lo, exec_lo, s5
	s_cbranch_execz .LBB64_145
.LBB64_86:                              ; =>This Loop Header: Depth=1
                                        ;     Child Loop BB64_96 Depth 2
                                        ;     Child Loop BB64_106 Depth 2
                                        ;     Child Loop BB64_116 Depth 2
                                        ;     Child Loop BB64_126 Depth 2
	v_lshlrev_b64_e32 v[14:15], 5, v[0:1]
	v_cmp_ne_u32_e64 s0, 1, v16
	s_mov_b32 s1, -1
	v_add_co_u32 v6, vcc_lo, s10, v14
	s_wait_alu 0xfffd
	v_add_co_ci_u32_e64 v7, null, s11, v15, vcc_lo
	s_and_b32 vcc_lo, exec_lo, s4
	s_clause 0x1
	global_load_b128 v[2:5], v[6:7], off offset:16
	global_load_b128 v[8:11], v[6:7], off
                                        ; implicit-def: $vgpr6_vgpr7
	s_wait_alu 0xfffe
	s_cbranch_vccnz .LBB64_94
; %bb.87:                               ;   in Loop: Header=BB64_86 Depth=1
	s_and_not1_b32 vcc_lo, exec_lo, s1
	s_wait_alu 0xfffe
	s_cbranch_vccz .LBB64_98
.LBB64_88:                              ;   in Loop: Header=BB64_86 Depth=1
	s_and_not1_b32 vcc_lo, exec_lo, s4
	s_mov_b32 s0, -1
	s_wait_alu 0xfffe
	s_cbranch_vccz .LBB64_104
.LBB64_89:                              ;   in Loop: Header=BB64_86 Depth=1
	s_and_not1_b32 vcc_lo, exec_lo, s0
	s_wait_alu 0xfffe
	s_cbranch_vccz .LBB64_108
.LBB64_90:                              ;   in Loop: Header=BB64_86 Depth=1
	s_and_not1_b32 vcc_lo, exec_lo, s4
	s_mov_b32 s0, -1
                                        ; implicit-def: $vgpr10_vgpr11
	s_wait_alu 0xfffe
	s_cbranch_vccz .LBB64_114
.LBB64_91:                              ;   in Loop: Header=BB64_86 Depth=1
	s_and_not1_b32 vcc_lo, exec_lo, s0
	s_wait_alu 0xfffe
	s_cbranch_vccz .LBB64_118
.LBB64_92:                              ;   in Loop: Header=BB64_86 Depth=1
	s_and_not1_b32 vcc_lo, exec_lo, s4
	s_mov_b32 s0, -1
	s_wait_alu 0xfffe
	s_cbranch_vccz .LBB64_124
.LBB64_93:                              ;   in Loop: Header=BB64_86 Depth=1
	s_and_not1_b32 vcc_lo, exec_lo, s0
	s_wait_alu 0xfffe
	s_cbranch_vccnz .LBB64_85
	s_branch .LBB64_128
.LBB64_94:                              ;   in Loop: Header=BB64_86 Depth=1
	v_mov_b32_e32 v6, 1
	v_mov_b32_e32 v7, 0
	s_and_b32 vcc_lo, exec_lo, s0
	s_wait_alu 0xfffe
	s_cbranch_vccnz .LBB64_97
; %bb.95:                               ;   in Loop: Header=BB64_86 Depth=1
	s_wait_loadcnt 0x0
	v_dual_mov_b32 v13, v9 :: v_dual_mov_b32 v12, v8
	s_mov_b64 s[0:1], s[8:9]
.LBB64_96:                              ;   Parent Loop BB64_86 Depth=1
                                        ; =>  This Inner Loop Header: Depth=2
	s_wait_alu 0xfffe
	s_bitcmp1_b32 s0, 0
	s_delay_alu instid0(VALU_DEP_1)
	v_mul_lo_u32 v17, v12, v13
	s_cselect_b32 vcc_lo, -1, 0
	v_cmp_gt_u64_e64 s16, s[0:1], 1
	s_wait_alu 0xfffe
	v_dual_cndmask_b32 v18, 1, v12 :: v_dual_cndmask_b32 v19, 0, v13
	v_mad_co_u64_u32 v[12:13], null, v12, v12, 0
	s_lshr_b64 s[0:1], s[0:1], 1
	v_mul_lo_u32 v20, v18, v7
	v_mul_lo_u32 v19, v19, v6
	v_mad_co_u64_u32 v[6:7], null, v18, v6, 0
	s_and_b32 vcc_lo, exec_lo, s16
	v_add3_u32 v13, v13, v17, v17
	v_add3_u32 v7, v7, v20, v19
	s_wait_alu 0xfffe
	s_cbranch_vccnz .LBB64_96
.LBB64_97:                              ;   in Loop: Header=BB64_86 Depth=1
	s_cbranch_execnz .LBB64_88
.LBB64_98:                              ;   in Loop: Header=BB64_86 Depth=1
	s_mov_b32 s0, 0
	s_mov_b32 s1, 0
	s_mov_b32 s16, exec_lo
	s_wait_loadcnt 0x0
	v_cmpx_lt_i64_e32 0, v[8:9]
	s_xor_b32 s16, exec_lo, s16
	s_cbranch_execnz .LBB64_132
; %bb.99:                               ;   in Loop: Header=BB64_86 Depth=1
	s_and_not1_saveexec_b32 s16, s16
	s_cbranch_execnz .LBB64_133
.LBB64_100:                             ;   in Loop: Header=BB64_86 Depth=1
	s_or_b32 exec_lo, exec_lo, s16
	s_wait_alu 0xfffe
	s_and_saveexec_b32 s16, s1
	s_delay_alu instid0(SALU_CYCLE_1)
	s_xor_b32 s1, exec_lo, s16
	s_cbranch_execnz .LBB64_134
.LBB64_101:                             ;   in Loop: Header=BB64_86 Depth=1
	s_wait_alu 0xfffe
	s_or_b32 exec_lo, exec_lo, s1
	s_and_saveexec_b32 s1, s0
.LBB64_102:                             ;   in Loop: Header=BB64_86 Depth=1
	v_dual_mov_b32 v9, s7 :: v_dual_mov_b32 v8, s6
.LBB64_103:                             ;   in Loop: Header=BB64_86 Depth=1
	s_wait_alu 0xfffe
	s_or_b32 exec_lo, exec_lo, s1
	s_delay_alu instid0(VALU_DEP_1)
	v_dual_mov_b32 v6, v8 :: v_dual_mov_b32 v7, v9
	s_and_not1_b32 vcc_lo, exec_lo, s4
	s_mov_b32 s0, -1
	s_wait_alu 0xfffe
	s_cbranch_vccnz .LBB64_89
.LBB64_104:                             ;   in Loop: Header=BB64_86 Depth=1
	s_wait_loadcnt 0x0
	v_mov_b32_e32 v8, 1
	v_mov_b32_e32 v9, 0
	s_and_not1_b32 vcc_lo, exec_lo, s14
	s_wait_alu 0xfffe
	s_cbranch_vccnz .LBB64_107
; %bb.105:                              ;   in Loop: Header=BB64_86 Depth=1
	v_dual_mov_b32 v13, v11 :: v_dual_mov_b32 v12, v10
	s_mov_b64 s[0:1], s[8:9]
.LBB64_106:                             ;   Parent Loop BB64_86 Depth=1
                                        ; =>  This Inner Loop Header: Depth=2
	s_wait_alu 0xfffe
	s_bitcmp1_b32 s0, 0
	s_delay_alu instid0(VALU_DEP_1)
	v_mul_lo_u32 v17, v12, v13
	s_cselect_b32 vcc_lo, -1, 0
	v_cmp_lt_u64_e64 s16, s[0:1], 2
	s_wait_alu 0xfffe
	v_dual_cndmask_b32 v18, 1, v12 :: v_dual_cndmask_b32 v19, 0, v13
	v_mad_co_u64_u32 v[12:13], null, v12, v12, 0
	s_lshr_b64 s[0:1], s[0:1], 1
	v_mul_lo_u32 v20, v18, v9
	v_mul_lo_u32 v19, v19, v8
	v_mad_co_u64_u32 v[8:9], null, v18, v8, 0
	s_and_b32 vcc_lo, exec_lo, s16
	v_add3_u32 v13, v13, v17, v17
	v_add3_u32 v9, v9, v20, v19
	s_wait_alu 0xfffe
	s_cbranch_vccz .LBB64_106
.LBB64_107:                             ;   in Loop: Header=BB64_86 Depth=1
	s_cbranch_execnz .LBB64_90
.LBB64_108:                             ;   in Loop: Header=BB64_86 Depth=1
	s_mov_b32 s0, 0
	s_mov_b32 s1, 0
	s_mov_b32 s16, exec_lo
	s_wait_loadcnt 0x0
	v_cmpx_lt_i64_e32 0, v[10:11]
	s_xor_b32 s16, exec_lo, s16
	s_cbranch_execnz .LBB64_135
; %bb.109:                              ;   in Loop: Header=BB64_86 Depth=1
	s_and_not1_saveexec_b32 s16, s16
	s_cbranch_execnz .LBB64_136
.LBB64_110:                             ;   in Loop: Header=BB64_86 Depth=1
	s_or_b32 exec_lo, exec_lo, s16
	s_wait_alu 0xfffe
	s_and_saveexec_b32 s16, s1
	s_delay_alu instid0(SALU_CYCLE_1)
	s_xor_b32 s1, exec_lo, s16
	s_cbranch_execnz .LBB64_137
.LBB64_111:                             ;   in Loop: Header=BB64_86 Depth=1
	s_wait_alu 0xfffe
	s_or_b32 exec_lo, exec_lo, s1
	s_and_saveexec_b32 s1, s0
.LBB64_112:                             ;   in Loop: Header=BB64_86 Depth=1
	v_dual_mov_b32 v11, s7 :: v_dual_mov_b32 v10, s6
.LBB64_113:                             ;   in Loop: Header=BB64_86 Depth=1
	s_wait_alu 0xfffe
	s_or_b32 exec_lo, exec_lo, s1
	s_delay_alu instid0(VALU_DEP_1)
	v_dual_mov_b32 v8, v10 :: v_dual_mov_b32 v9, v11
	s_and_not1_b32 vcc_lo, exec_lo, s4
	s_mov_b32 s0, -1
                                        ; implicit-def: $vgpr10_vgpr11
	s_wait_alu 0xfffe
	s_cbranch_vccnz .LBB64_91
.LBB64_114:                             ;   in Loop: Header=BB64_86 Depth=1
	s_wait_loadcnt 0x0
	v_mov_b32_e32 v10, 1
	v_mov_b32_e32 v11, 0
	s_and_not1_b32 vcc_lo, exec_lo, s14
	s_wait_alu 0xfffe
	s_cbranch_vccnz .LBB64_117
; %bb.115:                              ;   in Loop: Header=BB64_86 Depth=1
	v_dual_mov_b32 v13, v3 :: v_dual_mov_b32 v12, v2
	s_mov_b64 s[0:1], s[8:9]
.LBB64_116:                             ;   Parent Loop BB64_86 Depth=1
                                        ; =>  This Inner Loop Header: Depth=2
	s_wait_alu 0xfffe
	s_bitcmp1_b32 s0, 0
	s_delay_alu instid0(VALU_DEP_1)
	v_mul_lo_u32 v17, v12, v13
	s_cselect_b32 vcc_lo, -1, 0
	v_cmp_lt_u64_e64 s16, s[0:1], 2
	s_wait_alu 0xfffe
	v_dual_cndmask_b32 v18, 1, v12 :: v_dual_cndmask_b32 v19, 0, v13
	v_mad_co_u64_u32 v[12:13], null, v12, v12, 0
	s_lshr_b64 s[0:1], s[0:1], 1
	v_mul_lo_u32 v20, v18, v11
	v_mul_lo_u32 v19, v19, v10
	v_mad_co_u64_u32 v[10:11], null, v18, v10, 0
	s_and_b32 vcc_lo, exec_lo, s16
	v_add3_u32 v13, v13, v17, v17
	v_add3_u32 v11, v11, v20, v19
	s_wait_alu 0xfffe
	s_cbranch_vccz .LBB64_116
.LBB64_117:                             ;   in Loop: Header=BB64_86 Depth=1
	s_cbranch_execnz .LBB64_92
.LBB64_118:                             ;   in Loop: Header=BB64_86 Depth=1
	s_mov_b32 s0, 0
	s_mov_b32 s1, 0
	s_mov_b32 s16, exec_lo
	s_wait_loadcnt 0x1
	v_cmpx_lt_i64_e32 0, v[2:3]
	s_xor_b32 s16, exec_lo, s16
	s_cbranch_execnz .LBB64_138
; %bb.119:                              ;   in Loop: Header=BB64_86 Depth=1
	s_and_not1_saveexec_b32 s16, s16
	s_cbranch_execnz .LBB64_139
.LBB64_120:                             ;   in Loop: Header=BB64_86 Depth=1
	s_or_b32 exec_lo, exec_lo, s16
	s_wait_alu 0xfffe
	s_and_saveexec_b32 s16, s1
	s_delay_alu instid0(SALU_CYCLE_1)
	s_xor_b32 s1, exec_lo, s16
	s_cbranch_execnz .LBB64_140
.LBB64_121:                             ;   in Loop: Header=BB64_86 Depth=1
	s_wait_alu 0xfffe
	s_or_b32 exec_lo, exec_lo, s1
	s_and_saveexec_b32 s1, s0
.LBB64_122:                             ;   in Loop: Header=BB64_86 Depth=1
	v_dual_mov_b32 v2, s6 :: v_dual_mov_b32 v3, s7
.LBB64_123:                             ;   in Loop: Header=BB64_86 Depth=1
	s_wait_alu 0xfffe
	s_or_b32 exec_lo, exec_lo, s1
	s_wait_loadcnt 0x0
	s_delay_alu instid0(VALU_DEP_1)
	v_dual_mov_b32 v11, v3 :: v_dual_mov_b32 v10, v2
	s_and_not1_b32 vcc_lo, exec_lo, s4
	s_mov_b32 s0, -1
	s_wait_alu 0xfffe
	s_cbranch_vccnz .LBB64_93
.LBB64_124:                             ;   in Loop: Header=BB64_86 Depth=1
	v_mov_b32_e32 v12, 1
	v_mov_b32_e32 v13, 0
	s_and_not1_b32 vcc_lo, exec_lo, s14
	s_wait_alu 0xfffe
	s_cbranch_vccnz .LBB64_127
; %bb.125:                              ;   in Loop: Header=BB64_86 Depth=1
	s_wait_loadcnt 0x1
	v_dual_mov_b32 v2, v4 :: v_dual_mov_b32 v3, v5
	s_mov_b64 s[0:1], s[8:9]
.LBB64_126:                             ;   Parent Loop BB64_86 Depth=1
                                        ; =>  This Inner Loop Header: Depth=2
	s_wait_alu 0xfffe
	s_bitcmp1_b32 s0, 0
	s_delay_alu instid0(VALU_DEP_1)
	v_mul_lo_u32 v17, v2, v3
	s_cselect_b32 vcc_lo, -1, 0
	v_cmp_lt_u64_e64 s16, s[0:1], 2
	s_wait_alu 0xfffe
	v_dual_cndmask_b32 v18, 1, v2 :: v_dual_cndmask_b32 v19, 0, v3
	v_mad_co_u64_u32 v[2:3], null, v2, v2, 0
	s_lshr_b64 s[0:1], s[0:1], 1
	v_mul_lo_u32 v20, v18, v13
	v_mul_lo_u32 v19, v19, v12
	v_mad_co_u64_u32 v[12:13], null, v18, v12, 0
	s_and_b32 vcc_lo, exec_lo, s16
	v_add3_u32 v3, v3, v17, v17
	v_add3_u32 v13, v13, v20, v19
	s_wait_alu 0xfffe
	s_cbranch_vccz .LBB64_126
.LBB64_127:                             ;   in Loop: Header=BB64_86 Depth=1
	s_cbranch_execnz .LBB64_85
.LBB64_128:                             ;   in Loop: Header=BB64_86 Depth=1
	s_mov_b32 s0, 0
	s_mov_b32 s1, 0
	s_mov_b32 s16, exec_lo
	s_wait_loadcnt 0x1
	v_cmpx_lt_i64_e32 0, v[4:5]
	s_xor_b32 s16, exec_lo, s16
	s_cbranch_execnz .LBB64_141
; %bb.129:                              ;   in Loop: Header=BB64_86 Depth=1
	s_and_not1_saveexec_b32 s16, s16
	s_cbranch_execnz .LBB64_142
.LBB64_130:                             ;   in Loop: Header=BB64_86 Depth=1
	s_or_b32 exec_lo, exec_lo, s16
	s_wait_alu 0xfffe
	s_and_saveexec_b32 s16, s1
	s_delay_alu instid0(SALU_CYCLE_1)
	s_xor_b32 s1, exec_lo, s16
	s_cbranch_execnz .LBB64_143
.LBB64_131:                             ;   in Loop: Header=BB64_86 Depth=1
	s_wait_alu 0xfffe
	s_or_b32 exec_lo, exec_lo, s1
	s_and_saveexec_b32 s1, s0
	s_cbranch_execz .LBB64_84
	s_branch .LBB64_144
.LBB64_132:                             ;   in Loop: Header=BB64_86 Depth=1
	v_cmp_ne_u64_e32 vcc_lo, 1, v[8:9]
	s_and_b32 s1, vcc_lo, exec_lo
	s_and_not1_saveexec_b32 s16, s16
	s_cbranch_execz .LBB64_100
.LBB64_133:                             ;   in Loop: Header=BB64_86 Depth=1
	v_cmp_ne_u64_e32 vcc_lo, -1, v[8:9]
	s_wait_alu 0xfffe
	s_and_not1_b32 s1, s1, exec_lo
	s_mov_b32 s0, exec_lo
	s_and_b32 s17, vcc_lo, exec_lo
	s_wait_alu 0xfffe
	s_or_b32 s1, s1, s17
	s_or_b32 exec_lo, exec_lo, s16
	s_wait_alu 0xfffe
	s_and_saveexec_b32 s16, s1
	s_delay_alu instid0(SALU_CYCLE_1)
	s_xor_b32 s1, exec_lo, s16
	s_cbranch_execz .LBB64_101
.LBB64_134:                             ;   in Loop: Header=BB64_86 Depth=1
	v_mov_b32_e32 v8, 0
	v_mov_b32_e32 v9, 0
	s_and_not1_b32 s0, s0, exec_lo
	s_wait_alu 0xfffe
	s_or_b32 exec_lo, exec_lo, s1
	s_and_saveexec_b32 s1, s0
	s_cbranch_execnz .LBB64_102
	s_branch .LBB64_103
.LBB64_135:                             ;   in Loop: Header=BB64_86 Depth=1
	v_cmp_ne_u64_e32 vcc_lo, 1, v[10:11]
	s_and_b32 s1, vcc_lo, exec_lo
	s_and_not1_saveexec_b32 s16, s16
	s_cbranch_execz .LBB64_110
.LBB64_136:                             ;   in Loop: Header=BB64_86 Depth=1
	v_cmp_ne_u64_e32 vcc_lo, -1, v[10:11]
	s_wait_alu 0xfffe
	s_and_not1_b32 s1, s1, exec_lo
	s_mov_b32 s0, exec_lo
	s_and_b32 s17, vcc_lo, exec_lo
	s_wait_alu 0xfffe
	s_or_b32 s1, s1, s17
	s_or_b32 exec_lo, exec_lo, s16
	s_wait_alu 0xfffe
	s_and_saveexec_b32 s16, s1
	s_delay_alu instid0(SALU_CYCLE_1)
	s_xor_b32 s1, exec_lo, s16
	s_cbranch_execz .LBB64_111
.LBB64_137:                             ;   in Loop: Header=BB64_86 Depth=1
	v_mov_b32_e32 v10, 0
	v_mov_b32_e32 v11, 0
	s_and_not1_b32 s0, s0, exec_lo
	s_wait_alu 0xfffe
	s_or_b32 exec_lo, exec_lo, s1
	s_and_saveexec_b32 s1, s0
	s_cbranch_execnz .LBB64_112
	s_branch .LBB64_113
.LBB64_138:                             ;   in Loop: Header=BB64_86 Depth=1
	v_cmp_ne_u64_e32 vcc_lo, 1, v[2:3]
	s_and_b32 s1, vcc_lo, exec_lo
	s_and_not1_saveexec_b32 s16, s16
	s_cbranch_execz .LBB64_120
.LBB64_139:                             ;   in Loop: Header=BB64_86 Depth=1
	v_cmp_ne_u64_e32 vcc_lo, -1, v[2:3]
	s_wait_alu 0xfffe
	s_and_not1_b32 s1, s1, exec_lo
	s_mov_b32 s0, exec_lo
	s_and_b32 s17, vcc_lo, exec_lo
	s_wait_alu 0xfffe
	s_or_b32 s1, s1, s17
	s_or_b32 exec_lo, exec_lo, s16
	s_wait_alu 0xfffe
	s_and_saveexec_b32 s16, s1
	s_delay_alu instid0(SALU_CYCLE_1)
	s_xor_b32 s1, exec_lo, s16
	s_cbranch_execz .LBB64_121
.LBB64_140:                             ;   in Loop: Header=BB64_86 Depth=1
	v_mov_b32_e32 v2, 0
	v_mov_b32_e32 v3, 0
	s_and_not1_b32 s0, s0, exec_lo
	s_wait_alu 0xfffe
	s_or_b32 exec_lo, exec_lo, s1
	s_and_saveexec_b32 s1, s0
	s_cbranch_execnz .LBB64_122
	s_branch .LBB64_123
.LBB64_141:                             ;   in Loop: Header=BB64_86 Depth=1
	v_cmp_ne_u64_e32 vcc_lo, 1, v[4:5]
	s_and_b32 s1, vcc_lo, exec_lo
	s_and_not1_saveexec_b32 s16, s16
	s_cbranch_execz .LBB64_130
.LBB64_142:                             ;   in Loop: Header=BB64_86 Depth=1
	v_cmp_ne_u64_e32 vcc_lo, -1, v[4:5]
	s_wait_alu 0xfffe
	s_and_not1_b32 s1, s1, exec_lo
	s_mov_b32 s0, exec_lo
	s_and_b32 s17, vcc_lo, exec_lo
	s_wait_alu 0xfffe
	s_or_b32 s1, s1, s17
	s_or_b32 exec_lo, exec_lo, s16
	s_wait_alu 0xfffe
	s_and_saveexec_b32 s16, s1
	s_delay_alu instid0(SALU_CYCLE_1)
	s_xor_b32 s1, exec_lo, s16
	s_cbranch_execz .LBB64_131
.LBB64_143:                             ;   in Loop: Header=BB64_86 Depth=1
	v_mov_b32_e32 v4, 0
	v_mov_b32_e32 v5, 0
	s_and_not1_b32 s0, s0, exec_lo
	s_wait_alu 0xfffe
	s_or_b32 exec_lo, exec_lo, s1
	s_and_saveexec_b32 s1, s0
	s_cbranch_execz .LBB64_84
.LBB64_144:                             ;   in Loop: Header=BB64_86 Depth=1
	v_dual_mov_b32 v4, s6 :: v_dual_mov_b32 v5, s7
	s_branch .LBB64_84
.LBB64_145:
	s_endpgm
	.section	.rodata,"a",@progbits
	.p2align	6, 0x0
	.amdhsa_kernel _ZN2at6native12_GLOBAL__N_125multi_tensor_apply_kernelINS1_18TensorListMetadataILi2EEENS1_21BinaryOpScalarFunctorIlLi2ELi1ELi1EEEJNS1_13power_functorIlEElEEEvT_T0_DpT1_
		.amdhsa_group_segment_fixed_size 0
		.amdhsa_private_segment_fixed_size 0
		.amdhsa_kernarg_size 3416
		.amdhsa_user_sgpr_count 2
		.amdhsa_user_sgpr_dispatch_ptr 0
		.amdhsa_user_sgpr_queue_ptr 0
		.amdhsa_user_sgpr_kernarg_segment_ptr 1
		.amdhsa_user_sgpr_dispatch_id 0
		.amdhsa_user_sgpr_private_segment_size 0
		.amdhsa_wavefront_size32 1
		.amdhsa_uses_dynamic_stack 0
		.amdhsa_enable_private_segment 0
		.amdhsa_system_sgpr_workgroup_id_x 1
		.amdhsa_system_sgpr_workgroup_id_y 0
		.amdhsa_system_sgpr_workgroup_id_z 0
		.amdhsa_system_sgpr_workgroup_info 0
		.amdhsa_system_vgpr_workitem_id 0
		.amdhsa_next_free_vgpr 26
		.amdhsa_next_free_sgpr 34
		.amdhsa_reserve_vcc 1
		.amdhsa_float_round_mode_32 0
		.amdhsa_float_round_mode_16_64 0
		.amdhsa_float_denorm_mode_32 3
		.amdhsa_float_denorm_mode_16_64 3
		.amdhsa_fp16_overflow 0
		.amdhsa_workgroup_processor_mode 1
		.amdhsa_memory_ordered 1
		.amdhsa_forward_progress 1
		.amdhsa_inst_pref_size 36
		.amdhsa_round_robin_scheduling 0
		.amdhsa_exception_fp_ieee_invalid_op 0
		.amdhsa_exception_fp_denorm_src 0
		.amdhsa_exception_fp_ieee_div_zero 0
		.amdhsa_exception_fp_ieee_overflow 0
		.amdhsa_exception_fp_ieee_underflow 0
		.amdhsa_exception_fp_ieee_inexact 0
		.amdhsa_exception_int_div_zero 0
	.end_amdhsa_kernel
	.section	.text._ZN2at6native12_GLOBAL__N_125multi_tensor_apply_kernelINS1_18TensorListMetadataILi2EEENS1_21BinaryOpScalarFunctorIlLi2ELi1ELi1EEEJNS1_13power_functorIlEElEEEvT_T0_DpT1_,"axG",@progbits,_ZN2at6native12_GLOBAL__N_125multi_tensor_apply_kernelINS1_18TensorListMetadataILi2EEENS1_21BinaryOpScalarFunctorIlLi2ELi1ELi1EEEJNS1_13power_functorIlEElEEEvT_T0_DpT1_,comdat
.Lfunc_end64:
	.size	_ZN2at6native12_GLOBAL__N_125multi_tensor_apply_kernelINS1_18TensorListMetadataILi2EEENS1_21BinaryOpScalarFunctorIlLi2ELi1ELi1EEEJNS1_13power_functorIlEElEEEvT_T0_DpT1_, .Lfunc_end64-_ZN2at6native12_GLOBAL__N_125multi_tensor_apply_kernelINS1_18TensorListMetadataILi2EEENS1_21BinaryOpScalarFunctorIlLi2ELi1ELi1EEEJNS1_13power_functorIlEElEEEvT_T0_DpT1_
                                        ; -- End function
	.set _ZN2at6native12_GLOBAL__N_125multi_tensor_apply_kernelINS1_18TensorListMetadataILi2EEENS1_21BinaryOpScalarFunctorIlLi2ELi1ELi1EEEJNS1_13power_functorIlEElEEEvT_T0_DpT1_.num_vgpr, 26
	.set _ZN2at6native12_GLOBAL__N_125multi_tensor_apply_kernelINS1_18TensorListMetadataILi2EEENS1_21BinaryOpScalarFunctorIlLi2ELi1ELi1EEEJNS1_13power_functorIlEElEEEvT_T0_DpT1_.num_agpr, 0
	.set _ZN2at6native12_GLOBAL__N_125multi_tensor_apply_kernelINS1_18TensorListMetadataILi2EEENS1_21BinaryOpScalarFunctorIlLi2ELi1ELi1EEEJNS1_13power_functorIlEElEEEvT_T0_DpT1_.numbered_sgpr, 34
	.set _ZN2at6native12_GLOBAL__N_125multi_tensor_apply_kernelINS1_18TensorListMetadataILi2EEENS1_21BinaryOpScalarFunctorIlLi2ELi1ELi1EEEJNS1_13power_functorIlEElEEEvT_T0_DpT1_.num_named_barrier, 0
	.set _ZN2at6native12_GLOBAL__N_125multi_tensor_apply_kernelINS1_18TensorListMetadataILi2EEENS1_21BinaryOpScalarFunctorIlLi2ELi1ELi1EEEJNS1_13power_functorIlEElEEEvT_T0_DpT1_.private_seg_size, 0
	.set _ZN2at6native12_GLOBAL__N_125multi_tensor_apply_kernelINS1_18TensorListMetadataILi2EEENS1_21BinaryOpScalarFunctorIlLi2ELi1ELi1EEEJNS1_13power_functorIlEElEEEvT_T0_DpT1_.uses_vcc, 1
	.set _ZN2at6native12_GLOBAL__N_125multi_tensor_apply_kernelINS1_18TensorListMetadataILi2EEENS1_21BinaryOpScalarFunctorIlLi2ELi1ELi1EEEJNS1_13power_functorIlEElEEEvT_T0_DpT1_.uses_flat_scratch, 0
	.set _ZN2at6native12_GLOBAL__N_125multi_tensor_apply_kernelINS1_18TensorListMetadataILi2EEENS1_21BinaryOpScalarFunctorIlLi2ELi1ELi1EEEJNS1_13power_functorIlEElEEEvT_T0_DpT1_.has_dyn_sized_stack, 0
	.set _ZN2at6native12_GLOBAL__N_125multi_tensor_apply_kernelINS1_18TensorListMetadataILi2EEENS1_21BinaryOpScalarFunctorIlLi2ELi1ELi1EEEJNS1_13power_functorIlEElEEEvT_T0_DpT1_.has_recursion, 0
	.set _ZN2at6native12_GLOBAL__N_125multi_tensor_apply_kernelINS1_18TensorListMetadataILi2EEENS1_21BinaryOpScalarFunctorIlLi2ELi1ELi1EEEJNS1_13power_functorIlEElEEEvT_T0_DpT1_.has_indirect_call, 0
	.section	.AMDGPU.csdata,"",@progbits
; Kernel info:
; codeLenInByte = 4492
; TotalNumSgprs: 36
; NumVgprs: 26
; ScratchSize: 0
; MemoryBound: 1
; FloatMode: 240
; IeeeMode: 1
; LDSByteSize: 0 bytes/workgroup (compile time only)
; SGPRBlocks: 0
; VGPRBlocks: 3
; NumSGPRsForWavesPerEU: 36
; NumVGPRsForWavesPerEU: 26
; Occupancy: 16
; WaveLimiterHint : 0
; COMPUTE_PGM_RSRC2:SCRATCH_EN: 0
; COMPUTE_PGM_RSRC2:USER_SGPR: 2
; COMPUTE_PGM_RSRC2:TRAP_HANDLER: 0
; COMPUTE_PGM_RSRC2:TGID_X_EN: 1
; COMPUTE_PGM_RSRC2:TGID_Y_EN: 0
; COMPUTE_PGM_RSRC2:TGID_Z_EN: 0
; COMPUTE_PGM_RSRC2:TIDIG_COMP_CNT: 0
	.section	.text._ZN2at6native12_GLOBAL__N_125multi_tensor_apply_kernelINS1_18TensorListMetadataILi2EEENS1_21BinaryOpScalarFunctorIsLi2ELi1ELi1EEEJNS1_13power_functorIsEEsEEEvT_T0_DpT1_,"axG",@progbits,_ZN2at6native12_GLOBAL__N_125multi_tensor_apply_kernelINS1_18TensorListMetadataILi2EEENS1_21BinaryOpScalarFunctorIsLi2ELi1ELi1EEEJNS1_13power_functorIsEEsEEEvT_T0_DpT1_,comdat
	.globl	_ZN2at6native12_GLOBAL__N_125multi_tensor_apply_kernelINS1_18TensorListMetadataILi2EEENS1_21BinaryOpScalarFunctorIsLi2ELi1ELi1EEEJNS1_13power_functorIsEEsEEEvT_T0_DpT1_ ; -- Begin function _ZN2at6native12_GLOBAL__N_125multi_tensor_apply_kernelINS1_18TensorListMetadataILi2EEENS1_21BinaryOpScalarFunctorIsLi2ELi1ELi1EEEJNS1_13power_functorIsEEsEEEvT_T0_DpT1_
	.p2align	8
	.type	_ZN2at6native12_GLOBAL__N_125multi_tensor_apply_kernelINS1_18TensorListMetadataILi2EEENS1_21BinaryOpScalarFunctorIsLi2ELi1ELi1EEEJNS1_13power_functorIsEEsEEEvT_T0_DpT1_,@function
_ZN2at6native12_GLOBAL__N_125multi_tensor_apply_kernelINS1_18TensorListMetadataILi2EEENS1_21BinaryOpScalarFunctorIsLi2ELi1ELi1EEEJNS1_13power_functorIsEEsEEEvT_T0_DpT1_: ; @_ZN2at6native12_GLOBAL__N_125multi_tensor_apply_kernelINS1_18TensorListMetadataILi2EEENS1_21BinaryOpScalarFunctorIsLi2ELi1ELi1EEEJNS1_13power_functorIsEEsEEEvT_T0_DpT1_
; %bb.0:
	s_load_u8 s8, s[0:1], ttmp9 offset:0x600
	s_mov_b32 s2, ttmp9
	s_mov_b32 s3, 0
	s_delay_alu instid0(SALU_CYCLE_1)
	s_mul_u64 s[4:5], s[2:3], 3
	s_add_nc_u64 s[6:7], s[0:1], s[2:3]
	s_mov_b32 s15, s3
	s_add_nc_u64 s[4:5], s[6:7], s[4:5]
	s_load_b32 s4, s[4:5], 0x740
	s_wait_kmcnt 0x0
	s_lshl_b32 s2, s8, 3
	s_clause 0x3
	s_load_b32 s6, s[0:1], 0xc48
	s_load_b64 s[8:9], s[0:1], s2 offset:0x0
	s_load_b64 s[10:11], s[0:1], s2 offset:0x200
	;; [unrolled: 1-line block ×3, first 2 shown]
	s_ashr_i32 s5, s4, 31
	s_delay_alu instid0(SALU_CYCLE_1)
	s_lshl_b64 s[16:17], s[4:5], 17
	s_lshl_b64 s[4:5], s[4:5], 16
	s_wait_kmcnt 0x0
	s_lshr_b32 s7, s6, 16
	s_add_nc_u64 s[8:9], s[8:9], s[16:17]
	s_add_nc_u64 s[10:11], s[10:11], s[16:17]
	s_and_b32 s16, s12, 3
	s_and_b32 s14, s10, 7
	s_mov_b32 s17, s3
	s_and_b32 s2, s8, 7
	s_or_b64 s[14:15], s[14:15], s[16:17]
	s_sub_nc_u64 s[12:13], s[12:13], s[4:5]
	s_or_b64 s[2:3], s[14:15], s[2:3]
	s_delay_alu instid0(SALU_CYCLE_1)
	s_cmp_eq_u64 s[2:3], 0
	s_mov_b32 s2, -1
	s_cbranch_scc1 .LBB65_81
; %bb.1:
	v_cmp_lt_i64_e64 s2, s[12:13], 1
	s_and_b32 vcc_lo, exec_lo, s2
	s_cbranch_vccnz .LBB65_80
; %bb.2:
	s_load_b32 s2, s[0:1], 0xc5c
	v_cmp_gt_i64_e64 s3, 0x10000, s[12:13]
	v_cmp_gt_u64_e64 s4, 0x10000, s[12:13]
	s_sext_i32_i16 s5, s7
	s_mov_b32 s19, 0
	s_mov_b64 s[20:21], 0
	s_and_b32 s3, s3, exec_lo
	s_cselect_b32 s15, s13, 0
	s_cselect_b32 s14, s12, 0x10000
	s_wait_kmcnt 0x0
	s_and_b32 s22, s2, 0xffff
	s_and_b32 s2, s4, exec_lo
	s_cselect_b32 s17, s13, 0
	s_cselect_b32 s16, s12, 0x10000
	s_lshl_b32 s23, s22, 1
	s_cmp_gt_i32 s5, -1
	s_mul_i32 s25, s22, 3
	s_cselect_b32 s24, -1, 0
	s_and_b32 s2, 0xffff, s7
	s_delay_alu instid0(SALU_CYCLE_1)
	s_cmp_lg_u32 s2, 0
	s_cselect_b32 s26, -1, 0
	s_bitcmp0_b32 s7, 0
	v_cndmask_b32_e64 v9, 0, 1, s26
	s_cselect_b32 s27, 1, 0xffff
	s_lshl_b32 s18, s22, 2
	s_branch .LBB65_4
.LBB65_3:                               ;   in Loop: Header=BB65_4 Depth=1
	s_wait_alu 0xfffe
	s_or_b32 exec_lo, exec_lo, s2
	s_add_nc_u64 s[20:21], s[20:21], s[18:19]
	s_wait_alu 0xfffe
	v_cmp_ge_i64_e64 s2, s[20:21], s[14:15]
	s_and_b32 vcc_lo, exec_lo, s2
	s_wait_alu 0xfffe
	s_cbranch_vccnz .LBB65_80
.LBB65_4:                               ; =>This Loop Header: Depth=1
                                        ;     Child Loop BB65_15 Depth 2
                                        ;     Child Loop BB65_20 Depth 2
	;; [unrolled: 1-line block ×4, first 2 shown]
	v_add_co_u32 v7, s2, s20, v0
	s_wait_alu 0xf1ff
	v_add_co_ci_u32_e64 v8, null, s21, 0, s2
	s_wait_loadcnt 0x0
	v_mov_b32_e32 v13, 0
	s_delay_alu instid0(VALU_DEP_2)
	v_cmp_gt_u64_e64 s2, s[16:17], v[7:8]
	v_lshlrev_b64_e32 v[1:2], 1, v[7:8]
	s_and_saveexec_b32 s3, s2
	s_cbranch_execz .LBB65_6
; %bb.5:                                ;   in Loop: Header=BB65_4 Depth=1
	s_delay_alu instid0(VALU_DEP_1) | instskip(SKIP_1) | instid1(VALU_DEP_2)
	v_add_co_u32 v3, vcc_lo, s8, v1
	s_wait_alu 0xfffd
	v_add_co_ci_u32_e64 v4, null, s9, v2, vcc_lo
	global_load_u16 v13, v[3:4], off
.LBB65_6:                               ;   in Loop: Header=BB65_4 Depth=1
	s_wait_alu 0xfffe
	s_or_b32 exec_lo, exec_lo, s3
	v_add_co_u32 v3, vcc_lo, v7, s22
	s_wait_alu 0xfffd
	v_add_co_ci_u32_e64 v4, null, 0, v8, vcc_lo
	v_mov_b32_e32 v12, 0
	v_mov_b32_e32 v14, 0
	s_delay_alu instid0(VALU_DEP_3)
	v_cmp_gt_u64_e64 s3, s[16:17], v[3:4]
	v_lshlrev_b64_e32 v[3:4], 1, v[3:4]
	s_and_saveexec_b32 s4, s3
	s_cbranch_execz .LBB65_8
; %bb.7:                                ;   in Loop: Header=BB65_4 Depth=1
	s_delay_alu instid0(VALU_DEP_1) | instskip(SKIP_1) | instid1(VALU_DEP_2)
	v_add_co_u32 v5, vcc_lo, s8, v3
	s_wait_alu 0xfffd
	v_add_co_ci_u32_e64 v6, null, s9, v4, vcc_lo
	global_load_u16 v14, v[5:6], off
.LBB65_8:                               ;   in Loop: Header=BB65_4 Depth=1
	s_or_b32 exec_lo, exec_lo, s4
	v_add_co_u32 v5, vcc_lo, v7, s23
	s_wait_alu 0xfffd
	v_add_co_ci_u32_e64 v6, null, 0, v8, vcc_lo
	s_delay_alu instid0(VALU_DEP_1)
	v_cmp_gt_u64_e64 s4, s[16:17], v[5:6]
	v_lshlrev_b64_e32 v[5:6], 1, v[5:6]
	s_and_saveexec_b32 s5, s4
	s_cbranch_execz .LBB65_10
; %bb.9:                                ;   in Loop: Header=BB65_4 Depth=1
	s_delay_alu instid0(VALU_DEP_1) | instskip(SKIP_1) | instid1(VALU_DEP_2)
	v_add_co_u32 v10, vcc_lo, s8, v5
	s_wait_alu 0xfffd
	v_add_co_ci_u32_e64 v11, null, s9, v6, vcc_lo
	global_load_u16 v12, v[10:11], off
.LBB65_10:                              ;   in Loop: Header=BB65_4 Depth=1
	s_or_b32 exec_lo, exec_lo, s5
	v_add_co_u32 v7, vcc_lo, v7, s25
	s_wait_alu 0xfffd
	v_add_co_ci_u32_e64 v8, null, 0, v8, vcc_lo
	v_mov_b32_e32 v10, 0
	s_delay_alu instid0(VALU_DEP_2)
	v_cmp_gt_u64_e64 s5, s[16:17], v[7:8]
	v_lshlrev_b64_e32 v[7:8], 1, v[7:8]
	s_and_saveexec_b32 s6, s5
	s_cbranch_execz .LBB65_12
; %bb.11:                               ;   in Loop: Header=BB65_4 Depth=1
	s_delay_alu instid0(VALU_DEP_1) | instskip(SKIP_1) | instid1(VALU_DEP_2)
	v_add_co_u32 v10, vcc_lo, s8, v7
	s_wait_alu 0xfffd
	v_add_co_ci_u32_e64 v11, null, s9, v8, vcc_lo
	global_load_u16 v10, v[10:11], off
.LBB65_12:                              ;   in Loop: Header=BB65_4 Depth=1
	s_or_b32 exec_lo, exec_lo, s6
	v_cmp_ne_u32_e64 s6, 1, v9
	s_and_b32 vcc_lo, exec_lo, s24
	s_mov_b32 s28, -1
                                        ; implicit-def: $vgpr11
	s_wait_alu 0xfffe
	s_cbranch_vccz .LBB65_36
; %bb.13:                               ;   in Loop: Header=BB65_4 Depth=1
	v_mov_b32_e32 v11, 1
	s_and_b32 vcc_lo, exec_lo, s6
	s_wait_alu 0xfffe
	s_cbranch_vccnz .LBB65_16
; %bb.14:                               ;   in Loop: Header=BB65_4 Depth=1
	s_wait_loadcnt 0x0
	v_mov_b32_e32 v15, v13
	s_mov_b32 s6, s7
.LBB65_15:                              ;   Parent Loop BB65_4 Depth=1
                                        ; =>  This Inner Loop Header: Depth=2
	s_delay_alu instid0(SALU_CYCLE_1)
	s_bitcmp1_b32 s6, 0
	s_sext_i32_i16 s28, s6
	s_cselect_b32 vcc_lo, -1, 0
	s_and_b32 s6, 0xffff, s6
	s_wait_alu 0xfffe
	v_cndmask_b32_e32 v16, 1, v15, vcc_lo
	v_mul_lo_u16 v15, v15, v15
	s_lshr_b32 s6, s6, 1
	s_cmp_gt_i32 s28, 1
	s_delay_alu instid0(VALU_DEP_2)
	v_mul_lo_u16 v11, v16, v11
	s_cbranch_scc1 .LBB65_15
.LBB65_16:                              ;   in Loop: Header=BB65_4 Depth=1
	s_cbranch_execz .LBB65_37
.LBB65_17:                              ;   in Loop: Header=BB65_4 Depth=1
	s_and_not1_b32 vcc_lo, exec_lo, s24
	s_mov_b32 s6, -1
                                        ; implicit-def: $vgpr13
	s_wait_alu 0xfffe
	s_cbranch_vccnz .LBB65_46
.LBB65_18:                              ;   in Loop: Header=BB65_4 Depth=1
	s_wait_loadcnt 0x0
	v_mov_b32_e32 v13, 1
	s_and_not1_b32 vcc_lo, exec_lo, s26
	s_wait_alu 0xfffe
	s_cbranch_vccnz .LBB65_21
; %bb.19:                               ;   in Loop: Header=BB65_4 Depth=1
	v_mov_b32_e32 v15, v14
	s_mov_b32 s6, s7
.LBB65_20:                              ;   Parent Loop BB65_4 Depth=1
                                        ; =>  This Inner Loop Header: Depth=2
	s_delay_alu instid0(SALU_CYCLE_1)
	s_bitcmp1_b32 s6, 0
	s_sext_i32_i16 s28, s6
	s_cselect_b32 vcc_lo, -1, 0
	s_and_b32 s6, 0xffff, s6
	s_wait_alu 0xfffe
	v_cndmask_b32_e32 v16, 1, v15, vcc_lo
	v_mul_lo_u16 v15, v15, v15
	s_lshr_b32 s6, s6, 1
	s_cmp_lt_i32 s28, 2
	s_delay_alu instid0(VALU_DEP_2)
	v_mul_lo_u16 v13, v16, v13
	s_cbranch_scc0 .LBB65_20
.LBB65_21:                              ;   in Loop: Header=BB65_4 Depth=1
	s_cbranch_execz .LBB65_47
.LBB65_22:                              ;   in Loop: Header=BB65_4 Depth=1
	s_and_not1_b32 vcc_lo, exec_lo, s24
	s_mov_b32 s6, -1
                                        ; implicit-def: $vgpr14
	s_wait_alu 0xfffe
	s_cbranch_vccnz .LBB65_56
.LBB65_23:                              ;   in Loop: Header=BB65_4 Depth=1
	s_wait_loadcnt 0x0
	v_mov_b32_e32 v14, 1
	s_and_not1_b32 vcc_lo, exec_lo, s26
	s_wait_alu 0xfffe
	s_cbranch_vccnz .LBB65_26
; %bb.24:                               ;   in Loop: Header=BB65_4 Depth=1
	v_mov_b32_e32 v15, v12
	s_mov_b32 s6, s7
.LBB65_25:                              ;   Parent Loop BB65_4 Depth=1
                                        ; =>  This Inner Loop Header: Depth=2
	s_delay_alu instid0(SALU_CYCLE_1)
	s_bitcmp1_b32 s6, 0
	s_sext_i32_i16 s28, s6
	s_cselect_b32 vcc_lo, -1, 0
	s_and_b32 s6, 0xffff, s6
	s_wait_alu 0xfffe
	v_cndmask_b32_e32 v16, 1, v15, vcc_lo
	v_mul_lo_u16 v15, v15, v15
	s_lshr_b32 s6, s6, 1
	s_cmp_lt_i32 s28, 2
	s_delay_alu instid0(VALU_DEP_2)
	v_mul_lo_u16 v14, v16, v14
	s_cbranch_scc0 .LBB65_25
.LBB65_26:                              ;   in Loop: Header=BB65_4 Depth=1
	s_cbranch_execz .LBB65_57
.LBB65_27:                              ;   in Loop: Header=BB65_4 Depth=1
	s_and_not1_b32 vcc_lo, exec_lo, s24
	s_mov_b32 s6, -1
                                        ; implicit-def: $vgpr12
	s_wait_alu 0xfffe
	s_cbranch_vccnz .LBB65_66
.LBB65_28:                              ;   in Loop: Header=BB65_4 Depth=1
	s_wait_loadcnt 0x0
	v_mov_b32_e32 v12, 1
	s_and_not1_b32 vcc_lo, exec_lo, s26
	s_wait_alu 0xfffe
	s_cbranch_vccnz .LBB65_31
; %bb.29:                               ;   in Loop: Header=BB65_4 Depth=1
	v_mov_b32_e32 v15, v10
	s_mov_b32 s6, s7
.LBB65_30:                              ;   Parent Loop BB65_4 Depth=1
                                        ; =>  This Inner Loop Header: Depth=2
	s_delay_alu instid0(SALU_CYCLE_1)
	s_bitcmp1_b32 s6, 0
	s_sext_i32_i16 s28, s6
	s_cselect_b32 vcc_lo, -1, 0
	s_and_b32 s6, 0xffff, s6
	s_wait_alu 0xfffe
	v_cndmask_b32_e32 v16, 1, v15, vcc_lo
	v_mul_lo_u16 v15, v15, v15
	s_lshr_b32 s6, s6, 1
	s_cmp_lt_i32 s28, 2
	s_delay_alu instid0(VALU_DEP_2)
	v_mul_lo_u16 v12, v16, v12
	s_cbranch_scc0 .LBB65_30
.LBB65_31:                              ;   in Loop: Header=BB65_4 Depth=1
	s_cbranch_execz .LBB65_67
.LBB65_32:                              ;   in Loop: Header=BB65_4 Depth=1
	s_and_saveexec_b32 s6, s2
	s_delay_alu instid0(SALU_CYCLE_1)
	s_xor_b32 s2, exec_lo, s6
	s_cbranch_execz .LBB65_76
.LBB65_33:                              ;   in Loop: Header=BB65_4 Depth=1
	v_add_co_u32 v1, vcc_lo, s10, v1
	s_wait_alu 0xfffd
	v_add_co_ci_u32_e64 v2, null, s11, v2, vcc_lo
	global_store_b16 v[1:2], v11, off
	s_wait_alu 0xfffe
	s_or_b32 exec_lo, exec_lo, s2
	s_and_saveexec_b32 s2, s3
	s_cbranch_execnz .LBB65_77
.LBB65_34:                              ;   in Loop: Header=BB65_4 Depth=1
	s_wait_alu 0xfffe
	s_or_b32 exec_lo, exec_lo, s2
	s_and_saveexec_b32 s2, s4
	s_cbranch_execz .LBB65_78
.LBB65_35:                              ;   in Loop: Header=BB65_4 Depth=1
	v_add_co_u32 v1, vcc_lo, s10, v5
	s_wait_alu 0xfffd
	v_add_co_ci_u32_e64 v2, null, s11, v6, vcc_lo
	s_wait_loadcnt 0x0
	global_store_b16 v[1:2], v14, off
	s_wait_alu 0xfffe
	s_or_b32 exec_lo, exec_lo, s2
	s_and_saveexec_b32 s2, s5
	s_cbranch_execz .LBB65_3
	s_branch .LBB65_79
.LBB65_36:                              ;   in Loop: Header=BB65_4 Depth=1
	s_and_not1_b32 vcc_lo, exec_lo, s28
	s_wait_alu 0xfffe
	s_cbranch_vccnz .LBB65_17
.LBB65_37:                              ;   in Loop: Header=BB65_4 Depth=1
	s_mov_b32 s6, 0
	s_mov_b32 s28, 0
	s_mov_b32 s29, exec_lo
	s_wait_loadcnt 0x0
	v_cmpx_lt_i16_e32 0, v13
	s_xor_b32 s29, exec_lo, s29
	s_cbranch_execz .LBB65_41
; %bb.38:                               ;   in Loop: Header=BB65_4 Depth=1
	v_cmp_ne_u16_e32 vcc_lo, 1, v13
	s_and_b32 s28, vcc_lo, exec_lo
	s_and_not1_saveexec_b32 s29, s29
	s_cbranch_execnz .LBB65_42
.LBB65_39:                              ;   in Loop: Header=BB65_4 Depth=1
	s_or_b32 exec_lo, exec_lo, s29
	s_and_saveexec_b32 s29, s28
	s_delay_alu instid0(SALU_CYCLE_1)
	s_xor_b32 s28, exec_lo, s29
	s_cbranch_execz .LBB65_43
.LBB65_40:                              ;   in Loop: Header=BB65_4 Depth=1
	v_mov_b32_e32 v13, 0
	s_and_not1_b32 s6, s6, exec_lo
	s_or_b32 exec_lo, exec_lo, s28
	s_and_saveexec_b32 s28, s6
	s_cbranch_execnz .LBB65_44
	s_branch .LBB65_45
.LBB65_41:                              ;   in Loop: Header=BB65_4 Depth=1
	s_and_not1_saveexec_b32 s29, s29
	s_cbranch_execz .LBB65_39
.LBB65_42:                              ;   in Loop: Header=BB65_4 Depth=1
	v_cmp_ne_u16_e32 vcc_lo, -1, v13
	s_and_not1_b32 s28, s28, exec_lo
	s_mov_b32 s6, exec_lo
	s_and_b32 s30, vcc_lo, exec_lo
	s_delay_alu instid0(SALU_CYCLE_1) | instskip(SKIP_2) | instid1(SALU_CYCLE_1)
	s_or_b32 s28, s28, s30
	s_or_b32 exec_lo, exec_lo, s29
	s_and_saveexec_b32 s29, s28
	s_xor_b32 s28, exec_lo, s29
	s_cbranch_execnz .LBB65_40
.LBB65_43:                              ;   in Loop: Header=BB65_4 Depth=1
	s_or_b32 exec_lo, exec_lo, s28
	s_and_saveexec_b32 s28, s6
.LBB65_44:                              ;   in Loop: Header=BB65_4 Depth=1
	v_mov_b32_e32 v13, s27
.LBB65_45:                              ;   in Loop: Header=BB65_4 Depth=1
	s_or_b32 exec_lo, exec_lo, s28
	s_delay_alu instid0(VALU_DEP_1)
	v_mov_b32_e32 v11, v13
	s_and_not1_b32 vcc_lo, exec_lo, s24
	s_mov_b32 s6, -1
                                        ; implicit-def: $vgpr13
	s_wait_alu 0xfffe
	s_cbranch_vccz .LBB65_18
.LBB65_46:                              ;   in Loop: Header=BB65_4 Depth=1
	s_and_not1_b32 vcc_lo, exec_lo, s6
	s_wait_alu 0xfffe
	s_cbranch_vccnz .LBB65_22
.LBB65_47:                              ;   in Loop: Header=BB65_4 Depth=1
	s_mov_b32 s6, 0
	s_mov_b32 s28, 0
	s_mov_b32 s29, exec_lo
	s_wait_loadcnt 0x0
	v_cmpx_lt_i16_e32 0, v14
	s_xor_b32 s29, exec_lo, s29
	s_cbranch_execz .LBB65_51
; %bb.48:                               ;   in Loop: Header=BB65_4 Depth=1
	v_cmp_ne_u16_e32 vcc_lo, 1, v14
	s_and_b32 s28, vcc_lo, exec_lo
	s_and_not1_saveexec_b32 s29, s29
	s_cbranch_execnz .LBB65_52
.LBB65_49:                              ;   in Loop: Header=BB65_4 Depth=1
	s_or_b32 exec_lo, exec_lo, s29
	s_and_saveexec_b32 s29, s28
	s_delay_alu instid0(SALU_CYCLE_1)
	s_xor_b32 s28, exec_lo, s29
	s_cbranch_execz .LBB65_53
.LBB65_50:                              ;   in Loop: Header=BB65_4 Depth=1
	v_mov_b32_e32 v14, 0
	s_and_not1_b32 s6, s6, exec_lo
	s_or_b32 exec_lo, exec_lo, s28
	s_and_saveexec_b32 s28, s6
	s_cbranch_execnz .LBB65_54
	s_branch .LBB65_55
.LBB65_51:                              ;   in Loop: Header=BB65_4 Depth=1
	s_and_not1_saveexec_b32 s29, s29
	s_cbranch_execz .LBB65_49
.LBB65_52:                              ;   in Loop: Header=BB65_4 Depth=1
	v_cmp_ne_u16_e32 vcc_lo, -1, v14
	s_and_not1_b32 s28, s28, exec_lo
	s_mov_b32 s6, exec_lo
	s_and_b32 s30, vcc_lo, exec_lo
	s_delay_alu instid0(SALU_CYCLE_1) | instskip(SKIP_2) | instid1(SALU_CYCLE_1)
	s_or_b32 s28, s28, s30
	s_or_b32 exec_lo, exec_lo, s29
	s_and_saveexec_b32 s29, s28
	s_xor_b32 s28, exec_lo, s29
	s_cbranch_execnz .LBB65_50
.LBB65_53:                              ;   in Loop: Header=BB65_4 Depth=1
	s_or_b32 exec_lo, exec_lo, s28
	s_and_saveexec_b32 s28, s6
.LBB65_54:                              ;   in Loop: Header=BB65_4 Depth=1
	v_mov_b32_e32 v14, s27
.LBB65_55:                              ;   in Loop: Header=BB65_4 Depth=1
	s_or_b32 exec_lo, exec_lo, s28
	s_delay_alu instid0(VALU_DEP_1)
	v_mov_b32_e32 v13, v14
	s_and_not1_b32 vcc_lo, exec_lo, s24
	s_mov_b32 s6, -1
                                        ; implicit-def: $vgpr14
	s_wait_alu 0xfffe
	s_cbranch_vccz .LBB65_23
.LBB65_56:                              ;   in Loop: Header=BB65_4 Depth=1
	s_and_not1_b32 vcc_lo, exec_lo, s6
	s_wait_alu 0xfffe
	s_cbranch_vccnz .LBB65_27
.LBB65_57:                              ;   in Loop: Header=BB65_4 Depth=1
	s_mov_b32 s6, 0
	s_mov_b32 s28, 0
	s_mov_b32 s29, exec_lo
	s_wait_loadcnt 0x0
	v_cmpx_lt_i16_e32 0, v12
	s_xor_b32 s29, exec_lo, s29
	s_cbranch_execz .LBB65_61
; %bb.58:                               ;   in Loop: Header=BB65_4 Depth=1
	v_cmp_ne_u16_e32 vcc_lo, 1, v12
	s_and_b32 s28, vcc_lo, exec_lo
	s_and_not1_saveexec_b32 s29, s29
	s_cbranch_execnz .LBB65_62
.LBB65_59:                              ;   in Loop: Header=BB65_4 Depth=1
	s_or_b32 exec_lo, exec_lo, s29
	s_and_saveexec_b32 s29, s28
	s_delay_alu instid0(SALU_CYCLE_1)
	s_xor_b32 s28, exec_lo, s29
	s_cbranch_execz .LBB65_63
.LBB65_60:                              ;   in Loop: Header=BB65_4 Depth=1
	v_mov_b32_e32 v12, 0
	s_and_not1_b32 s6, s6, exec_lo
	s_or_b32 exec_lo, exec_lo, s28
	s_and_saveexec_b32 s28, s6
	s_cbranch_execnz .LBB65_64
	s_branch .LBB65_65
.LBB65_61:                              ;   in Loop: Header=BB65_4 Depth=1
	s_and_not1_saveexec_b32 s29, s29
	s_cbranch_execz .LBB65_59
.LBB65_62:                              ;   in Loop: Header=BB65_4 Depth=1
	v_cmp_ne_u16_e32 vcc_lo, -1, v12
	s_and_not1_b32 s28, s28, exec_lo
	s_mov_b32 s6, exec_lo
	s_and_b32 s30, vcc_lo, exec_lo
	s_delay_alu instid0(SALU_CYCLE_1) | instskip(SKIP_2) | instid1(SALU_CYCLE_1)
	s_or_b32 s28, s28, s30
	s_or_b32 exec_lo, exec_lo, s29
	s_and_saveexec_b32 s29, s28
	s_xor_b32 s28, exec_lo, s29
	s_cbranch_execnz .LBB65_60
.LBB65_63:                              ;   in Loop: Header=BB65_4 Depth=1
	s_or_b32 exec_lo, exec_lo, s28
	s_and_saveexec_b32 s28, s6
.LBB65_64:                              ;   in Loop: Header=BB65_4 Depth=1
	v_mov_b32_e32 v12, s27
.LBB65_65:                              ;   in Loop: Header=BB65_4 Depth=1
	s_or_b32 exec_lo, exec_lo, s28
	s_delay_alu instid0(VALU_DEP_1)
	v_mov_b32_e32 v14, v12
	s_and_not1_b32 vcc_lo, exec_lo, s24
	s_mov_b32 s6, -1
                                        ; implicit-def: $vgpr12
	s_wait_alu 0xfffe
	s_cbranch_vccz .LBB65_28
.LBB65_66:                              ;   in Loop: Header=BB65_4 Depth=1
	s_and_not1_b32 vcc_lo, exec_lo, s6
	s_wait_alu 0xfffe
	s_cbranch_vccnz .LBB65_32
.LBB65_67:                              ;   in Loop: Header=BB65_4 Depth=1
	s_mov_b32 s6, 0
	s_mov_b32 s28, 0
	s_mov_b32 s29, exec_lo
	s_wait_loadcnt 0x0
	v_cmpx_lt_i16_e32 0, v10
	s_xor_b32 s29, exec_lo, s29
	s_cbranch_execz .LBB65_71
; %bb.68:                               ;   in Loop: Header=BB65_4 Depth=1
	v_cmp_ne_u16_e32 vcc_lo, 1, v10
	s_and_b32 s28, vcc_lo, exec_lo
	s_and_not1_saveexec_b32 s29, s29
	s_cbranch_execnz .LBB65_72
.LBB65_69:                              ;   in Loop: Header=BB65_4 Depth=1
	s_or_b32 exec_lo, exec_lo, s29
	s_and_saveexec_b32 s29, s28
	s_delay_alu instid0(SALU_CYCLE_1)
	s_xor_b32 s28, exec_lo, s29
	s_cbranch_execz .LBB65_73
.LBB65_70:                              ;   in Loop: Header=BB65_4 Depth=1
	v_mov_b32_e32 v10, 0
	s_and_not1_b32 s6, s6, exec_lo
	s_or_b32 exec_lo, exec_lo, s28
	s_and_saveexec_b32 s28, s6
	s_cbranch_execnz .LBB65_74
	s_branch .LBB65_75
.LBB65_71:                              ;   in Loop: Header=BB65_4 Depth=1
	s_and_not1_saveexec_b32 s29, s29
	s_cbranch_execz .LBB65_69
.LBB65_72:                              ;   in Loop: Header=BB65_4 Depth=1
	v_cmp_ne_u16_e32 vcc_lo, -1, v10
	s_and_not1_b32 s28, s28, exec_lo
	s_mov_b32 s6, exec_lo
	s_and_b32 s30, vcc_lo, exec_lo
	s_delay_alu instid0(SALU_CYCLE_1) | instskip(SKIP_2) | instid1(SALU_CYCLE_1)
	s_or_b32 s28, s28, s30
	s_or_b32 exec_lo, exec_lo, s29
	s_and_saveexec_b32 s29, s28
	s_xor_b32 s28, exec_lo, s29
	s_cbranch_execnz .LBB65_70
.LBB65_73:                              ;   in Loop: Header=BB65_4 Depth=1
	s_or_b32 exec_lo, exec_lo, s28
	s_and_saveexec_b32 s28, s6
.LBB65_74:                              ;   in Loop: Header=BB65_4 Depth=1
	v_mov_b32_e32 v10, s27
.LBB65_75:                              ;   in Loop: Header=BB65_4 Depth=1
	s_or_b32 exec_lo, exec_lo, s28
	s_delay_alu instid0(VALU_DEP_1) | instskip(SKIP_1) | instid1(SALU_CYCLE_1)
	v_mov_b32_e32 v12, v10
	s_and_saveexec_b32 s6, s2
	s_xor_b32 s2, exec_lo, s6
	s_cbranch_execnz .LBB65_33
.LBB65_76:                              ;   in Loop: Header=BB65_4 Depth=1
	s_wait_alu 0xfffe
	s_or_b32 exec_lo, exec_lo, s2
	s_and_saveexec_b32 s2, s3
	s_cbranch_execz .LBB65_34
.LBB65_77:                              ;   in Loop: Header=BB65_4 Depth=1
	v_add_co_u32 v1, vcc_lo, s10, v3
	s_wait_alu 0xfffd
	v_add_co_ci_u32_e64 v2, null, s11, v4, vcc_lo
	s_wait_loadcnt 0x0
	global_store_b16 v[1:2], v13, off
	s_wait_alu 0xfffe
	s_or_b32 exec_lo, exec_lo, s2
	s_and_saveexec_b32 s2, s4
	s_cbranch_execnz .LBB65_35
.LBB65_78:                              ;   in Loop: Header=BB65_4 Depth=1
	s_wait_alu 0xfffe
	s_or_b32 exec_lo, exec_lo, s2
	s_and_saveexec_b32 s2, s5
	s_cbranch_execz .LBB65_3
.LBB65_79:                              ;   in Loop: Header=BB65_4 Depth=1
	v_add_co_u32 v1, vcc_lo, s10, v7
	s_wait_alu 0xfffd
	v_add_co_ci_u32_e64 v2, null, s11, v8, vcc_lo
	s_wait_loadcnt 0x0
	global_store_b16 v[1:2], v12, off
	s_branch .LBB65_3
.LBB65_80:
	s_mov_b32 s2, 0
.LBB65_81:
	s_wait_alu 0xfffe
	s_and_not1_b32 vcc_lo, exec_lo, s2
	s_wait_alu 0xfffe
	s_cbranch_vccnz .LBB65_145
; %bb.82:
	v_cmp_gt_i64_e64 s2, 0x10000, s[12:13]
	v_dual_mov_b32 v2, 0 :: v_dual_lshlrev_b32 v1, 2, v0
	s_mov_b32 s4, 0
	s_mov_b32 s5, exec_lo
	s_and_b32 s2, s2, exec_lo
	s_cselect_b32 s3, s13, 0
	s_cselect_b32 s2, s12, 0x10000
	s_wait_alu 0xfffe
	v_cmpx_gt_i64_e64 s[2:3], v[1:2]
	s_cbranch_execz .LBB65_145
; %bb.83:
	s_load_b32 s0, s[0:1], 0xc5c
	s_sext_i32_i16 s1, s7
	v_mov_b32_e32 v1, v2
	s_cmp_gt_i32 s1, -1
	s_cselect_b32 s1, -1, 0
	s_and_b32 s5, 0xffff, s7
	s_delay_alu instid0(SALU_CYCLE_1)
	s_cmp_lg_u32 s5, 0
	s_cselect_b32 s5, -1, 0
	s_bitcmp0_b32 s7, 0
	v_cndmask_b32_e64 v6, 0, 1, s5
	s_cselect_b32 s6, 1, 0xffff
	s_wait_kmcnt 0x0
	s_and_b32 s12, s0, 0xffff
	s_branch .LBB65_86
.LBB65_84:                              ;   in Loop: Header=BB65_86 Depth=1
	s_wait_alu 0xfffe
	s_or_b32 exec_lo, exec_lo, s13
	s_delay_alu instid0(VALU_DEP_1)
	v_mov_b32_e32 v9, v5
.LBB65_85:                              ;   in Loop: Header=BB65_86 Depth=1
	v_add_co_u32 v0, vcc_lo, v0, s12
	s_wait_alu 0xfffd
	v_add_co_ci_u32_e64 v1, null, 0, v1, vcc_lo
	v_add_co_u32 v2, s0, s10, v2
	v_perm_b32 v5, v9, v8, 0x5040100
	s_delay_alu instid0(VALU_DEP_3) | instskip(SKIP_3) | instid1(VALU_DEP_3)
	v_lshlrev_b64_e32 v[10:11], 2, v[0:1]
	v_perm_b32 v4, v4, v7, 0x5040100
	s_wait_alu 0xf1fe
	v_add_co_ci_u32_e64 v3, null, s11, v3, s0
	v_cmp_le_i64_e32 vcc_lo, s[2:3], v[10:11]
	global_store_b64 v[2:3], v[4:5], off
	s_or_b32 s4, vcc_lo, s4
	s_wait_alu 0xfffe
	s_and_not1_b32 exec_lo, exec_lo, s4
	s_cbranch_execz .LBB65_145
.LBB65_86:                              ; =>This Loop Header: Depth=1
                                        ;     Child Loop BB65_89 Depth 2
                                        ;     Child Loop BB65_94 Depth 2
	;; [unrolled: 1-line block ×4, first 2 shown]
	v_lshlrev_b64_e32 v[2:3], 3, v[0:1]
	v_cmp_ne_u32_e64 s0, 1, v6
	s_mov_b32 s13, -1
                                        ; implicit-def: $vgpr7
	v_add_co_u32 v4, vcc_lo, s8, v2
	s_wait_alu 0xfffd
	v_add_co_ci_u32_e64 v5, null, s9, v3, vcc_lo
	s_and_b32 vcc_lo, exec_lo, s1
	global_load_b64 v[4:5], v[4:5], off
	s_wait_alu 0xfffe
	s_cbranch_vccz .LBB65_106
; %bb.87:                               ;   in Loop: Header=BB65_86 Depth=1
	v_mov_b32_e32 v7, 1
	s_and_b32 vcc_lo, exec_lo, s0
	s_wait_alu 0xfffe
	s_cbranch_vccnz .LBB65_90
; %bb.88:                               ;   in Loop: Header=BB65_86 Depth=1
	s_wait_loadcnt 0x0
	v_mov_b32_e32 v8, v4
	s_mov_b32 s0, s7
.LBB65_89:                              ;   Parent Loop BB65_86 Depth=1
                                        ; =>  This Inner Loop Header: Depth=2
	s_wait_alu 0xfffe
	s_bitcmp1_b32 s0, 0
	s_sext_i32_i16 s13, s0
	s_cselect_b32 vcc_lo, -1, 0
	s_and_b32 s0, 0xffff, s0
	s_wait_alu 0xfffe
	v_cndmask_b32_e32 v9, 1, v8, vcc_lo
	v_mul_lo_u16 v8, v8, v8
	s_lshr_b32 s0, s0, 1
	s_cmp_gt_i32 s13, 1
	s_delay_alu instid0(VALU_DEP_2)
	v_mul_lo_u16 v7, v9, v7
	s_cbranch_scc1 .LBB65_89
.LBB65_90:                              ;   in Loop: Header=BB65_86 Depth=1
	s_cbranch_execz .LBB65_107
.LBB65_91:                              ;   in Loop: Header=BB65_86 Depth=1
	s_wait_loadcnt 0x0
	v_lshrrev_b32_e32 v8, 16, v4
	s_and_not1_b32 vcc_lo, exec_lo, s1
	s_mov_b32 s0, -1
                                        ; implicit-def: $vgpr4
	s_wait_alu 0xfffe
	s_cbranch_vccnz .LBB65_116
.LBB65_92:                              ;   in Loop: Header=BB65_86 Depth=1
	v_mov_b32_e32 v4, 1
	s_and_not1_b32 vcc_lo, exec_lo, s5
	s_wait_alu 0xfffe
	s_cbranch_vccnz .LBB65_95
; %bb.93:                               ;   in Loop: Header=BB65_86 Depth=1
	v_mov_b32_e32 v9, v8
	s_mov_b32 s0, s7
.LBB65_94:                              ;   Parent Loop BB65_86 Depth=1
                                        ; =>  This Inner Loop Header: Depth=2
	s_wait_alu 0xfffe
	s_bitcmp1_b32 s0, 0
	s_sext_i32_i16 s13, s0
	s_cselect_b32 vcc_lo, -1, 0
	s_and_b32 s0, 0xffff, s0
	s_wait_alu 0xfffe
	v_cndmask_b32_e32 v10, 1, v9, vcc_lo
	v_mul_lo_u16 v9, v9, v9
	s_lshr_b32 s0, s0, 1
	s_cmp_lt_i32 s13, 2
	s_delay_alu instid0(VALU_DEP_2)
	v_mul_lo_u16 v4, v10, v4
	s_cbranch_scc0 .LBB65_94
.LBB65_95:                              ;   in Loop: Header=BB65_86 Depth=1
	s_cbranch_execz .LBB65_117
.LBB65_96:                              ;   in Loop: Header=BB65_86 Depth=1
	v_mov_b32_e32 v9, v5
	s_and_not1_b32 vcc_lo, exec_lo, s1
	s_mov_b32 s0, -1
                                        ; implicit-def: $vgpr8
	s_wait_alu 0xfffe
	s_cbranch_vccnz .LBB65_126
.LBB65_97:                              ;   in Loop: Header=BB65_86 Depth=1
	v_mov_b32_e32 v8, 1
	s_and_not1_b32 vcc_lo, exec_lo, s5
	s_wait_alu 0xfffe
	s_cbranch_vccnz .LBB65_100
; %bb.98:                               ;   in Loop: Header=BB65_86 Depth=1
	v_mov_b32_e32 v10, v9
	s_mov_b32 s0, s7
.LBB65_99:                              ;   Parent Loop BB65_86 Depth=1
                                        ; =>  This Inner Loop Header: Depth=2
	s_wait_alu 0xfffe
	s_bitcmp1_b32 s0, 0
	s_sext_i32_i16 s13, s0
	s_cselect_b32 vcc_lo, -1, 0
	s_and_b32 s0, 0xffff, s0
	s_wait_alu 0xfffe
	v_cndmask_b32_e32 v11, 1, v10, vcc_lo
	v_mul_lo_u16 v10, v10, v10
	s_lshr_b32 s0, s0, 1
	s_cmp_lt_i32 s13, 2
	s_delay_alu instid0(VALU_DEP_2)
	v_mul_lo_u16 v8, v11, v8
	s_cbranch_scc0 .LBB65_99
.LBB65_100:                             ;   in Loop: Header=BB65_86 Depth=1
	s_cbranch_execz .LBB65_127
.LBB65_101:                             ;   in Loop: Header=BB65_86 Depth=1
	v_lshrrev_b32_e32 v5, 16, v5
	s_and_not1_b32 vcc_lo, exec_lo, s1
	s_mov_b32 s0, -1
                                        ; implicit-def: $vgpr9
	s_wait_alu 0xfffe
	s_cbranch_vccnz .LBB65_136
.LBB65_102:                             ;   in Loop: Header=BB65_86 Depth=1
	v_mov_b32_e32 v9, 1
	s_and_not1_b32 vcc_lo, exec_lo, s5
	s_wait_alu 0xfffe
	s_cbranch_vccnz .LBB65_105
; %bb.103:                              ;   in Loop: Header=BB65_86 Depth=1
	v_mov_b32_e32 v10, v5
	s_mov_b32 s0, s7
.LBB65_104:                             ;   Parent Loop BB65_86 Depth=1
                                        ; =>  This Inner Loop Header: Depth=2
	s_wait_alu 0xfffe
	s_bitcmp1_b32 s0, 0
	s_sext_i32_i16 s13, s0
	s_cselect_b32 vcc_lo, -1, 0
	s_and_b32 s0, 0xffff, s0
	s_wait_alu 0xfffe
	v_cndmask_b32_e32 v11, 1, v10, vcc_lo
	v_mul_lo_u16 v10, v10, v10
	s_lshr_b32 s0, s0, 1
	s_cmp_lt_i32 s13, 2
	s_delay_alu instid0(VALU_DEP_2)
	v_mul_lo_u16 v9, v11, v9
	s_cbranch_scc0 .LBB65_104
.LBB65_105:                             ;   in Loop: Header=BB65_86 Depth=1
	s_cbranch_execnz .LBB65_85
	s_branch .LBB65_137
.LBB65_106:                             ;   in Loop: Header=BB65_86 Depth=1
	s_and_not1_b32 vcc_lo, exec_lo, s13
	s_wait_alu 0xfffe
	s_cbranch_vccnz .LBB65_91
.LBB65_107:                             ;   in Loop: Header=BB65_86 Depth=1
	s_mov_b32 s0, 0
	s_mov_b32 s13, 0
	s_mov_b32 s14, exec_lo
	s_wait_loadcnt 0x0
	v_cmpx_lt_i16_e32 0, v4
	s_wait_alu 0xfffe
	s_xor_b32 s14, exec_lo, s14
; %bb.108:                              ;   in Loop: Header=BB65_86 Depth=1
	v_cmp_ne_u16_e32 vcc_lo, 1, v4
	s_and_b32 s13, vcc_lo, exec_lo
; %bb.109:                              ;   in Loop: Header=BB65_86 Depth=1
	s_wait_alu 0xfffe
	s_and_not1_saveexec_b32 s14, s14
; %bb.110:                              ;   in Loop: Header=BB65_86 Depth=1
	v_cmp_ne_u16_e32 vcc_lo, -1, v4
	s_and_not1_b32 s13, s13, exec_lo
	s_mov_b32 s0, exec_lo
	s_and_b32 s15, vcc_lo, exec_lo
	s_wait_alu 0xfffe
	s_or_b32 s13, s13, s15
; %bb.111:                              ;   in Loop: Header=BB65_86 Depth=1
	s_or_b32 exec_lo, exec_lo, s14
	v_mov_b32_e32 v7, v4
	s_wait_alu 0xfffe
	s_and_saveexec_b32 s14, s13
	s_wait_alu 0xfffe
	s_xor_b32 s13, exec_lo, s14
; %bb.112:                              ;   in Loop: Header=BB65_86 Depth=1
	v_mov_b32_e32 v7, 0
	s_and_not1_b32 s0, s0, exec_lo
; %bb.113:                              ;   in Loop: Header=BB65_86 Depth=1
	s_wait_alu 0xfffe
	s_or_b32 exec_lo, exec_lo, s13
	s_and_saveexec_b32 s13, s0
; %bb.114:                              ;   in Loop: Header=BB65_86 Depth=1
	v_mov_b32_e32 v7, s6
; %bb.115:                              ;   in Loop: Header=BB65_86 Depth=1
	s_wait_alu 0xfffe
	s_or_b32 exec_lo, exec_lo, s13
	v_lshrrev_b32_e32 v8, 16, v4
	s_and_not1_b32 vcc_lo, exec_lo, s1
	s_mov_b32 s0, -1
                                        ; implicit-def: $vgpr4
	s_wait_alu 0xfffe
	s_cbranch_vccz .LBB65_92
.LBB65_116:                             ;   in Loop: Header=BB65_86 Depth=1
	s_and_not1_b32 vcc_lo, exec_lo, s0
	s_wait_alu 0xfffe
	s_cbranch_vccnz .LBB65_96
.LBB65_117:                             ;   in Loop: Header=BB65_86 Depth=1
	s_mov_b32 s0, 0
	s_mov_b32 s13, 0
	s_mov_b32 s14, exec_lo
	v_cmpx_lt_i16_e32 0, v8
	s_wait_alu 0xfffe
	s_xor_b32 s14, exec_lo, s14
	s_cbranch_execz .LBB65_121
; %bb.118:                              ;   in Loop: Header=BB65_86 Depth=1
	v_cmp_ne_u16_e32 vcc_lo, 1, v8
	s_and_b32 s13, vcc_lo, exec_lo
	s_wait_alu 0xfffe
	s_and_not1_saveexec_b32 s14, s14
	s_cbranch_execnz .LBB65_122
.LBB65_119:                             ;   in Loop: Header=BB65_86 Depth=1
	s_wait_alu 0xfffe
	s_or_b32 exec_lo, exec_lo, s14
	s_and_saveexec_b32 s14, s13
	s_wait_alu 0xfffe
	s_xor_b32 s13, exec_lo, s14
	s_cbranch_execz .LBB65_123
.LBB65_120:                             ;   in Loop: Header=BB65_86 Depth=1
	v_mov_b32_e32 v8, 0
	s_and_not1_b32 s0, s0, exec_lo
	s_wait_alu 0xfffe
	s_or_b32 exec_lo, exec_lo, s13
	s_and_saveexec_b32 s13, s0
	s_cbranch_execnz .LBB65_124
	s_branch .LBB65_125
.LBB65_121:                             ;   in Loop: Header=BB65_86 Depth=1
	s_wait_alu 0xfffe
	s_and_not1_saveexec_b32 s14, s14
	s_cbranch_execz .LBB65_119
.LBB65_122:                             ;   in Loop: Header=BB65_86 Depth=1
	v_cmp_ne_u16_e32 vcc_lo, -1, v8
	s_and_not1_b32 s13, s13, exec_lo
	s_mov_b32 s0, exec_lo
	s_and_b32 s15, vcc_lo, exec_lo
	s_wait_alu 0xfffe
	s_or_b32 s13, s13, s15
	s_or_b32 exec_lo, exec_lo, s14
	s_wait_alu 0xfffe
	s_and_saveexec_b32 s14, s13
	s_wait_alu 0xfffe
	s_xor_b32 s13, exec_lo, s14
	s_cbranch_execnz .LBB65_120
.LBB65_123:                             ;   in Loop: Header=BB65_86 Depth=1
	s_wait_alu 0xfffe
	s_or_b32 exec_lo, exec_lo, s13
	s_and_saveexec_b32 s13, s0
.LBB65_124:                             ;   in Loop: Header=BB65_86 Depth=1
	v_mov_b32_e32 v8, s6
.LBB65_125:                             ;   in Loop: Header=BB65_86 Depth=1
	s_wait_alu 0xfffe
	s_or_b32 exec_lo, exec_lo, s13
	s_delay_alu instid0(VALU_DEP_1)
	v_dual_mov_b32 v4, v8 :: v_dual_mov_b32 v9, v5
	s_and_not1_b32 vcc_lo, exec_lo, s1
	s_mov_b32 s0, -1
                                        ; implicit-def: $vgpr8
	s_wait_alu 0xfffe
	s_cbranch_vccz .LBB65_97
.LBB65_126:                             ;   in Loop: Header=BB65_86 Depth=1
	s_and_not1_b32 vcc_lo, exec_lo, s0
	s_wait_alu 0xfffe
	s_cbranch_vccnz .LBB65_101
.LBB65_127:                             ;   in Loop: Header=BB65_86 Depth=1
	s_mov_b32 s0, 0
	s_mov_b32 s13, 0
	s_mov_b32 s14, exec_lo
	v_cmpx_lt_i16_e32 0, v5
	s_wait_alu 0xfffe
	s_xor_b32 s14, exec_lo, s14
	s_cbranch_execz .LBB65_131
; %bb.128:                              ;   in Loop: Header=BB65_86 Depth=1
	v_cmp_ne_u16_e32 vcc_lo, 1, v5
	s_and_b32 s13, vcc_lo, exec_lo
	s_wait_alu 0xfffe
	s_and_not1_saveexec_b32 s14, s14
	s_cbranch_execnz .LBB65_132
.LBB65_129:                             ;   in Loop: Header=BB65_86 Depth=1
	s_wait_alu 0xfffe
	s_or_b32 exec_lo, exec_lo, s14
	s_and_saveexec_b32 s14, s13
	s_wait_alu 0xfffe
	s_xor_b32 s13, exec_lo, s14
	s_cbranch_execz .LBB65_133
.LBB65_130:                             ;   in Loop: Header=BB65_86 Depth=1
	v_mov_b32_e32 v9, 0
	s_and_not1_b32 s0, s0, exec_lo
	s_wait_alu 0xfffe
	s_or_b32 exec_lo, exec_lo, s13
	s_and_saveexec_b32 s13, s0
	s_cbranch_execnz .LBB65_134
	s_branch .LBB65_135
.LBB65_131:                             ;   in Loop: Header=BB65_86 Depth=1
	s_wait_alu 0xfffe
	s_and_not1_saveexec_b32 s14, s14
	s_cbranch_execz .LBB65_129
.LBB65_132:                             ;   in Loop: Header=BB65_86 Depth=1
	v_cmp_ne_u16_e32 vcc_lo, -1, v5
	s_and_not1_b32 s13, s13, exec_lo
	s_mov_b32 s0, exec_lo
	s_and_b32 s15, vcc_lo, exec_lo
	s_wait_alu 0xfffe
	s_or_b32 s13, s13, s15
	s_or_b32 exec_lo, exec_lo, s14
	s_wait_alu 0xfffe
	s_and_saveexec_b32 s14, s13
	s_wait_alu 0xfffe
	s_xor_b32 s13, exec_lo, s14
	s_cbranch_execnz .LBB65_130
.LBB65_133:                             ;   in Loop: Header=BB65_86 Depth=1
	s_wait_alu 0xfffe
	s_or_b32 exec_lo, exec_lo, s13
	s_and_saveexec_b32 s13, s0
.LBB65_134:                             ;   in Loop: Header=BB65_86 Depth=1
	v_mov_b32_e32 v9, s6
.LBB65_135:                             ;   in Loop: Header=BB65_86 Depth=1
	s_wait_alu 0xfffe
	s_or_b32 exec_lo, exec_lo, s13
	s_delay_alu instid0(VALU_DEP_1)
	v_mov_b32_e32 v8, v9
	v_lshrrev_b32_e32 v5, 16, v5
	s_and_not1_b32 vcc_lo, exec_lo, s1
	s_mov_b32 s0, -1
                                        ; implicit-def: $vgpr9
	s_wait_alu 0xfffe
	s_cbranch_vccz .LBB65_102
.LBB65_136:                             ;   in Loop: Header=BB65_86 Depth=1
	s_and_not1_b32 vcc_lo, exec_lo, s0
	s_wait_alu 0xfffe
	s_cbranch_vccnz .LBB65_85
.LBB65_137:                             ;   in Loop: Header=BB65_86 Depth=1
	s_mov_b32 s0, 0
	s_mov_b32 s13, 0
	s_mov_b32 s14, exec_lo
	v_cmpx_lt_i16_e32 0, v5
	s_wait_alu 0xfffe
	s_xor_b32 s14, exec_lo, s14
	s_cbranch_execz .LBB65_141
; %bb.138:                              ;   in Loop: Header=BB65_86 Depth=1
	v_cmp_ne_u16_e32 vcc_lo, 1, v5
	s_and_b32 s13, vcc_lo, exec_lo
	s_wait_alu 0xfffe
	s_and_not1_saveexec_b32 s14, s14
	s_cbranch_execnz .LBB65_142
.LBB65_139:                             ;   in Loop: Header=BB65_86 Depth=1
	s_wait_alu 0xfffe
	s_or_b32 exec_lo, exec_lo, s14
	s_and_saveexec_b32 s14, s13
	s_wait_alu 0xfffe
	s_xor_b32 s13, exec_lo, s14
	s_cbranch_execz .LBB65_143
.LBB65_140:                             ;   in Loop: Header=BB65_86 Depth=1
	v_mov_b32_e32 v5, 0
	s_and_not1_b32 s0, s0, exec_lo
	s_wait_alu 0xfffe
	s_or_b32 exec_lo, exec_lo, s13
	s_and_saveexec_b32 s13, s0
	s_cbranch_execz .LBB65_84
	s_branch .LBB65_144
.LBB65_141:                             ;   in Loop: Header=BB65_86 Depth=1
	s_wait_alu 0xfffe
	s_and_not1_saveexec_b32 s14, s14
	s_cbranch_execz .LBB65_139
.LBB65_142:                             ;   in Loop: Header=BB65_86 Depth=1
	v_cmp_ne_u16_e32 vcc_lo, -1, v5
	s_and_not1_b32 s13, s13, exec_lo
	s_mov_b32 s0, exec_lo
	s_and_b32 s15, vcc_lo, exec_lo
	s_wait_alu 0xfffe
	s_or_b32 s13, s13, s15
	s_or_b32 exec_lo, exec_lo, s14
	s_wait_alu 0xfffe
	s_and_saveexec_b32 s14, s13
	s_wait_alu 0xfffe
	s_xor_b32 s13, exec_lo, s14
	s_cbranch_execnz .LBB65_140
.LBB65_143:                             ;   in Loop: Header=BB65_86 Depth=1
	s_wait_alu 0xfffe
	s_or_b32 exec_lo, exec_lo, s13
	s_and_saveexec_b32 s13, s0
	s_cbranch_execz .LBB65_84
.LBB65_144:                             ;   in Loop: Header=BB65_86 Depth=1
	v_mov_b32_e32 v5, s6
	s_branch .LBB65_84
.LBB65_145:
	s_endpgm
	.section	.rodata,"a",@progbits
	.p2align	6, 0x0
	.amdhsa_kernel _ZN2at6native12_GLOBAL__N_125multi_tensor_apply_kernelINS1_18TensorListMetadataILi2EEENS1_21BinaryOpScalarFunctorIsLi2ELi1ELi1EEEJNS1_13power_functorIsEEsEEEvT_T0_DpT1_
		.amdhsa_group_segment_fixed_size 0
		.amdhsa_private_segment_fixed_size 0
		.amdhsa_kernarg_size 3408
		.amdhsa_user_sgpr_count 2
		.amdhsa_user_sgpr_dispatch_ptr 0
		.amdhsa_user_sgpr_queue_ptr 0
		.amdhsa_user_sgpr_kernarg_segment_ptr 1
		.amdhsa_user_sgpr_dispatch_id 0
		.amdhsa_user_sgpr_private_segment_size 0
		.amdhsa_wavefront_size32 1
		.amdhsa_uses_dynamic_stack 0
		.amdhsa_enable_private_segment 0
		.amdhsa_system_sgpr_workgroup_id_x 1
		.amdhsa_system_sgpr_workgroup_id_y 0
		.amdhsa_system_sgpr_workgroup_id_z 0
		.amdhsa_system_sgpr_workgroup_info 0
		.amdhsa_system_vgpr_workitem_id 0
		.amdhsa_next_free_vgpr 17
		.amdhsa_next_free_sgpr 31
		.amdhsa_reserve_vcc 1
		.amdhsa_float_round_mode_32 0
		.amdhsa_float_round_mode_16_64 0
		.amdhsa_float_denorm_mode_32 3
		.amdhsa_float_denorm_mode_16_64 3
		.amdhsa_fp16_overflow 0
		.amdhsa_workgroup_processor_mode 1
		.amdhsa_memory_ordered 1
		.amdhsa_forward_progress 1
		.amdhsa_inst_pref_size 30
		.amdhsa_round_robin_scheduling 0
		.amdhsa_exception_fp_ieee_invalid_op 0
		.amdhsa_exception_fp_denorm_src 0
		.amdhsa_exception_fp_ieee_div_zero 0
		.amdhsa_exception_fp_ieee_overflow 0
		.amdhsa_exception_fp_ieee_underflow 0
		.amdhsa_exception_fp_ieee_inexact 0
		.amdhsa_exception_int_div_zero 0
	.end_amdhsa_kernel
	.section	.text._ZN2at6native12_GLOBAL__N_125multi_tensor_apply_kernelINS1_18TensorListMetadataILi2EEENS1_21BinaryOpScalarFunctorIsLi2ELi1ELi1EEEJNS1_13power_functorIsEEsEEEvT_T0_DpT1_,"axG",@progbits,_ZN2at6native12_GLOBAL__N_125multi_tensor_apply_kernelINS1_18TensorListMetadataILi2EEENS1_21BinaryOpScalarFunctorIsLi2ELi1ELi1EEEJNS1_13power_functorIsEEsEEEvT_T0_DpT1_,comdat
.Lfunc_end65:
	.size	_ZN2at6native12_GLOBAL__N_125multi_tensor_apply_kernelINS1_18TensorListMetadataILi2EEENS1_21BinaryOpScalarFunctorIsLi2ELi1ELi1EEEJNS1_13power_functorIsEEsEEEvT_T0_DpT1_, .Lfunc_end65-_ZN2at6native12_GLOBAL__N_125multi_tensor_apply_kernelINS1_18TensorListMetadataILi2EEENS1_21BinaryOpScalarFunctorIsLi2ELi1ELi1EEEJNS1_13power_functorIsEEsEEEvT_T0_DpT1_
                                        ; -- End function
	.set _ZN2at6native12_GLOBAL__N_125multi_tensor_apply_kernelINS1_18TensorListMetadataILi2EEENS1_21BinaryOpScalarFunctorIsLi2ELi1ELi1EEEJNS1_13power_functorIsEEsEEEvT_T0_DpT1_.num_vgpr, 17
	.set _ZN2at6native12_GLOBAL__N_125multi_tensor_apply_kernelINS1_18TensorListMetadataILi2EEENS1_21BinaryOpScalarFunctorIsLi2ELi1ELi1EEEJNS1_13power_functorIsEEsEEEvT_T0_DpT1_.num_agpr, 0
	.set _ZN2at6native12_GLOBAL__N_125multi_tensor_apply_kernelINS1_18TensorListMetadataILi2EEENS1_21BinaryOpScalarFunctorIsLi2ELi1ELi1EEEJNS1_13power_functorIsEEsEEEvT_T0_DpT1_.numbered_sgpr, 31
	.set _ZN2at6native12_GLOBAL__N_125multi_tensor_apply_kernelINS1_18TensorListMetadataILi2EEENS1_21BinaryOpScalarFunctorIsLi2ELi1ELi1EEEJNS1_13power_functorIsEEsEEEvT_T0_DpT1_.num_named_barrier, 0
	.set _ZN2at6native12_GLOBAL__N_125multi_tensor_apply_kernelINS1_18TensorListMetadataILi2EEENS1_21BinaryOpScalarFunctorIsLi2ELi1ELi1EEEJNS1_13power_functorIsEEsEEEvT_T0_DpT1_.private_seg_size, 0
	.set _ZN2at6native12_GLOBAL__N_125multi_tensor_apply_kernelINS1_18TensorListMetadataILi2EEENS1_21BinaryOpScalarFunctorIsLi2ELi1ELi1EEEJNS1_13power_functorIsEEsEEEvT_T0_DpT1_.uses_vcc, 1
	.set _ZN2at6native12_GLOBAL__N_125multi_tensor_apply_kernelINS1_18TensorListMetadataILi2EEENS1_21BinaryOpScalarFunctorIsLi2ELi1ELi1EEEJNS1_13power_functorIsEEsEEEvT_T0_DpT1_.uses_flat_scratch, 0
	.set _ZN2at6native12_GLOBAL__N_125multi_tensor_apply_kernelINS1_18TensorListMetadataILi2EEENS1_21BinaryOpScalarFunctorIsLi2ELi1ELi1EEEJNS1_13power_functorIsEEsEEEvT_T0_DpT1_.has_dyn_sized_stack, 0
	.set _ZN2at6native12_GLOBAL__N_125multi_tensor_apply_kernelINS1_18TensorListMetadataILi2EEENS1_21BinaryOpScalarFunctorIsLi2ELi1ELi1EEEJNS1_13power_functorIsEEsEEEvT_T0_DpT1_.has_recursion, 0
	.set _ZN2at6native12_GLOBAL__N_125multi_tensor_apply_kernelINS1_18TensorListMetadataILi2EEENS1_21BinaryOpScalarFunctorIsLi2ELi1ELi1EEEJNS1_13power_functorIsEEsEEEvT_T0_DpT1_.has_indirect_call, 0
	.section	.AMDGPU.csdata,"",@progbits
; Kernel info:
; codeLenInByte = 3776
; TotalNumSgprs: 33
; NumVgprs: 17
; ScratchSize: 0
; MemoryBound: 0
; FloatMode: 240
; IeeeMode: 1
; LDSByteSize: 0 bytes/workgroup (compile time only)
; SGPRBlocks: 0
; VGPRBlocks: 2
; NumSGPRsForWavesPerEU: 33
; NumVGPRsForWavesPerEU: 17
; Occupancy: 16
; WaveLimiterHint : 0
; COMPUTE_PGM_RSRC2:SCRATCH_EN: 0
; COMPUTE_PGM_RSRC2:USER_SGPR: 2
; COMPUTE_PGM_RSRC2:TRAP_HANDLER: 0
; COMPUTE_PGM_RSRC2:TGID_X_EN: 1
; COMPUTE_PGM_RSRC2:TGID_Y_EN: 0
; COMPUTE_PGM_RSRC2:TGID_Z_EN: 0
; COMPUTE_PGM_RSRC2:TIDIG_COMP_CNT: 0
	.section	.text._ZN2at6native12_GLOBAL__N_125multi_tensor_apply_kernelINS1_18TensorListMetadataILi2EEENS1_21BinaryOpScalarFunctorIdLi2ELi1ELi1EEEJNS1_13power_functorIdEEdEEEvT_T0_DpT1_,"axG",@progbits,_ZN2at6native12_GLOBAL__N_125multi_tensor_apply_kernelINS1_18TensorListMetadataILi2EEENS1_21BinaryOpScalarFunctorIdLi2ELi1ELi1EEEJNS1_13power_functorIdEEdEEEvT_T0_DpT1_,comdat
	.globl	_ZN2at6native12_GLOBAL__N_125multi_tensor_apply_kernelINS1_18TensorListMetadataILi2EEENS1_21BinaryOpScalarFunctorIdLi2ELi1ELi1EEEJNS1_13power_functorIdEEdEEEvT_T0_DpT1_ ; -- Begin function _ZN2at6native12_GLOBAL__N_125multi_tensor_apply_kernelINS1_18TensorListMetadataILi2EEENS1_21BinaryOpScalarFunctorIdLi2ELi1ELi1EEEJNS1_13power_functorIdEEdEEEvT_T0_DpT1_
	.p2align	8
	.type	_ZN2at6native12_GLOBAL__N_125multi_tensor_apply_kernelINS1_18TensorListMetadataILi2EEENS1_21BinaryOpScalarFunctorIdLi2ELi1ELi1EEEJNS1_13power_functorIdEEdEEEvT_T0_DpT1_,@function
_ZN2at6native12_GLOBAL__N_125multi_tensor_apply_kernelINS1_18TensorListMetadataILi2EEENS1_21BinaryOpScalarFunctorIdLi2ELi1ELi1EEEJNS1_13power_functorIdEEdEEEvT_T0_DpT1_: ; @_ZN2at6native12_GLOBAL__N_125multi_tensor_apply_kernelINS1_18TensorListMetadataILi2EEENS1_21BinaryOpScalarFunctorIdLi2ELi1ELi1EEEJNS1_13power_functorIdEEdEEEvT_T0_DpT1_
; %bb.0:
	s_load_u8 s8, s[0:1], ttmp9 offset:0x600
	s_mov_b32 s2, ttmp9
	s_mov_b32 s3, 0
	s_delay_alu instid0(SALU_CYCLE_1)
	s_mul_u64 s[4:5], s[2:3], 3
	s_add_nc_u64 s[6:7], s[0:1], s[2:3]
	s_mov_b32 s11, s3
	s_add_nc_u64 s[4:5], s[6:7], s[4:5]
	s_mov_b32 s13, s3
	s_load_b32 s4, s[4:5], 0x740
	s_wait_kmcnt 0x0
	s_lshl_b32 s2, s8, 3
	s_clause 0x3
	s_load_b64 s[24:25], s[0:1], s2 offset:0x0
	s_load_b64 s[26:27], s[0:1], s2 offset:0x200
	;; [unrolled: 1-line block ×3, first 2 shown]
	s_load_b64 s[28:29], s[0:1], 0xc50
	s_ashr_i32 s5, s4, 31
	s_delay_alu instid0(SALU_CYCLE_1)
	s_lshl_b64 s[8:9], s[4:5], 19
	s_lshl_b64 s[4:5], s[4:5], 16
	s_wait_kmcnt 0x0
	s_add_nc_u64 s[14:15], s[24:25], s[8:9]
	s_and_b32 s10, s26, 31
	s_and_b32 s12, s6, 3
	;; [unrolled: 1-line block ×3, first 2 shown]
	s_or_b64 s[10:11], s[10:11], s[12:13]
	s_delay_alu instid0(SALU_CYCLE_1)
	s_or_b64 s[2:3], s[10:11], s[2:3]
	s_sub_nc_u64 s[10:11], s[6:7], s[4:5]
	s_cmp_eq_u64 s[2:3], 0
	s_mov_b32 s2, -1
	s_cbranch_scc1 .LBB66_21
; %bb.1:
	v_cmp_lt_i64_e64 s2, s[10:11], 1
	s_and_b32 vcc_lo, exec_lo, s2
	s_cbranch_vccnz .LBB66_20
; %bb.2:
	s_load_b32 s2, s[0:1], 0xc64
	v_cmp_gt_i64_e64 s3, 0x10000, s[10:11]
	v_dual_mov_b32 v2, 0 :: v_dual_lshlrev_b32 v1, 3, v0
	v_cmp_gt_u64_e64 s4, 0x10000, s[10:11]
	s_mov_b32 s20, 0x55555555
	s_mov_b32 s22, 0xfefa39ef
	s_and_b32 s3, s3, exec_lo
	s_cselect_b32 s15, s11, 0
	s_cselect_b32 s14, s10, 0x10000
	v_add_co_u32 v9, s5, s24, v1
	s_delay_alu instid0(VALU_DEP_1)
	v_add_co_ci_u32_e64 v10, null, s25, 0, s5
	v_add_co_u32 v11, s5, s26, v1
	s_wait_alu 0xf1ff
	v_add_co_ci_u32_e64 v12, null, s27, 0, s5
	s_mov_b32 s30, 0x3b39803f
	s_mov_b32 s34, 0x968915a9
	s_wait_kmcnt 0x0
	s_and_b32 s2, s2, 0xffff
	s_and_b32 s3, s4, exec_lo
	v_mad_co_u64_u32 v[2:3], null, s2, 24, v[1:2]
	s_cselect_b32 s17, s11, 0
	s_cselect_b32 s16, s10, 0x10000
	s_lshl_b32 s5, s2, 4
	s_lshl_b32 s3, s2, 1
	s_wait_alu 0xfffe
	v_add_co_u32 v1, s5, s5, v1
	v_add_co_u32 v13, vcc_lo, s24, v2
	s_mul_i32 s4, s2, 3
	s_lshl_b32 s12, s2, 2
	s_lshl_b32 s33, s2, 5
	v_add_co_ci_u32_e64 v14, null, s25, v3, vcc_lo
	v_add_co_u32 v15, vcc_lo, s26, v2
	v_add_co_ci_u32_e64 v2, null, 0, 0, s5
	v_add_co_u32 v21, s2, v0, s2
	s_wait_alu 0xfffd
	v_add_co_ci_u32_e64 v16, null, s27, v3, vcc_lo
	v_add_co_u32 v19, vcc_lo, s24, v1
	s_wait_alu 0xfffd
	v_add_co_ci_u32_e64 v20, null, s25, v2, vcc_lo
	v_add_co_u32 v22, vcc_lo, s26, v1
	v_lshlrev_b32_e32 v1, 3, v21
	s_wait_alu 0xf1ff
	v_add_co_ci_u32_e64 v24, null, 0, 0, s2
	v_add_co_u32 v25, s2, s3, v0
	s_wait_alu 0xf1ff
	v_add_co_ci_u32_e64 v26, null, 0, 0, s2
	v_add_co_u32 v27, s2, s24, v1
	s_wait_alu 0xfffe
	v_add_co_u32 v17, s4, s4, v0
	s_wait_alu 0xf1ff
	v_add_co_ci_u32_e64 v28, null, s25, 0, s2
	v_add_co_u32 v29, s2, s26, v1
	v_add_co_ci_u32_e64 v18, null, 0, 0, s4
	s_wait_alu 0xfffd
	v_add_co_ci_u32_e64 v23, null, s27, v2, vcc_lo
	s_wait_alu 0xf1ff
	v_add_co_ci_u32_e64 v30, null, s27, 0, s2
	s_mov_b32 s36, 0x4222de17
	s_mov_b32 s38, 0x3abe935a
	s_mov_b32 s40, 0x47e6c9c2
	s_mov_b32 s42, 0xcfa74449
	s_mov_b32 s44, 0x71bf3c30
	s_mov_b32 s46, 0x1c7792ce
	s_mov_b32 s48, 0x924920da
	s_mov_b32 s50, 0x9999999c
	s_mov_b32 s52, 0xd5df274d
	s_mov_b32 s56, 0x652b82fe
	s_mov_b32 s62, 0xfca7ab0c
	s_mov_b32 s64, 0x6a5dcb37
	s_mov_b32 s66, 0x623fde64
	s_mov_b32 s68, 0x7c89e6b0
	s_mov_b32 s70, 0x14761f6e
	s_mov_b32 s72, 0x1852b7b0
	s_mov_b32 s74, 0x11122322
	s_mov_b32 s76, 0x555502a1
	s_mov_b32 s78, 0x55555511
	s_mov_b32 s80, 11
	s_mov_b32 s13, 0
	s_mov_b64 s[18:19], 0
	s_mov_b32 s21, 0x3fe55555
	s_mov_b32 s23, 0x3fe62e42
	;; [unrolled: 1-line block ×27, first 2 shown]
	s_branch .LBB66_4
.LBB66_3:                               ;   in Loop: Header=BB66_4 Depth=1
	s_wait_alu 0xfffe
	s_or_b32 exec_lo, exec_lo, s6
	v_add_co_u32 v9, vcc_lo, v9, s33
	s_wait_alu 0xfffd
	v_add_co_ci_u32_e64 v10, null, 0, v10, vcc_lo
	v_add_co_u32 v11, vcc_lo, v11, s33
	s_wait_alu 0xfffd
	v_add_co_ci_u32_e64 v12, null, 0, v12, vcc_lo
	;; [unrolled: 3-line block ×5, first 2 shown]
	v_add_co_u32 v22, vcc_lo, v22, s33
	s_add_nc_u64 s[18:19], s[18:19], s[12:13]
	s_wait_alu 0xfffd
	v_add_co_ci_u32_e64 v23, null, 0, v23, vcc_lo
	v_add_co_u32 v27, vcc_lo, v27, s33
	s_wait_alu 0xfffe
	v_cmp_lt_i64_e64 s2, s[18:19], s[14:15]
	s_wait_alu 0xfffd
	v_add_co_ci_u32_e64 v28, null, 0, v28, vcc_lo
	v_add_co_u32 v29, vcc_lo, v29, s33
	s_wait_alu 0xfffd
	v_add_co_ci_u32_e64 v30, null, 0, v30, vcc_lo
	s_and_b32 vcc_lo, exec_lo, s2
	s_wait_alu 0xfffe
	s_cbranch_vccz .LBB66_20
.LBB66_4:                               ; =>This Inner Loop Header: Depth=1
	s_wait_loadcnt 0x0
	v_add_co_u32 v1, s2, v0, s18
	s_wait_alu 0xf1ff
	v_add_co_ci_u32_e64 v2, null, 0, s19, s2
	v_mov_b32_e32 v5, 0
	v_dual_mov_b32 v6, 0 :: v_dual_mov_b32 v7, 0
	s_delay_alu instid0(VALU_DEP_3)
	v_cmp_gt_u64_e64 s4, s[16:17], v[1:2]
	v_mov_b32_e32 v8, 0
	s_and_saveexec_b32 s2, s4
	s_cbranch_execz .LBB66_6
; %bb.5:                                ;   in Loop: Header=BB66_4 Depth=1
	v_add_co_u32 v1, vcc_lo, v9, s8
	s_wait_alu 0xfffd
	v_add_co_ci_u32_e64 v2, null, s9, v10, vcc_lo
	global_load_b64 v[7:8], v[1:2], off
.LBB66_6:                               ;   in Loop: Header=BB66_4 Depth=1
	s_wait_alu 0xfffe
	s_or_b32 exec_lo, exec_lo, s2
	v_add_co_u32 v1, vcc_lo, v21, s18
	s_wait_alu 0xfffd
	v_add_co_ci_u32_e64 v2, null, s19, v24, vcc_lo
	s_delay_alu instid0(VALU_DEP_1)
	v_cmp_gt_u64_e64 s3, s[16:17], v[1:2]
	s_and_saveexec_b32 s2, s3
	s_cbranch_execz .LBB66_8
; %bb.7:                                ;   in Loop: Header=BB66_4 Depth=1
	v_add_co_u32 v1, vcc_lo, v27, s8
	s_wait_alu 0xfffd
	v_add_co_ci_u32_e64 v2, null, s9, v28, vcc_lo
	global_load_b64 v[5:6], v[1:2], off
.LBB66_8:                               ;   in Loop: Header=BB66_4 Depth=1
	s_wait_alu 0xfffe
	s_or_b32 exec_lo, exec_lo, s2
	v_add_co_u32 v3, vcc_lo, v25, s18
	s_wait_alu 0xfffd
	v_add_co_ci_u32_e64 v4, null, s19, v26, vcc_lo
	v_mov_b32_e32 v1, 0
	v_mov_b32_e32 v2, 0
	s_delay_alu instid0(VALU_DEP_3)
	v_cmp_gt_u64_e64 s2, s[16:17], v[3:4]
	v_mov_b32_e32 v3, 0
	v_mov_b32_e32 v4, 0
	s_and_saveexec_b32 s5, s2
	s_cbranch_execz .LBB66_10
; %bb.9:                                ;   in Loop: Header=BB66_4 Depth=1
	v_add_co_u32 v3, vcc_lo, v19, s8
	s_wait_alu 0xfffd
	v_add_co_ci_u32_e64 v4, null, s9, v20, vcc_lo
	global_load_b64 v[3:4], v[3:4], off
.LBB66_10:                              ;   in Loop: Header=BB66_4 Depth=1
	s_wait_alu 0xfffe
	s_or_b32 exec_lo, exec_lo, s5
	v_add_co_u32 v31, vcc_lo, v17, s18
	s_wait_alu 0xfffd
	v_add_co_ci_u32_e64 v32, null, s19, v18, vcc_lo
	s_delay_alu instid0(VALU_DEP_1)
	v_cmp_gt_u64_e32 vcc_lo, s[16:17], v[31:32]
	s_and_saveexec_b32 s6, vcc_lo
	s_cbranch_execnz .LBB66_15
; %bb.11:                               ;   in Loop: Header=BB66_4 Depth=1
	s_wait_alu 0xfffe
	s_or_b32 exec_lo, exec_lo, s6
	s_and_saveexec_b32 s82, s4
	s_cbranch_execnz .LBB66_16
.LBB66_12:                              ;   in Loop: Header=BB66_4 Depth=1
	s_or_b32 exec_lo, exec_lo, s82
	s_and_saveexec_b32 s82, s3
	s_cbranch_execnz .LBB66_17
.LBB66_13:                              ;   in Loop: Header=BB66_4 Depth=1
	s_or_b32 exec_lo, exec_lo, s82
	s_and_saveexec_b32 s7, s2
	s_cbranch_execnz .LBB66_18
.LBB66_14:                              ;   in Loop: Header=BB66_4 Depth=1
	s_wait_alu 0xfffe
	s_or_b32 exec_lo, exec_lo, s7
	s_and_saveexec_b32 s6, vcc_lo
	s_cbranch_execz .LBB66_3
	s_branch .LBB66_19
.LBB66_15:                              ;   in Loop: Header=BB66_4 Depth=1
	v_add_co_u32 v1, s5, v13, s8
	s_wait_alu 0xf1ff
	v_add_co_ci_u32_e64 v2, null, s9, v14, s5
	global_load_b64 v[1:2], v[1:2], off
	s_wait_alu 0xfffe
	s_or_b32 exec_lo, exec_lo, s6
	s_and_saveexec_b32 s82, s4
	s_cbranch_execz .LBB66_12
.LBB66_16:                              ;   in Loop: Header=BB66_4 Depth=1
	s_wait_loadcnt 0x0
	v_cmp_neq_f64_e64 s4, 1.0, v[7:8]
	v_mov_b32_e32 v31, s29
	s_mov_b32 s54, s20
	s_mov_b32 s58, s22
	;; [unrolled: 1-line block ×3, first 2 shown]
	s_delay_alu instid0(VALU_DEP_1) | instskip(SKIP_1) | instid1(VALU_DEP_1)
	v_cndmask_b32_e64 v32, 0x3ff00000, v31, s4
	v_cndmask_b32_e64 v31, 0, s28, s4
	v_cmp_neq_f64_e64 s4, 0, v[31:32]
	v_cmp_neq_f64_e64 s7, v[31:32], |v[31:32]|
	s_wait_alu 0xf1ff
	s_delay_alu instid0(VALU_DEP_2) | instskip(SKIP_1) | instid1(VALU_DEP_1)
	v_cndmask_b32_e64 v8, 0x3ff00000, v8, s4
	v_cndmask_b32_e64 v7, 0, v7, s4
	v_frexp_mant_f64_e64 v[33:34], |v[7:8]|
	v_frexp_exp_i32_f64_e32 v35, v[7:8]
	s_delay_alu instid0(VALU_DEP_2) | instskip(SKIP_1) | instid1(VALU_DEP_1)
	v_cmp_gt_f64_e64 s4, s[20:21], v[33:34]
	s_wait_alu 0xf1ff
	v_subrev_co_ci_u32_e64 v53, null, 0, v35, s4
	v_cndmask_b32_e64 v35, 0, 1, s4
	s_delay_alu instid0(VALU_DEP_1) | instskip(NEXT) | instid1(VALU_DEP_1)
	v_ldexp_f64 v[33:34], v[33:34], v35
	v_add_f64_e32 v[35:36], 1.0, v[33:34]
	v_add_f64_e32 v[41:42], -1.0, v[33:34]
	s_delay_alu instid0(VALU_DEP_2) | instskip(SKIP_1) | instid1(VALU_DEP_1)
	v_rcp_f64_e32 v[37:38], v[35:36]
	v_add_f64_e32 v[43:44], -1.0, v[35:36]
	v_add_f64_e64 v[33:34], v[33:34], -v[43:44]
	s_delay_alu instid0(TRANS32_DEP_1) | instskip(NEXT) | instid1(VALU_DEP_1)
	v_fma_f64 v[39:40], -v[35:36], v[37:38], 1.0
	v_fma_f64 v[37:38], v[39:40], v[37:38], v[37:38]
	s_delay_alu instid0(VALU_DEP_1) | instskip(NEXT) | instid1(VALU_DEP_1)
	v_fma_f64 v[39:40], -v[35:36], v[37:38], 1.0
	v_fma_f64 v[37:38], v[39:40], v[37:38], v[37:38]
	s_delay_alu instid0(VALU_DEP_1) | instskip(NEXT) | instid1(VALU_DEP_1)
	v_mul_f64_e32 v[39:40], v[41:42], v[37:38]
	v_mul_f64_e32 v[45:46], v[35:36], v[39:40]
	s_delay_alu instid0(VALU_DEP_1) | instskip(NEXT) | instid1(VALU_DEP_1)
	v_fma_f64 v[35:36], v[39:40], v[35:36], -v[45:46]
	v_fma_f64 v[33:34], v[39:40], v[33:34], v[35:36]
	s_delay_alu instid0(VALU_DEP_1) | instskip(NEXT) | instid1(VALU_DEP_1)
	v_add_f64_e32 v[35:36], v[45:46], v[33:34]
	v_add_f64_e64 v[43:44], v[41:42], -v[35:36]
	v_add_f64_e64 v[45:46], v[35:36], -v[45:46]
	s_delay_alu instid0(VALU_DEP_2) | instskip(NEXT) | instid1(VALU_DEP_2)
	v_add_f64_e64 v[41:42], v[41:42], -v[43:44]
	v_add_f64_e64 v[33:34], v[45:46], -v[33:34]
	s_delay_alu instid0(VALU_DEP_2) | instskip(NEXT) | instid1(VALU_DEP_1)
	v_add_f64_e64 v[35:36], v[41:42], -v[35:36]
	v_add_f64_e32 v[33:34], v[33:34], v[35:36]
	s_delay_alu instid0(VALU_DEP_1) | instskip(NEXT) | instid1(VALU_DEP_1)
	v_add_f64_e32 v[33:34], v[43:44], v[33:34]
	v_mul_f64_e32 v[33:34], v[37:38], v[33:34]
	s_delay_alu instid0(VALU_DEP_1) | instskip(NEXT) | instid1(VALU_DEP_1)
	v_add_f64_e32 v[35:36], v[39:40], v[33:34]
	v_add_f64_e64 v[37:38], v[35:36], -v[39:40]
	v_mul_f64_e32 v[39:40], v[35:36], v[35:36]
	s_delay_alu instid0(VALU_DEP_2) | instskip(NEXT) | instid1(VALU_DEP_2)
	v_add_f64_e64 v[33:34], v[33:34], -v[37:38]
	v_fma_f64 v[37:38], v[35:36], v[35:36], -v[39:40]
	s_delay_alu instid0(VALU_DEP_2) | instskip(NEXT) | instid1(VALU_DEP_1)
	v_add_f64_e32 v[41:42], v[33:34], v[33:34]
	v_fma_f64 v[37:38], v[35:36], v[41:42], v[37:38]
	s_delay_alu instid0(VALU_DEP_1) | instskip(NEXT) | instid1(VALU_DEP_1)
	v_add_f64_e32 v[41:42], v[39:40], v[37:38]
	v_fma_f64 v[43:44], v[41:42], s[36:37], s[34:35]
	v_add_f64_e64 v[39:40], v[41:42], -v[39:40]
	v_mul_f64_e32 v[49:50], v[35:36], v[41:42]
	s_delay_alu instid0(VALU_DEP_3) | instskip(NEXT) | instid1(VALU_DEP_3)
	v_fma_f64 v[43:44], v[41:42], v[43:44], s[38:39]
	v_add_f64_e64 v[37:38], v[37:38], -v[39:40]
	s_delay_alu instid0(VALU_DEP_3) | instskip(NEXT) | instid1(VALU_DEP_3)
	v_fma_f64 v[51:52], v[41:42], v[35:36], -v[49:50]
	v_fma_f64 v[43:44], v[41:42], v[43:44], s[40:41]
	s_delay_alu instid0(VALU_DEP_1) | instskip(NEXT) | instid1(VALU_DEP_1)
	v_fma_f64 v[43:44], v[41:42], v[43:44], s[42:43]
	v_fma_f64 v[43:44], v[41:42], v[43:44], s[44:45]
	s_delay_alu instid0(VALU_DEP_1) | instskip(NEXT) | instid1(VALU_DEP_1)
	v_fma_f64 v[43:44], v[41:42], v[43:44], s[46:47]
	v_fma_f64 v[43:44], v[41:42], v[43:44], s[48:49]
	s_delay_alu instid0(VALU_DEP_1) | instskip(NEXT) | instid1(VALU_DEP_1)
	v_fma_f64 v[43:44], v[41:42], v[43:44], s[50:51]
	v_mul_f64_e32 v[45:46], v[41:42], v[43:44]
	s_delay_alu instid0(VALU_DEP_1) | instskip(SKIP_2) | instid1(VALU_DEP_3)
	v_fma_f64 v[39:40], v[41:42], v[43:44], -v[45:46]
	v_fma_f64 v[41:42], v[41:42], v[33:34], v[51:52]
	v_ldexp_f64 v[33:34], v[33:34], 1
	v_fma_f64 v[39:40], v[37:38], v[43:44], v[39:40]
	s_delay_alu instid0(VALU_DEP_3) | instskip(SKIP_1) | instid1(VALU_DEP_3)
	v_fma_f64 v[37:38], v[37:38], v[35:36], v[41:42]
	v_ldexp_f64 v[35:36], v[35:36], 1
	v_add_f64_e32 v[43:44], v[45:46], v[39:40]
	s_delay_alu instid0(VALU_DEP_1) | instskip(SKIP_1) | instid1(VALU_DEP_2)
	v_add_f64_e64 v[45:46], v[43:44], -v[45:46]
	v_add_f64_e32 v[47:48], s[20:21], v[43:44]
	v_add_f64_e64 v[39:40], v[39:40], -v[45:46]
	s_wait_alu 0xfffe
	s_delay_alu instid0(VALU_DEP_2) | instskip(SKIP_1) | instid1(VALU_DEP_3)
	v_add_f64_e32 v[45:46], s[54:55], v[47:48]
	v_cmp_lt_f64_e64 s54, |v[7:8]|, 1.0
	v_add_f64_e32 v[39:40], s[52:53], v[39:40]
	s_delay_alu instid0(VALU_DEP_3) | instskip(SKIP_2) | instid1(VALU_DEP_2)
	v_add_f64_e64 v[43:44], v[43:44], -v[45:46]
	s_xor_b32 s7, s7, s54
	v_cmp_class_f64_e64 s54, v[7:8], 0x204
	v_add_f64_e32 v[39:40], v[39:40], v[43:44]
	v_add_f64_e32 v[43:44], v[49:50], v[37:38]
	s_delay_alu instid0(VALU_DEP_2) | instskip(NEXT) | instid1(VALU_DEP_2)
	v_add_f64_e32 v[41:42], v[47:48], v[39:40]
	v_add_f64_e64 v[49:50], v[43:44], -v[49:50]
	s_delay_alu instid0(VALU_DEP_2) | instskip(SKIP_1) | instid1(VALU_DEP_3)
	v_add_f64_e64 v[45:46], v[47:48], -v[41:42]
	v_mul_f64_e32 v[47:48], v[43:44], v[41:42]
	v_add_f64_e64 v[37:38], v[37:38], -v[49:50]
	s_delay_alu instid0(VALU_DEP_3) | instskip(NEXT) | instid1(VALU_DEP_3)
	v_add_f64_e32 v[39:40], v[39:40], v[45:46]
	v_fma_f64 v[45:46], v[43:44], v[41:42], -v[47:48]
	s_delay_alu instid0(VALU_DEP_1) | instskip(NEXT) | instid1(VALU_DEP_1)
	v_fma_f64 v[39:40], v[43:44], v[39:40], v[45:46]
	v_fma_f64 v[37:38], v[37:38], v[41:42], v[39:40]
	v_cvt_f64_i32_e32 v[41:42], v53
	s_delay_alu instid0(VALU_DEP_2) | instskip(NEXT) | instid1(VALU_DEP_1)
	v_add_f64_e32 v[39:40], v[47:48], v[37:38]
	v_add_f64_e64 v[43:44], v[39:40], -v[47:48]
	v_add_f64_e32 v[45:46], v[35:36], v[39:40]
	s_delay_alu instid0(VALU_DEP_4) | instskip(NEXT) | instid1(VALU_DEP_3)
	v_mul_f64_e32 v[47:48], s[22:23], v[41:42]
	v_add_f64_e64 v[37:38], v[37:38], -v[43:44]
	s_delay_alu instid0(VALU_DEP_3) | instskip(NEXT) | instid1(VALU_DEP_3)
	v_add_f64_e64 v[35:36], v[45:46], -v[35:36]
	v_fma_f64 v[43:44], v[41:42], s[22:23], -v[47:48]
	s_delay_alu instid0(VALU_DEP_3) | instskip(NEXT) | instid1(VALU_DEP_3)
	v_add_f64_e32 v[33:34], v[33:34], v[37:38]
	v_add_f64_e64 v[35:36], v[39:40], -v[35:36]
	s_delay_alu instid0(VALU_DEP_3) | instskip(NEXT) | instid1(VALU_DEP_2)
	v_fma_f64 v[37:38], v[41:42], s[30:31], v[43:44]
	v_add_f64_e32 v[33:34], v[33:34], v[35:36]
	s_delay_alu instid0(VALU_DEP_2) | instskip(NEXT) | instid1(VALU_DEP_2)
	v_add_f64_e32 v[35:36], v[47:48], v[37:38]
	v_add_f64_e32 v[39:40], v[45:46], v[33:34]
	s_delay_alu instid0(VALU_DEP_2) | instskip(NEXT) | instid1(VALU_DEP_2)
	v_add_f64_e64 v[47:48], v[35:36], -v[47:48]
	v_add_f64_e32 v[41:42], v[35:36], v[39:40]
	v_add_f64_e64 v[45:46], v[39:40], -v[45:46]
	s_delay_alu instid0(VALU_DEP_3) | instskip(NEXT) | instid1(VALU_DEP_3)
	v_add_f64_e64 v[37:38], v[37:38], -v[47:48]
	v_add_f64_e64 v[43:44], v[41:42], -v[35:36]
	s_delay_alu instid0(VALU_DEP_3) | instskip(NEXT) | instid1(VALU_DEP_2)
	v_add_f64_e64 v[33:34], v[33:34], -v[45:46]
	v_add_f64_e64 v[49:50], v[41:42], -v[43:44]
	;; [unrolled: 1-line block ×3, first 2 shown]
	s_delay_alu instid0(VALU_DEP_3) | instskip(NEXT) | instid1(VALU_DEP_3)
	v_add_f64_e32 v[43:44], v[37:38], v[33:34]
	v_add_f64_e64 v[35:36], v[35:36], -v[49:50]
	s_delay_alu instid0(VALU_DEP_1) | instskip(NEXT) | instid1(VALU_DEP_3)
	v_add_f64_e32 v[35:36], v[39:40], v[35:36]
	v_add_f64_e64 v[39:40], v[43:44], -v[37:38]
	s_delay_alu instid0(VALU_DEP_2) | instskip(NEXT) | instid1(VALU_DEP_2)
	v_add_f64_e32 v[35:36], v[43:44], v[35:36]
	v_add_f64_e64 v[43:44], v[43:44], -v[39:40]
	v_add_f64_e64 v[33:34], v[33:34], -v[39:40]
	s_delay_alu instid0(VALU_DEP_3) | instskip(NEXT) | instid1(VALU_DEP_3)
	v_add_f64_e32 v[45:46], v[41:42], v[35:36]
	v_add_f64_e64 v[37:38], v[37:38], -v[43:44]
	s_delay_alu instid0(VALU_DEP_2) | instskip(NEXT) | instid1(VALU_DEP_2)
	v_add_f64_e64 v[39:40], v[45:46], -v[41:42]
	v_add_f64_e32 v[33:34], v[33:34], v[37:38]
	s_delay_alu instid0(VALU_DEP_2) | instskip(NEXT) | instid1(VALU_DEP_1)
	v_add_f64_e64 v[35:36], v[35:36], -v[39:40]
	v_add_f64_e32 v[33:34], v[33:34], v[35:36]
	s_delay_alu instid0(VALU_DEP_1) | instskip(NEXT) | instid1(VALU_DEP_1)
	v_add_f64_e32 v[35:36], v[45:46], v[33:34]
	v_add_f64_e64 v[37:38], v[35:36], -v[45:46]
	v_mul_f64_e32 v[39:40], v[31:32], v[35:36]
	s_delay_alu instid0(VALU_DEP_2) | instskip(NEXT) | instid1(VALU_DEP_2)
	v_add_f64_e64 v[33:34], v[33:34], -v[37:38]
	v_fma_f64 v[35:36], v[31:32], v[35:36], -v[39:40]
	v_cmp_class_f64_e64 s4, v[39:40], 0x204
	s_delay_alu instid0(VALU_DEP_2) | instskip(NEXT) | instid1(VALU_DEP_1)
	v_fma_f64 v[33:34], v[31:32], v[33:34], v[35:36]
	v_add_f64_e32 v[35:36], v[39:40], v[33:34]
	s_wait_alu 0xf1ff
	s_delay_alu instid0(VALU_DEP_1) | instskip(NEXT) | instid1(VALU_DEP_2)
	v_cndmask_b32_e64 v38, v36, v40, s4
	v_cndmask_b32_e64 v37, v35, v39, s4
	v_add_f64_e64 v[35:36], v[35:36], -v[39:40]
	s_delay_alu instid0(VALU_DEP_2)
	v_mul_f64_e32 v[41:42], s[56:57], v[37:38]
	v_cmp_nlt_f64_e64 s5, 0x40900000, v[37:38]
	v_cmp_neq_f64_e64 s4, 0x7ff00000, |v[37:38]|
	v_cmp_ngt_f64_e64 s6, 0xc090cc00, v[37:38]
	v_add_f64_e64 v[33:34], v[33:34], -v[35:36]
	v_trunc_f64_e32 v[35:36], v[31:32]
	v_rndne_f64_e32 v[41:42], v[41:42]
	s_wait_alu 0xf1ff
	s_delay_alu instid0(VALU_DEP_3) | instskip(NEXT) | instid1(VALU_DEP_4)
	v_cndmask_b32_e64 v34, 0, v34, s4
	v_cndmask_b32_e64 v33, 0, v33, s4
	s_and_b32 s4, s6, s5
	s_delay_alu instid0(VALU_DEP_3) | instskip(SKIP_1) | instid1(VALU_DEP_2)
	v_fma_f64 v[43:44], v[41:42], s[58:59], v[37:38]
	v_cvt_i32_f64_e32 v47, v[41:42]
	v_fma_f64 v[43:44], v[41:42], s[60:61], v[43:44]
	s_delay_alu instid0(VALU_DEP_1) | instskip(NEXT) | instid1(VALU_DEP_1)
	v_fma_f64 v[45:46], v[43:44], s[64:65], s[62:63]
	v_fma_f64 v[45:46], v[43:44], v[45:46], s[66:67]
	s_delay_alu instid0(VALU_DEP_1) | instskip(NEXT) | instid1(VALU_DEP_1)
	v_fma_f64 v[45:46], v[43:44], v[45:46], s[68:69]
	;; [unrolled: 3-line block ×5, first 2 shown]
	v_fma_f64 v[45:46], v[43:44], v[45:46], 1.0
	s_delay_alu instid0(VALU_DEP_1) | instskip(NEXT) | instid1(VALU_DEP_1)
	v_fma_f64 v[41:42], v[43:44], v[45:46], 1.0
	v_ldexp_f64 v[39:40], v[41:42], v47
	v_mul_f64_e32 v[41:42], 0.5, v[31:32]
	s_delay_alu instid0(VALU_DEP_2) | instskip(NEXT) | instid1(VALU_DEP_2)
	v_cndmask_b32_e64 v40, 0x7ff00000, v40, s5
	v_trunc_f64_e32 v[37:38], v[41:42]
	s_wait_alu 0xfffe
	s_delay_alu instid0(VALU_DEP_4) | instskip(SKIP_2) | instid1(VALU_DEP_1)
	v_cndmask_b32_e64 v39, 0, v39, s4
	v_cmp_eq_f64_e64 s4, v[35:36], v[31:32]
	v_cndmask_b32_e64 v40, 0, v40, s6
	v_fma_f64 v[33:34], v[39:40], v[33:34], v[39:40]
	v_cmp_class_f64_e64 s6, v[39:40], 0x204
	v_cmp_neq_f64_e64 s5, v[37:38], v[41:42]
	v_cndmask_b32_e64 v38, 0x7ff00000, 0, s7
	v_cmp_neq_f64_e64 s7, |v[7:8]|, 1.0
	s_wait_alu 0xf1ff
	s_delay_alu instid0(VALU_DEP_4) | instskip(SKIP_2) | instid1(VALU_DEP_2)
	v_cndmask_b32_e64 v34, v34, v40, s6
	v_cndmask_b32_e64 v33, v33, v39, s6
	v_cmp_eq_f64_e64 s6, 0, v[7:8]
	v_cndmask_b32_e64 v37, 0, v33, s4
	s_and_b32 s5, s4, s5
	s_wait_alu 0xfffe
	v_cndmask_b32_e64 v36, 0x3ff00000, v8, s5
	v_cndmask_b32_e64 v35, 0, v8, s5
	v_cmp_gt_f64_e64 s5, 0, v[31:32]
	v_cndmask_b32_e64 v38, 0x3ff00000, v38, s7
	s_delay_alu instid0(VALU_DEP_4) | instskip(NEXT) | instid1(VALU_DEP_1)
	v_bfi_b32 v34, 0x7fffffff, v34, v36
	v_cndmask_b32_e64 v36, 0x7ff80000, v34, s4
	v_cmp_gt_f64_e64 s4, 0, v[7:8]
	s_xor_b32 s5, s5, s6
	v_cndmask_b32_e64 v33, v33, v37, s4
	v_cndmask_b32_e64 v34, v34, v36, s4
	v_cmp_class_f64_e64 s4, v[31:32], 0x204
	s_wait_alu 0xfffe
	v_cndmask_b32_e64 v36, 0x7ff00000, 0, s5
	s_or_b32 s5, s6, s54
	s_delay_alu instid0(VALU_DEP_1)
	v_bfi_b32 v35, 0x7fffffff, v36, v35
	v_cndmask_b32_e64 v34, v34, v38, s4
	s_wait_alu 0xfffe
	s_or_b32 s4, s5, s4
	s_wait_alu 0xfffe
	v_cndmask_b32_e64 v33, v33, 0, s4
	v_cmp_o_f64_e64 s4, v[7:8], v[31:32]
	v_cndmask_b32_e64 v34, v34, v35, s5
	v_add_co_u32 v7, s5, v11, s8
	s_wait_alu 0xf1ff
	v_add_co_ci_u32_e64 v8, null, s9, v12, s5
	s_delay_alu instid0(VALU_DEP_4)
	v_cndmask_b32_e64 v31, 0, v33, s4
	v_cndmask_b32_e64 v32, 0x7ff80000, v34, s4
	global_store_b64 v[7:8], v[31:32], off
	s_or_b32 exec_lo, exec_lo, s82
	s_and_saveexec_b32 s82, s3
	s_cbranch_execz .LBB66_13
.LBB66_17:                              ;   in Loop: Header=BB66_4 Depth=1
	s_wait_loadcnt 0x0
	v_cmp_neq_f64_e64 s3, 1.0, v[5:6]
	v_mov_b32_e32 v7, s29
	s_mov_b32 s54, s20
	s_mov_b32 s58, s22
	;; [unrolled: 1-line block ×3, first 2 shown]
	s_delay_alu instid0(VALU_DEP_1) | instskip(SKIP_1) | instid1(VALU_DEP_1)
	v_cndmask_b32_e64 v8, 0x3ff00000, v7, s3
	v_cndmask_b32_e64 v7, 0, s28, s3
	v_cmp_neq_f64_e64 s3, 0, v[7:8]
	v_cmp_neq_f64_e64 s7, v[7:8], |v[7:8]|
	s_wait_alu 0xf1ff
	s_delay_alu instid0(VALU_DEP_2) | instskip(SKIP_1) | instid1(VALU_DEP_1)
	v_cndmask_b32_e64 v6, 0x3ff00000, v6, s3
	v_cndmask_b32_e64 v5, 0, v5, s3
	v_frexp_mant_f64_e64 v[31:32], |v[5:6]|
	v_cmp_eq_f64_e64 s6, 0, v[5:6]
	s_delay_alu instid0(VALU_DEP_2) | instskip(SKIP_1) | instid1(VALU_DEP_1)
	v_cmp_gt_f64_e64 s3, s[20:21], v[31:32]
	s_wait_alu 0xf1ff
	v_cndmask_b32_e64 v33, 0, 1, s3
	s_delay_alu instid0(VALU_DEP_1) | instskip(NEXT) | instid1(VALU_DEP_1)
	v_ldexp_f64 v[31:32], v[31:32], v33
	v_add_f64_e32 v[33:34], 1.0, v[31:32]
	v_add_f64_e32 v[39:40], -1.0, v[31:32]
	s_delay_alu instid0(VALU_DEP_2) | instskip(SKIP_1) | instid1(VALU_DEP_1)
	v_rcp_f64_e32 v[35:36], v[33:34]
	v_add_f64_e32 v[41:42], -1.0, v[33:34]
	v_add_f64_e64 v[31:32], v[31:32], -v[41:42]
	s_delay_alu instid0(TRANS32_DEP_1) | instskip(NEXT) | instid1(VALU_DEP_1)
	v_fma_f64 v[37:38], -v[33:34], v[35:36], 1.0
	v_fma_f64 v[35:36], v[37:38], v[35:36], v[35:36]
	s_delay_alu instid0(VALU_DEP_1) | instskip(NEXT) | instid1(VALU_DEP_1)
	v_fma_f64 v[37:38], -v[33:34], v[35:36], 1.0
	v_fma_f64 v[35:36], v[37:38], v[35:36], v[35:36]
	s_delay_alu instid0(VALU_DEP_1) | instskip(NEXT) | instid1(VALU_DEP_1)
	v_mul_f64_e32 v[37:38], v[39:40], v[35:36]
	v_mul_f64_e32 v[43:44], v[33:34], v[37:38]
	s_delay_alu instid0(VALU_DEP_1) | instskip(NEXT) | instid1(VALU_DEP_1)
	v_fma_f64 v[33:34], v[37:38], v[33:34], -v[43:44]
	v_fma_f64 v[31:32], v[37:38], v[31:32], v[33:34]
	s_delay_alu instid0(VALU_DEP_1) | instskip(NEXT) | instid1(VALU_DEP_1)
	v_add_f64_e32 v[33:34], v[43:44], v[31:32]
	v_add_f64_e64 v[41:42], v[39:40], -v[33:34]
	v_add_f64_e64 v[43:44], v[33:34], -v[43:44]
	s_delay_alu instid0(VALU_DEP_2) | instskip(NEXT) | instid1(VALU_DEP_2)
	v_add_f64_e64 v[39:40], v[39:40], -v[41:42]
	v_add_f64_e64 v[31:32], v[43:44], -v[31:32]
	s_delay_alu instid0(VALU_DEP_2) | instskip(NEXT) | instid1(VALU_DEP_1)
	v_add_f64_e64 v[33:34], v[39:40], -v[33:34]
	v_add_f64_e32 v[31:32], v[31:32], v[33:34]
	s_delay_alu instid0(VALU_DEP_1) | instskip(NEXT) | instid1(VALU_DEP_1)
	v_add_f64_e32 v[31:32], v[41:42], v[31:32]
	v_mul_f64_e32 v[31:32], v[35:36], v[31:32]
	s_delay_alu instid0(VALU_DEP_1) | instskip(NEXT) | instid1(VALU_DEP_1)
	v_add_f64_e32 v[33:34], v[37:38], v[31:32]
	v_add_f64_e64 v[35:36], v[33:34], -v[37:38]
	v_mul_f64_e32 v[37:38], v[33:34], v[33:34]
	s_delay_alu instid0(VALU_DEP_2) | instskip(NEXT) | instid1(VALU_DEP_2)
	v_add_f64_e64 v[31:32], v[31:32], -v[35:36]
	v_fma_f64 v[35:36], v[33:34], v[33:34], -v[37:38]
	s_delay_alu instid0(VALU_DEP_2) | instskip(NEXT) | instid1(VALU_DEP_1)
	v_add_f64_e32 v[39:40], v[31:32], v[31:32]
	v_fma_f64 v[35:36], v[33:34], v[39:40], v[35:36]
	s_delay_alu instid0(VALU_DEP_1) | instskip(NEXT) | instid1(VALU_DEP_1)
	v_add_f64_e32 v[39:40], v[37:38], v[35:36]
	v_fma_f64 v[41:42], v[39:40], s[36:37], s[34:35]
	v_add_f64_e64 v[37:38], v[39:40], -v[37:38]
	v_mul_f64_e32 v[47:48], v[33:34], v[39:40]
	s_delay_alu instid0(VALU_DEP_3) | instskip(NEXT) | instid1(VALU_DEP_3)
	v_fma_f64 v[41:42], v[39:40], v[41:42], s[38:39]
	v_add_f64_e64 v[35:36], v[35:36], -v[37:38]
	s_delay_alu instid0(VALU_DEP_2) | instskip(NEXT) | instid1(VALU_DEP_1)
	v_fma_f64 v[41:42], v[39:40], v[41:42], s[40:41]
	v_fma_f64 v[41:42], v[39:40], v[41:42], s[42:43]
	s_delay_alu instid0(VALU_DEP_1) | instskip(NEXT) | instid1(VALU_DEP_1)
	v_fma_f64 v[41:42], v[39:40], v[41:42], s[44:45]
	v_fma_f64 v[41:42], v[39:40], v[41:42], s[46:47]
	s_delay_alu instid0(VALU_DEP_1) | instskip(NEXT) | instid1(VALU_DEP_1)
	;; [unrolled: 3-line block ×3, first 2 shown]
	v_mul_f64_e32 v[43:44], v[39:40], v[41:42]
	v_fma_f64 v[37:38], v[39:40], v[41:42], -v[43:44]
	s_delay_alu instid0(VALU_DEP_1) | instskip(NEXT) | instid1(VALU_DEP_1)
	v_fma_f64 v[37:38], v[35:36], v[41:42], v[37:38]
	v_add_f64_e32 v[41:42], v[43:44], v[37:38]
	s_delay_alu instid0(VALU_DEP_1) | instskip(SKIP_2) | instid1(VALU_DEP_2)
	v_add_f64_e32 v[45:46], s[20:21], v[41:42]
	v_add_f64_e64 v[43:44], v[41:42], -v[43:44]
	s_wait_alu 0xfffe
	v_add_f64_e32 v[49:50], s[54:55], v[45:46]
	s_delay_alu instid0(VALU_DEP_2) | instskip(SKIP_2) | instid1(VALU_DEP_4)
	v_add_f64_e64 v[37:38], v[37:38], -v[43:44]
	v_fma_f64 v[43:44], v[39:40], v[33:34], -v[47:48]
	v_cmp_lt_f64_e64 s54, |v[5:6]|, 1.0
	v_add_f64_e64 v[41:42], v[41:42], -v[49:50]
	s_delay_alu instid0(VALU_DEP_4) | instskip(NEXT) | instid1(VALU_DEP_4)
	v_add_f64_e32 v[37:38], s[52:53], v[37:38]
	v_fma_f64 v[39:40], v[39:40], v[31:32], v[43:44]
	v_ldexp_f64 v[31:32], v[31:32], 1
	s_xor_b32 s7, s7, s54
	v_cmp_class_f64_e64 s54, v[5:6], 0x204
	s_delay_alu instid0(VALU_DEP_4) | instskip(NEXT) | instid1(VALU_DEP_4)
	v_add_f64_e32 v[37:38], v[37:38], v[41:42]
	v_fma_f64 v[35:36], v[35:36], v[33:34], v[39:40]
	v_ldexp_f64 v[33:34], v[33:34], 1
	s_delay_alu instid0(VALU_DEP_3) | instskip(NEXT) | instid1(VALU_DEP_3)
	v_add_f64_e32 v[39:40], v[45:46], v[37:38]
	v_add_f64_e32 v[41:42], v[47:48], v[35:36]
	s_delay_alu instid0(VALU_DEP_2) | instskip(NEXT) | instid1(VALU_DEP_2)
	v_add_f64_e64 v[43:44], v[45:46], -v[39:40]
	v_mul_f64_e32 v[45:46], v[41:42], v[39:40]
	v_add_f64_e64 v[47:48], v[41:42], -v[47:48]
	s_delay_alu instid0(VALU_DEP_3) | instskip(NEXT) | instid1(VALU_DEP_3)
	v_add_f64_e32 v[37:38], v[37:38], v[43:44]
	v_fma_f64 v[43:44], v[41:42], v[39:40], -v[45:46]
	s_delay_alu instid0(VALU_DEP_3) | instskip(NEXT) | instid1(VALU_DEP_2)
	v_add_f64_e64 v[35:36], v[35:36], -v[47:48]
	v_fma_f64 v[37:38], v[41:42], v[37:38], v[43:44]
	s_delay_alu instid0(VALU_DEP_1) | instskip(SKIP_1) | instid1(VALU_DEP_2)
	v_fma_f64 v[35:36], v[35:36], v[39:40], v[37:38]
	v_frexp_exp_i32_f64_e32 v39, v[5:6]
	v_add_f64_e32 v[37:38], v[45:46], v[35:36]
	s_delay_alu instid0(VALU_DEP_2) | instskip(NEXT) | instid1(VALU_DEP_1)
	v_subrev_co_ci_u32_e64 v39, null, 0, v39, s3
	v_cvt_f64_i32_e32 v[39:40], v39
	s_delay_alu instid0(VALU_DEP_3) | instskip(SKIP_1) | instid1(VALU_DEP_3)
	v_add_f64_e32 v[41:42], v[33:34], v[37:38]
	v_add_f64_e64 v[43:44], v[37:38], -v[45:46]
	v_mul_f64_e32 v[45:46], s[22:23], v[39:40]
	s_delay_alu instid0(VALU_DEP_3) | instskip(NEXT) | instid1(VALU_DEP_3)
	v_add_f64_e64 v[33:34], v[41:42], -v[33:34]
	v_add_f64_e64 v[35:36], v[35:36], -v[43:44]
	s_delay_alu instid0(VALU_DEP_3) | instskip(NEXT) | instid1(VALU_DEP_3)
	v_fma_f64 v[43:44], v[39:40], s[22:23], -v[45:46]
	v_add_f64_e64 v[33:34], v[37:38], -v[33:34]
	s_delay_alu instid0(VALU_DEP_3) | instskip(NEXT) | instid1(VALU_DEP_3)
	v_add_f64_e32 v[31:32], v[31:32], v[35:36]
	v_fma_f64 v[35:36], v[39:40], s[30:31], v[43:44]
	s_delay_alu instid0(VALU_DEP_2) | instskip(NEXT) | instid1(VALU_DEP_2)
	v_add_f64_e32 v[31:32], v[31:32], v[33:34]
	v_add_f64_e32 v[33:34], v[45:46], v[35:36]
	s_delay_alu instid0(VALU_DEP_2) | instskip(NEXT) | instid1(VALU_DEP_2)
	v_add_f64_e32 v[37:38], v[41:42], v[31:32]
	v_add_f64_e64 v[45:46], v[33:34], -v[45:46]
	s_delay_alu instid0(VALU_DEP_2) | instskip(SKIP_1) | instid1(VALU_DEP_3)
	v_add_f64_e32 v[39:40], v[33:34], v[37:38]
	v_add_f64_e64 v[41:42], v[37:38], -v[41:42]
	v_add_f64_e64 v[35:36], v[35:36], -v[45:46]
	s_delay_alu instid0(VALU_DEP_3) | instskip(NEXT) | instid1(VALU_DEP_3)
	v_add_f64_e64 v[43:44], v[39:40], -v[33:34]
	v_add_f64_e64 v[31:32], v[31:32], -v[41:42]
	s_delay_alu instid0(VALU_DEP_2) | instskip(SKIP_1) | instid1(VALU_DEP_3)
	v_add_f64_e64 v[47:48], v[39:40], -v[43:44]
	v_add_f64_e64 v[37:38], v[37:38], -v[43:44]
	v_add_f64_e32 v[41:42], v[35:36], v[31:32]
	s_delay_alu instid0(VALU_DEP_3) | instskip(NEXT) | instid1(VALU_DEP_1)
	v_add_f64_e64 v[33:34], v[33:34], -v[47:48]
	v_add_f64_e32 v[33:34], v[37:38], v[33:34]
	s_delay_alu instid0(VALU_DEP_3) | instskip(NEXT) | instid1(VALU_DEP_2)
	v_add_f64_e64 v[37:38], v[41:42], -v[35:36]
	v_add_f64_e32 v[33:34], v[41:42], v[33:34]
	s_delay_alu instid0(VALU_DEP_2) | instskip(SKIP_1) | instid1(VALU_DEP_3)
	v_add_f64_e64 v[41:42], v[41:42], -v[37:38]
	v_add_f64_e64 v[31:32], v[31:32], -v[37:38]
	v_add_f64_e32 v[43:44], v[39:40], v[33:34]
	s_delay_alu instid0(VALU_DEP_3) | instskip(NEXT) | instid1(VALU_DEP_2)
	v_add_f64_e64 v[35:36], v[35:36], -v[41:42]
	v_add_f64_e64 v[37:38], v[43:44], -v[39:40]
	s_delay_alu instid0(VALU_DEP_2) | instskip(NEXT) | instid1(VALU_DEP_2)
	v_add_f64_e32 v[31:32], v[31:32], v[35:36]
	v_add_f64_e64 v[33:34], v[33:34], -v[37:38]
	s_delay_alu instid0(VALU_DEP_1) | instskip(NEXT) | instid1(VALU_DEP_1)
	v_add_f64_e32 v[31:32], v[31:32], v[33:34]
	v_add_f64_e32 v[33:34], v[43:44], v[31:32]
	s_delay_alu instid0(VALU_DEP_1) | instskip(SKIP_1) | instid1(VALU_DEP_2)
	v_add_f64_e64 v[35:36], v[33:34], -v[43:44]
	v_mul_f64_e32 v[37:38], v[7:8], v[33:34]
	v_add_f64_e64 v[31:32], v[31:32], -v[35:36]
	s_delay_alu instid0(VALU_DEP_2) | instskip(SKIP_1) | instid1(VALU_DEP_2)
	v_fma_f64 v[33:34], v[7:8], v[33:34], -v[37:38]
	v_cmp_class_f64_e64 s3, v[37:38], 0x204
	v_fma_f64 v[31:32], v[7:8], v[31:32], v[33:34]
	s_delay_alu instid0(VALU_DEP_1) | instskip(SKIP_1) | instid1(VALU_DEP_1)
	v_add_f64_e32 v[33:34], v[37:38], v[31:32]
	s_wait_alu 0xf1ff
	v_cndmask_b32_e64 v36, v34, v38, s3
	s_delay_alu instid0(VALU_DEP_2) | instskip(SKIP_1) | instid1(VALU_DEP_2)
	v_cndmask_b32_e64 v35, v33, v37, s3
	v_add_f64_e64 v[33:34], v[33:34], -v[37:38]
	v_mul_f64_e32 v[39:40], s[56:57], v[35:36]
	v_cmp_nlt_f64_e64 s4, 0x40900000, v[35:36]
	v_cmp_neq_f64_e64 s3, 0x7ff00000, |v[35:36]|
	v_cmp_ngt_f64_e64 s5, 0xc090cc00, v[35:36]
	v_add_f64_e64 v[31:32], v[31:32], -v[33:34]
	v_trunc_f64_e32 v[33:34], v[7:8]
	v_rndne_f64_e32 v[39:40], v[39:40]
	s_wait_alu 0xf1ff
	s_delay_alu instid0(VALU_DEP_3) | instskip(NEXT) | instid1(VALU_DEP_4)
	v_cndmask_b32_e64 v32, 0, v32, s3
	v_cndmask_b32_e64 v31, 0, v31, s3
	s_and_b32 s3, s5, s4
	s_delay_alu instid0(VALU_DEP_3) | instskip(SKIP_1) | instid1(VALU_DEP_2)
	v_fma_f64 v[41:42], v[39:40], s[58:59], v[35:36]
	v_cvt_i32_f64_e32 v45, v[39:40]
	v_fma_f64 v[41:42], v[39:40], s[60:61], v[41:42]
	s_delay_alu instid0(VALU_DEP_1) | instskip(NEXT) | instid1(VALU_DEP_1)
	v_fma_f64 v[43:44], v[41:42], s[64:65], s[62:63]
	v_fma_f64 v[43:44], v[41:42], v[43:44], s[66:67]
	s_delay_alu instid0(VALU_DEP_1) | instskip(NEXT) | instid1(VALU_DEP_1)
	v_fma_f64 v[43:44], v[41:42], v[43:44], s[68:69]
	;; [unrolled: 3-line block ×5, first 2 shown]
	v_fma_f64 v[43:44], v[41:42], v[43:44], 1.0
	s_delay_alu instid0(VALU_DEP_1) | instskip(NEXT) | instid1(VALU_DEP_1)
	v_fma_f64 v[39:40], v[41:42], v[43:44], 1.0
	v_ldexp_f64 v[37:38], v[39:40], v45
	v_mul_f64_e32 v[39:40], 0.5, v[7:8]
	s_delay_alu instid0(VALU_DEP_2) | instskip(NEXT) | instid1(VALU_DEP_2)
	v_cndmask_b32_e64 v38, 0x7ff00000, v38, s4
	v_trunc_f64_e32 v[35:36], v[39:40]
	s_wait_alu 0xfffe
	s_delay_alu instid0(VALU_DEP_4) | instskip(SKIP_2) | instid1(VALU_DEP_1)
	v_cndmask_b32_e64 v37, 0, v37, s3
	v_cmp_eq_f64_e64 s3, v[33:34], v[7:8]
	v_cndmask_b32_e64 v38, 0, v38, s5
	v_fma_f64 v[31:32], v[37:38], v[31:32], v[37:38]
	v_cmp_class_f64_e64 s5, v[37:38], 0x204
	v_cmp_neq_f64_e64 s4, v[35:36], v[39:40]
	v_cndmask_b32_e64 v35, 0x7ff00000, 0, s7
	v_cmp_neq_f64_e64 s7, |v[5:6]|, 1.0
	s_wait_alu 0xf1ff
	s_delay_alu instid0(VALU_DEP_4) | instskip(SKIP_2) | instid1(VALU_DEP_2)
	v_cndmask_b32_e64 v32, v32, v38, s5
	v_cndmask_b32_e64 v31, v31, v37, s5
	v_cmp_gt_f64_e64 s5, 0, v[7:8]
	v_cndmask_b32_e64 v34, 0, v31, s3
	s_and_b32 s4, s3, s4
	s_wait_alu 0xfffe
	v_cndmask_b32_e64 v33, 0x3ff00000, v6, s4
	v_cndmask_b32_e64 v35, 0x3ff00000, v35, s7
	s_delay_alu instid0(VALU_DEP_2) | instskip(NEXT) | instid1(VALU_DEP_1)
	v_bfi_b32 v32, 0x7fffffff, v32, v33
	v_cndmask_b32_e64 v33, 0x7ff80000, v32, s3
	v_cmp_gt_f64_e64 s3, 0, v[5:6]
	s_xor_b32 s5, s5, s6
	v_cndmask_b32_e64 v31, v31, v34, s3
	v_cndmask_b32_e64 v32, v32, v33, s3
	v_cmp_class_f64_e64 s3, v[7:8], 0x204
	v_cndmask_b32_e64 v34, 0, v6, s4
	s_or_b32 s4, s6, s54
	s_wait_alu 0xfffe
	v_cndmask_b32_e64 v33, 0x7ff00000, 0, s5
	s_delay_alu instid0(VALU_DEP_1)
	v_bfi_b32 v33, 0x7fffffff, v33, v34
	v_cndmask_b32_e64 v32, v32, v35, s3
	s_or_b32 s3, s4, s3
	s_wait_alu 0xfffe
	v_cndmask_b32_e64 v31, v31, 0, s3
	v_cmp_o_f64_e64 s3, v[5:6], v[7:8]
	v_cndmask_b32_e64 v32, v32, v33, s4
	s_wait_alu 0xf1ff
	s_delay_alu instid0(VALU_DEP_2) | instskip(NEXT) | instid1(VALU_DEP_2)
	v_cndmask_b32_e64 v5, 0, v31, s3
	v_cndmask_b32_e64 v6, 0x7ff80000, v32, s3
	v_add_co_u32 v7, s3, v29, s8
	s_wait_alu 0xf1ff
	v_add_co_ci_u32_e64 v8, null, s9, v30, s3
	global_store_b64 v[7:8], v[5:6], off
	s_or_b32 exec_lo, exec_lo, s82
	s_and_saveexec_b32 s7, s2
	s_cbranch_execz .LBB66_14
.LBB66_18:                              ;   in Loop: Header=BB66_4 Depth=1
	s_wait_loadcnt 0x0
	v_cmp_neq_f64_e64 s2, 1.0, v[3:4]
	v_mov_b32_e32 v5, s29
	s_mov_b32 s54, s20
	s_mov_b32 s58, s22
	;; [unrolled: 1-line block ×3, first 2 shown]
	s_delay_alu instid0(VALU_DEP_1) | instskip(SKIP_1) | instid1(VALU_DEP_1)
	v_cndmask_b32_e64 v6, 0x3ff00000, v5, s2
	v_cndmask_b32_e64 v5, 0, s28, s2
	v_cmp_neq_f64_e64 s2, 0, v[5:6]
	v_cmp_neq_f64_e64 s6, v[5:6], |v[5:6]|
	s_wait_alu 0xf1ff
	s_delay_alu instid0(VALU_DEP_2) | instskip(SKIP_1) | instid1(VALU_DEP_1)
	v_cndmask_b32_e64 v4, 0x3ff00000, v4, s2
	v_cndmask_b32_e64 v3, 0, v3, s2
	v_frexp_mant_f64_e64 v[7:8], |v[3:4]|
	v_cmp_eq_f64_e64 s5, 0, v[3:4]
	s_delay_alu instid0(VALU_DEP_2) | instskip(SKIP_1) | instid1(VALU_DEP_1)
	v_cmp_gt_f64_e64 s2, s[20:21], v[7:8]
	s_wait_alu 0xf1ff
	v_cndmask_b32_e64 v31, 0, 1, s2
	s_delay_alu instid0(VALU_DEP_1) | instskip(NEXT) | instid1(VALU_DEP_1)
	v_ldexp_f64 v[7:8], v[7:8], v31
	v_add_f64_e32 v[31:32], 1.0, v[7:8]
	v_add_f64_e32 v[37:38], -1.0, v[7:8]
	s_delay_alu instid0(VALU_DEP_2) | instskip(SKIP_1) | instid1(VALU_DEP_1)
	v_rcp_f64_e32 v[33:34], v[31:32]
	v_add_f64_e32 v[39:40], -1.0, v[31:32]
	v_add_f64_e64 v[7:8], v[7:8], -v[39:40]
	s_delay_alu instid0(TRANS32_DEP_1) | instskip(NEXT) | instid1(VALU_DEP_1)
	v_fma_f64 v[35:36], -v[31:32], v[33:34], 1.0
	v_fma_f64 v[33:34], v[35:36], v[33:34], v[33:34]
	s_delay_alu instid0(VALU_DEP_1) | instskip(NEXT) | instid1(VALU_DEP_1)
	v_fma_f64 v[35:36], -v[31:32], v[33:34], 1.0
	v_fma_f64 v[33:34], v[35:36], v[33:34], v[33:34]
	s_delay_alu instid0(VALU_DEP_1) | instskip(NEXT) | instid1(VALU_DEP_1)
	v_mul_f64_e32 v[35:36], v[37:38], v[33:34]
	v_mul_f64_e32 v[41:42], v[31:32], v[35:36]
	s_delay_alu instid0(VALU_DEP_1) | instskip(NEXT) | instid1(VALU_DEP_1)
	v_fma_f64 v[31:32], v[35:36], v[31:32], -v[41:42]
	v_fma_f64 v[7:8], v[35:36], v[7:8], v[31:32]
	s_delay_alu instid0(VALU_DEP_1) | instskip(NEXT) | instid1(VALU_DEP_1)
	v_add_f64_e32 v[31:32], v[41:42], v[7:8]
	v_add_f64_e64 v[39:40], v[37:38], -v[31:32]
	v_add_f64_e64 v[41:42], v[31:32], -v[41:42]
	s_delay_alu instid0(VALU_DEP_2) | instskip(NEXT) | instid1(VALU_DEP_2)
	v_add_f64_e64 v[37:38], v[37:38], -v[39:40]
	v_add_f64_e64 v[7:8], v[41:42], -v[7:8]
	s_delay_alu instid0(VALU_DEP_2) | instskip(NEXT) | instid1(VALU_DEP_1)
	v_add_f64_e64 v[31:32], v[37:38], -v[31:32]
	v_add_f64_e32 v[7:8], v[7:8], v[31:32]
	s_delay_alu instid0(VALU_DEP_1) | instskip(NEXT) | instid1(VALU_DEP_1)
	v_add_f64_e32 v[7:8], v[39:40], v[7:8]
	v_mul_f64_e32 v[7:8], v[33:34], v[7:8]
	s_delay_alu instid0(VALU_DEP_1) | instskip(NEXT) | instid1(VALU_DEP_1)
	v_add_f64_e32 v[31:32], v[35:36], v[7:8]
	v_add_f64_e64 v[33:34], v[31:32], -v[35:36]
	v_mul_f64_e32 v[35:36], v[31:32], v[31:32]
	s_delay_alu instid0(VALU_DEP_2) | instskip(NEXT) | instid1(VALU_DEP_2)
	v_add_f64_e64 v[7:8], v[7:8], -v[33:34]
	v_fma_f64 v[33:34], v[31:32], v[31:32], -v[35:36]
	s_delay_alu instid0(VALU_DEP_2) | instskip(NEXT) | instid1(VALU_DEP_1)
	v_add_f64_e32 v[37:38], v[7:8], v[7:8]
	v_fma_f64 v[33:34], v[31:32], v[37:38], v[33:34]
	s_delay_alu instid0(VALU_DEP_1) | instskip(NEXT) | instid1(VALU_DEP_1)
	v_add_f64_e32 v[37:38], v[35:36], v[33:34]
	v_fma_f64 v[39:40], v[37:38], s[36:37], s[34:35]
	v_add_f64_e64 v[35:36], v[37:38], -v[35:36]
	v_mul_f64_e32 v[45:46], v[31:32], v[37:38]
	s_delay_alu instid0(VALU_DEP_3) | instskip(NEXT) | instid1(VALU_DEP_3)
	v_fma_f64 v[39:40], v[37:38], v[39:40], s[38:39]
	v_add_f64_e64 v[33:34], v[33:34], -v[35:36]
	s_delay_alu instid0(VALU_DEP_2) | instskip(NEXT) | instid1(VALU_DEP_1)
	v_fma_f64 v[39:40], v[37:38], v[39:40], s[40:41]
	v_fma_f64 v[39:40], v[37:38], v[39:40], s[42:43]
	s_delay_alu instid0(VALU_DEP_1) | instskip(NEXT) | instid1(VALU_DEP_1)
	v_fma_f64 v[39:40], v[37:38], v[39:40], s[44:45]
	v_fma_f64 v[39:40], v[37:38], v[39:40], s[46:47]
	s_delay_alu instid0(VALU_DEP_1) | instskip(NEXT) | instid1(VALU_DEP_1)
	v_fma_f64 v[39:40], v[37:38], v[39:40], s[48:49]
	v_fma_f64 v[39:40], v[37:38], v[39:40], s[50:51]
	s_delay_alu instid0(VALU_DEP_1) | instskip(NEXT) | instid1(VALU_DEP_1)
	v_mul_f64_e32 v[41:42], v[37:38], v[39:40]
	v_fma_f64 v[35:36], v[37:38], v[39:40], -v[41:42]
	s_delay_alu instid0(VALU_DEP_1) | instskip(NEXT) | instid1(VALU_DEP_1)
	v_fma_f64 v[35:36], v[33:34], v[39:40], v[35:36]
	v_add_f64_e32 v[39:40], v[41:42], v[35:36]
	s_delay_alu instid0(VALU_DEP_1) | instskip(SKIP_2) | instid1(VALU_DEP_2)
	v_add_f64_e32 v[43:44], s[20:21], v[39:40]
	v_add_f64_e64 v[41:42], v[39:40], -v[41:42]
	s_wait_alu 0xfffe
	v_add_f64_e32 v[47:48], s[54:55], v[43:44]
	s_delay_alu instid0(VALU_DEP_2) | instskip(SKIP_2) | instid1(VALU_DEP_4)
	v_add_f64_e64 v[35:36], v[35:36], -v[41:42]
	v_fma_f64 v[41:42], v[37:38], v[31:32], -v[45:46]
	v_cmp_lt_f64_e64 s54, |v[3:4]|, 1.0
	v_add_f64_e64 v[39:40], v[39:40], -v[47:48]
	s_delay_alu instid0(VALU_DEP_4) | instskip(NEXT) | instid1(VALU_DEP_4)
	v_add_f64_e32 v[35:36], s[52:53], v[35:36]
	v_fma_f64 v[37:38], v[37:38], v[7:8], v[41:42]
	v_ldexp_f64 v[7:8], v[7:8], 1
	s_xor_b32 s6, s6, s54
	v_cmp_class_f64_e64 s54, v[3:4], 0x204
	s_delay_alu instid0(VALU_DEP_4) | instskip(NEXT) | instid1(VALU_DEP_4)
	v_add_f64_e32 v[35:36], v[35:36], v[39:40]
	v_fma_f64 v[33:34], v[33:34], v[31:32], v[37:38]
	v_ldexp_f64 v[31:32], v[31:32], 1
	s_delay_alu instid0(VALU_DEP_3) | instskip(NEXT) | instid1(VALU_DEP_3)
	v_add_f64_e32 v[37:38], v[43:44], v[35:36]
	v_add_f64_e32 v[39:40], v[45:46], v[33:34]
	s_delay_alu instid0(VALU_DEP_2) | instskip(NEXT) | instid1(VALU_DEP_2)
	v_add_f64_e64 v[41:42], v[43:44], -v[37:38]
	v_mul_f64_e32 v[43:44], v[39:40], v[37:38]
	v_add_f64_e64 v[45:46], v[39:40], -v[45:46]
	s_delay_alu instid0(VALU_DEP_3) | instskip(NEXT) | instid1(VALU_DEP_3)
	v_add_f64_e32 v[35:36], v[35:36], v[41:42]
	v_fma_f64 v[41:42], v[39:40], v[37:38], -v[43:44]
	s_delay_alu instid0(VALU_DEP_3) | instskip(NEXT) | instid1(VALU_DEP_2)
	v_add_f64_e64 v[33:34], v[33:34], -v[45:46]
	v_fma_f64 v[35:36], v[39:40], v[35:36], v[41:42]
	s_delay_alu instid0(VALU_DEP_1) | instskip(SKIP_1) | instid1(VALU_DEP_2)
	v_fma_f64 v[33:34], v[33:34], v[37:38], v[35:36]
	v_frexp_exp_i32_f64_e32 v37, v[3:4]
	v_add_f64_e32 v[35:36], v[43:44], v[33:34]
	s_delay_alu instid0(VALU_DEP_2) | instskip(NEXT) | instid1(VALU_DEP_1)
	v_subrev_co_ci_u32_e64 v37, null, 0, v37, s2
	v_cvt_f64_i32_e32 v[37:38], v37
	s_delay_alu instid0(VALU_DEP_3) | instskip(SKIP_1) | instid1(VALU_DEP_3)
	v_add_f64_e32 v[39:40], v[31:32], v[35:36]
	v_add_f64_e64 v[41:42], v[35:36], -v[43:44]
	v_mul_f64_e32 v[43:44], s[22:23], v[37:38]
	s_delay_alu instid0(VALU_DEP_3) | instskip(NEXT) | instid1(VALU_DEP_3)
	v_add_f64_e64 v[31:32], v[39:40], -v[31:32]
	v_add_f64_e64 v[33:34], v[33:34], -v[41:42]
	s_delay_alu instid0(VALU_DEP_3) | instskip(NEXT) | instid1(VALU_DEP_3)
	v_fma_f64 v[41:42], v[37:38], s[22:23], -v[43:44]
	v_add_f64_e64 v[31:32], v[35:36], -v[31:32]
	s_delay_alu instid0(VALU_DEP_3) | instskip(NEXT) | instid1(VALU_DEP_3)
	v_add_f64_e32 v[7:8], v[7:8], v[33:34]
	v_fma_f64 v[33:34], v[37:38], s[30:31], v[41:42]
	s_delay_alu instid0(VALU_DEP_2) | instskip(NEXT) | instid1(VALU_DEP_2)
	v_add_f64_e32 v[7:8], v[7:8], v[31:32]
	v_add_f64_e32 v[31:32], v[43:44], v[33:34]
	s_delay_alu instid0(VALU_DEP_2) | instskip(NEXT) | instid1(VALU_DEP_2)
	v_add_f64_e32 v[35:36], v[39:40], v[7:8]
	v_add_f64_e64 v[43:44], v[31:32], -v[43:44]
	s_delay_alu instid0(VALU_DEP_2) | instskip(SKIP_1) | instid1(VALU_DEP_3)
	v_add_f64_e32 v[37:38], v[31:32], v[35:36]
	v_add_f64_e64 v[39:40], v[35:36], -v[39:40]
	v_add_f64_e64 v[33:34], v[33:34], -v[43:44]
	s_delay_alu instid0(VALU_DEP_3) | instskip(NEXT) | instid1(VALU_DEP_3)
	v_add_f64_e64 v[41:42], v[37:38], -v[31:32]
	v_add_f64_e64 v[7:8], v[7:8], -v[39:40]
	s_delay_alu instid0(VALU_DEP_2) | instskip(SKIP_1) | instid1(VALU_DEP_3)
	v_add_f64_e64 v[45:46], v[37:38], -v[41:42]
	v_add_f64_e64 v[35:36], v[35:36], -v[41:42]
	v_add_f64_e32 v[39:40], v[33:34], v[7:8]
	s_delay_alu instid0(VALU_DEP_3) | instskip(NEXT) | instid1(VALU_DEP_1)
	v_add_f64_e64 v[31:32], v[31:32], -v[45:46]
	v_add_f64_e32 v[31:32], v[35:36], v[31:32]
	s_delay_alu instid0(VALU_DEP_3) | instskip(NEXT) | instid1(VALU_DEP_2)
	v_add_f64_e64 v[35:36], v[39:40], -v[33:34]
	v_add_f64_e32 v[31:32], v[39:40], v[31:32]
	s_delay_alu instid0(VALU_DEP_2) | instskip(SKIP_1) | instid1(VALU_DEP_3)
	v_add_f64_e64 v[39:40], v[39:40], -v[35:36]
	v_add_f64_e64 v[7:8], v[7:8], -v[35:36]
	v_add_f64_e32 v[41:42], v[37:38], v[31:32]
	s_delay_alu instid0(VALU_DEP_3) | instskip(NEXT) | instid1(VALU_DEP_2)
	v_add_f64_e64 v[33:34], v[33:34], -v[39:40]
	v_add_f64_e64 v[35:36], v[41:42], -v[37:38]
	s_delay_alu instid0(VALU_DEP_2) | instskip(NEXT) | instid1(VALU_DEP_2)
	v_add_f64_e32 v[7:8], v[7:8], v[33:34]
	v_add_f64_e64 v[31:32], v[31:32], -v[35:36]
	s_delay_alu instid0(VALU_DEP_1) | instskip(NEXT) | instid1(VALU_DEP_1)
	v_add_f64_e32 v[7:8], v[7:8], v[31:32]
	v_add_f64_e32 v[31:32], v[41:42], v[7:8]
	s_delay_alu instid0(VALU_DEP_1) | instskip(SKIP_1) | instid1(VALU_DEP_2)
	v_add_f64_e64 v[33:34], v[31:32], -v[41:42]
	v_mul_f64_e32 v[35:36], v[5:6], v[31:32]
	v_add_f64_e64 v[7:8], v[7:8], -v[33:34]
	s_delay_alu instid0(VALU_DEP_2) | instskip(SKIP_1) | instid1(VALU_DEP_2)
	v_fma_f64 v[31:32], v[5:6], v[31:32], -v[35:36]
	v_cmp_class_f64_e64 s2, v[35:36], 0x204
	v_fma_f64 v[7:8], v[5:6], v[7:8], v[31:32]
	s_delay_alu instid0(VALU_DEP_1) | instskip(SKIP_1) | instid1(VALU_DEP_1)
	v_add_f64_e32 v[31:32], v[35:36], v[7:8]
	s_wait_alu 0xf1ff
	v_cndmask_b32_e64 v34, v32, v36, s2
	s_delay_alu instid0(VALU_DEP_2) | instskip(SKIP_1) | instid1(VALU_DEP_2)
	v_cndmask_b32_e64 v33, v31, v35, s2
	v_add_f64_e64 v[31:32], v[31:32], -v[35:36]
	v_mul_f64_e32 v[37:38], s[56:57], v[33:34]
	v_cmp_nlt_f64_e64 s3, 0x40900000, v[33:34]
	v_cmp_neq_f64_e64 s2, 0x7ff00000, |v[33:34]|
	v_cmp_ngt_f64_e64 s4, 0xc090cc00, v[33:34]
	v_add_f64_e64 v[7:8], v[7:8], -v[31:32]
	v_trunc_f64_e32 v[31:32], v[5:6]
	v_rndne_f64_e32 v[37:38], v[37:38]
	s_wait_alu 0xf1ff
	s_delay_alu instid0(VALU_DEP_3) | instskip(NEXT) | instid1(VALU_DEP_4)
	v_cndmask_b32_e64 v8, 0, v8, s2
	v_cndmask_b32_e64 v7, 0, v7, s2
	s_and_b32 s2, s4, s3
	s_delay_alu instid0(VALU_DEP_3) | instskip(SKIP_1) | instid1(VALU_DEP_2)
	v_fma_f64 v[39:40], v[37:38], s[58:59], v[33:34]
	v_cvt_i32_f64_e32 v43, v[37:38]
	v_fma_f64 v[39:40], v[37:38], s[60:61], v[39:40]
	s_delay_alu instid0(VALU_DEP_1) | instskip(NEXT) | instid1(VALU_DEP_1)
	v_fma_f64 v[41:42], v[39:40], s[64:65], s[62:63]
	v_fma_f64 v[41:42], v[39:40], v[41:42], s[66:67]
	s_delay_alu instid0(VALU_DEP_1) | instskip(NEXT) | instid1(VALU_DEP_1)
	v_fma_f64 v[41:42], v[39:40], v[41:42], s[68:69]
	;; [unrolled: 3-line block ×5, first 2 shown]
	v_fma_f64 v[41:42], v[39:40], v[41:42], 1.0
	s_delay_alu instid0(VALU_DEP_1) | instskip(NEXT) | instid1(VALU_DEP_1)
	v_fma_f64 v[37:38], v[39:40], v[41:42], 1.0
	v_ldexp_f64 v[35:36], v[37:38], v43
	v_mul_f64_e32 v[37:38], 0.5, v[5:6]
	s_delay_alu instid0(VALU_DEP_2) | instskip(NEXT) | instid1(VALU_DEP_2)
	v_cndmask_b32_e64 v36, 0x7ff00000, v36, s3
	v_trunc_f64_e32 v[33:34], v[37:38]
	s_wait_alu 0xfffe
	s_delay_alu instid0(VALU_DEP_4) | instskip(SKIP_2) | instid1(VALU_DEP_1)
	v_cndmask_b32_e64 v35, 0, v35, s2
	v_cmp_eq_f64_e64 s2, v[31:32], v[5:6]
	v_cndmask_b32_e64 v36, 0, v36, s4
	v_fma_f64 v[7:8], v[35:36], v[7:8], v[35:36]
	v_cmp_class_f64_e64 s4, v[35:36], 0x204
	v_cmp_neq_f64_e64 s3, v[33:34], v[37:38]
	v_cndmask_b32_e64 v33, 0x7ff00000, 0, s6
	v_cmp_neq_f64_e64 s6, |v[3:4]|, 1.0
	s_wait_alu 0xf1ff
	s_delay_alu instid0(VALU_DEP_4) | instskip(SKIP_2) | instid1(VALU_DEP_2)
	v_cndmask_b32_e64 v8, v8, v36, s4
	v_cndmask_b32_e64 v7, v7, v35, s4
	v_cmp_gt_f64_e64 s4, 0, v[5:6]
	v_cndmask_b32_e64 v32, 0, v7, s2
	s_and_b32 s3, s2, s3
	s_wait_alu 0xfffe
	v_cndmask_b32_e64 v31, 0x3ff00000, v4, s3
	v_cndmask_b32_e64 v33, 0x3ff00000, v33, s6
	s_delay_alu instid0(VALU_DEP_2) | instskip(NEXT) | instid1(VALU_DEP_1)
	v_bfi_b32 v8, 0x7fffffff, v8, v31
	v_cndmask_b32_e64 v31, 0x7ff80000, v8, s2
	v_cmp_gt_f64_e64 s2, 0, v[3:4]
	s_xor_b32 s4, s4, s5
	v_cndmask_b32_e64 v7, v7, v32, s2
	v_cndmask_b32_e64 v8, v8, v31, s2
	v_cmp_class_f64_e64 s2, v[5:6], 0x204
	v_cndmask_b32_e64 v32, 0, v4, s3
	s_or_b32 s3, s5, s54
	s_wait_alu 0xfffe
	v_cndmask_b32_e64 v31, 0x7ff00000, 0, s4
	s_delay_alu instid0(VALU_DEP_1)
	v_bfi_b32 v31, 0x7fffffff, v31, v32
	v_cndmask_b32_e64 v8, v8, v33, s2
	s_or_b32 s2, s3, s2
	s_wait_alu 0xfffe
	v_cndmask_b32_e64 v7, v7, 0, s2
	v_cmp_o_f64_e64 s2, v[3:4], v[5:6]
	v_cndmask_b32_e64 v8, v8, v31, s3
	s_wait_alu 0xf1ff
	s_delay_alu instid0(VALU_DEP_2) | instskip(NEXT) | instid1(VALU_DEP_2)
	v_cndmask_b32_e64 v3, 0, v7, s2
	v_cndmask_b32_e64 v4, 0x7ff80000, v8, s2
	v_add_co_u32 v5, s2, v22, s8
	s_wait_alu 0xf1ff
	v_add_co_ci_u32_e64 v6, null, s9, v23, s2
	global_store_b64 v[5:6], v[3:4], off
	s_or_b32 exec_lo, exec_lo, s7
	s_and_saveexec_b32 s6, vcc_lo
	s_cbranch_execz .LBB66_3
.LBB66_19:                              ;   in Loop: Header=BB66_4 Depth=1
	s_wait_loadcnt 0x0
	v_cmp_neq_f64_e32 vcc_lo, 1.0, v[1:2]
	v_mov_b32_e32 v3, s29
	s_mov_b32 s54, s20
	s_mov_b32 s58, s22
	;; [unrolled: 1-line block ×3, first 2 shown]
	s_wait_alu 0xfffd
	v_cndmask_b32_e32 v4, 0x3ff00000, v3, vcc_lo
	v_cndmask_b32_e64 v3, 0, s28, vcc_lo
	s_delay_alu instid0(VALU_DEP_1) | instskip(SKIP_4) | instid1(VALU_DEP_1)
	v_cmp_neq_f64_e32 vcc_lo, 0, v[3:4]
	v_cmp_neq_f64_e64 s5, v[3:4], |v[3:4]|
	s_wait_alu 0xfffd
	v_cndmask_b32_e32 v2, 0x3ff00000, v2, vcc_lo
	v_cndmask_b32_e32 v1, 0, v1, vcc_lo
	v_frexp_mant_f64_e64 v[5:6], |v[1:2]|
	s_delay_alu instid0(VALU_DEP_1) | instskip(SKIP_2) | instid1(VALU_DEP_1)
	v_cmp_gt_f64_e32 vcc_lo, s[20:21], v[5:6]
	s_wait_alu 0xfffd
	v_cndmask_b32_e64 v7, 0, 1, vcc_lo
	v_ldexp_f64 v[5:6], v[5:6], v7
	s_delay_alu instid0(VALU_DEP_1) | instskip(SKIP_1) | instid1(VALU_DEP_2)
	v_add_f64_e32 v[7:8], 1.0, v[5:6]
	v_add_f64_e32 v[35:36], -1.0, v[5:6]
	v_rcp_f64_e32 v[31:32], v[7:8]
	v_add_f64_e32 v[37:38], -1.0, v[7:8]
	s_delay_alu instid0(VALU_DEP_1) | instskip(NEXT) | instid1(TRANS32_DEP_1)
	v_add_f64_e64 v[5:6], v[5:6], -v[37:38]
	v_fma_f64 v[33:34], -v[7:8], v[31:32], 1.0
	s_delay_alu instid0(VALU_DEP_1) | instskip(NEXT) | instid1(VALU_DEP_1)
	v_fma_f64 v[31:32], v[33:34], v[31:32], v[31:32]
	v_fma_f64 v[33:34], -v[7:8], v[31:32], 1.0
	s_delay_alu instid0(VALU_DEP_1) | instskip(NEXT) | instid1(VALU_DEP_1)
	v_fma_f64 v[31:32], v[33:34], v[31:32], v[31:32]
	v_mul_f64_e32 v[33:34], v[35:36], v[31:32]
	s_delay_alu instid0(VALU_DEP_1) | instskip(NEXT) | instid1(VALU_DEP_1)
	v_mul_f64_e32 v[39:40], v[7:8], v[33:34]
	v_fma_f64 v[7:8], v[33:34], v[7:8], -v[39:40]
	s_delay_alu instid0(VALU_DEP_1) | instskip(NEXT) | instid1(VALU_DEP_1)
	v_fma_f64 v[5:6], v[33:34], v[5:6], v[7:8]
	v_add_f64_e32 v[7:8], v[39:40], v[5:6]
	s_delay_alu instid0(VALU_DEP_1) | instskip(SKIP_1) | instid1(VALU_DEP_2)
	v_add_f64_e64 v[37:38], v[35:36], -v[7:8]
	v_add_f64_e64 v[39:40], v[7:8], -v[39:40]
	;; [unrolled: 1-line block ×3, first 2 shown]
	s_delay_alu instid0(VALU_DEP_2) | instskip(NEXT) | instid1(VALU_DEP_2)
	v_add_f64_e64 v[5:6], v[39:40], -v[5:6]
	v_add_f64_e64 v[7:8], v[35:36], -v[7:8]
	s_delay_alu instid0(VALU_DEP_1) | instskip(NEXT) | instid1(VALU_DEP_1)
	v_add_f64_e32 v[5:6], v[5:6], v[7:8]
	v_add_f64_e32 v[5:6], v[37:38], v[5:6]
	s_delay_alu instid0(VALU_DEP_1) | instskip(NEXT) | instid1(VALU_DEP_1)
	v_mul_f64_e32 v[5:6], v[31:32], v[5:6]
	v_add_f64_e32 v[7:8], v[33:34], v[5:6]
	s_delay_alu instid0(VALU_DEP_1) | instskip(SKIP_1) | instid1(VALU_DEP_2)
	v_add_f64_e64 v[31:32], v[7:8], -v[33:34]
	v_mul_f64_e32 v[33:34], v[7:8], v[7:8]
	v_add_f64_e64 v[5:6], v[5:6], -v[31:32]
	s_delay_alu instid0(VALU_DEP_2) | instskip(NEXT) | instid1(VALU_DEP_2)
	v_fma_f64 v[31:32], v[7:8], v[7:8], -v[33:34]
	v_add_f64_e32 v[35:36], v[5:6], v[5:6]
	s_delay_alu instid0(VALU_DEP_1) | instskip(NEXT) | instid1(VALU_DEP_1)
	v_fma_f64 v[31:32], v[7:8], v[35:36], v[31:32]
	v_add_f64_e32 v[35:36], v[33:34], v[31:32]
	s_delay_alu instid0(VALU_DEP_1) | instskip(SKIP_2) | instid1(VALU_DEP_3)
	v_fma_f64 v[37:38], v[35:36], s[36:37], s[34:35]
	v_add_f64_e64 v[33:34], v[35:36], -v[33:34]
	v_mul_f64_e32 v[43:44], v[7:8], v[35:36]
	v_fma_f64 v[37:38], v[35:36], v[37:38], s[38:39]
	s_delay_alu instid0(VALU_DEP_3) | instskip(NEXT) | instid1(VALU_DEP_2)
	v_add_f64_e64 v[31:32], v[31:32], -v[33:34]
	v_fma_f64 v[37:38], v[35:36], v[37:38], s[40:41]
	s_delay_alu instid0(VALU_DEP_1) | instskip(NEXT) | instid1(VALU_DEP_1)
	v_fma_f64 v[37:38], v[35:36], v[37:38], s[42:43]
	v_fma_f64 v[37:38], v[35:36], v[37:38], s[44:45]
	s_delay_alu instid0(VALU_DEP_1) | instskip(NEXT) | instid1(VALU_DEP_1)
	v_fma_f64 v[37:38], v[35:36], v[37:38], s[46:47]
	;; [unrolled: 3-line block ×3, first 2 shown]
	v_mul_f64_e32 v[39:40], v[35:36], v[37:38]
	s_delay_alu instid0(VALU_DEP_1) | instskip(NEXT) | instid1(VALU_DEP_1)
	v_fma_f64 v[33:34], v[35:36], v[37:38], -v[39:40]
	v_fma_f64 v[33:34], v[31:32], v[37:38], v[33:34]
	s_delay_alu instid0(VALU_DEP_1) | instskip(NEXT) | instid1(VALU_DEP_1)
	v_add_f64_e32 v[37:38], v[39:40], v[33:34]
	v_add_f64_e32 v[41:42], s[20:21], v[37:38]
	v_add_f64_e64 v[39:40], v[37:38], -v[39:40]
	s_wait_alu 0xfffe
	s_delay_alu instid0(VALU_DEP_2) | instskip(NEXT) | instid1(VALU_DEP_2)
	v_add_f64_e32 v[45:46], s[54:55], v[41:42]
	v_add_f64_e64 v[33:34], v[33:34], -v[39:40]
	v_fma_f64 v[39:40], v[35:36], v[7:8], -v[43:44]
	s_delay_alu instid0(VALU_DEP_3) | instskip(NEXT) | instid1(VALU_DEP_3)
	v_add_f64_e64 v[37:38], v[37:38], -v[45:46]
	v_add_f64_e32 v[33:34], s[52:53], v[33:34]
	s_delay_alu instid0(VALU_DEP_3) | instskip(SKIP_1) | instid1(VALU_DEP_3)
	v_fma_f64 v[35:36], v[35:36], v[5:6], v[39:40]
	v_ldexp_f64 v[5:6], v[5:6], 1
	v_add_f64_e32 v[33:34], v[33:34], v[37:38]
	s_delay_alu instid0(VALU_DEP_3) | instskip(SKIP_1) | instid1(VALU_DEP_3)
	v_fma_f64 v[31:32], v[31:32], v[7:8], v[35:36]
	v_ldexp_f64 v[7:8], v[7:8], 1
	v_add_f64_e32 v[35:36], v[41:42], v[33:34]
	s_delay_alu instid0(VALU_DEP_3) | instskip(NEXT) | instid1(VALU_DEP_2)
	v_add_f64_e32 v[37:38], v[43:44], v[31:32]
	v_add_f64_e64 v[39:40], v[41:42], -v[35:36]
	s_delay_alu instid0(VALU_DEP_2) | instskip(SKIP_1) | instid1(VALU_DEP_3)
	v_mul_f64_e32 v[41:42], v[37:38], v[35:36]
	v_add_f64_e64 v[43:44], v[37:38], -v[43:44]
	v_add_f64_e32 v[33:34], v[33:34], v[39:40]
	s_delay_alu instid0(VALU_DEP_3) | instskip(NEXT) | instid1(VALU_DEP_3)
	v_fma_f64 v[39:40], v[37:38], v[35:36], -v[41:42]
	v_add_f64_e64 v[31:32], v[31:32], -v[43:44]
	s_delay_alu instid0(VALU_DEP_2) | instskip(NEXT) | instid1(VALU_DEP_1)
	v_fma_f64 v[33:34], v[37:38], v[33:34], v[39:40]
	v_fma_f64 v[31:32], v[31:32], v[35:36], v[33:34]
	v_frexp_exp_i32_f64_e32 v35, v[1:2]
	s_delay_alu instid0(VALU_DEP_2) | instskip(NEXT) | instid1(VALU_DEP_2)
	v_add_f64_e32 v[33:34], v[41:42], v[31:32]
	v_subrev_co_ci_u32_e64 v35, null, 0, v35, vcc_lo
	s_delay_alu instid0(VALU_DEP_1) | instskip(NEXT) | instid1(VALU_DEP_3)
	v_cvt_f64_i32_e32 v[35:36], v35
	v_add_f64_e32 v[37:38], v[7:8], v[33:34]
	v_add_f64_e64 v[39:40], v[33:34], -v[41:42]
	s_delay_alu instid0(VALU_DEP_3) | instskip(NEXT) | instid1(VALU_DEP_3)
	v_mul_f64_e32 v[41:42], s[22:23], v[35:36]
	v_add_f64_e64 v[7:8], v[37:38], -v[7:8]
	s_delay_alu instid0(VALU_DEP_3) | instskip(NEXT) | instid1(VALU_DEP_3)
	v_add_f64_e64 v[31:32], v[31:32], -v[39:40]
	v_fma_f64 v[39:40], v[35:36], s[22:23], -v[41:42]
	s_delay_alu instid0(VALU_DEP_3) | instskip(NEXT) | instid1(VALU_DEP_3)
	v_add_f64_e64 v[7:8], v[33:34], -v[7:8]
	v_add_f64_e32 v[5:6], v[5:6], v[31:32]
	s_delay_alu instid0(VALU_DEP_3) | instskip(NEXT) | instid1(VALU_DEP_2)
	v_fma_f64 v[31:32], v[35:36], s[30:31], v[39:40]
	v_add_f64_e32 v[5:6], v[5:6], v[7:8]
	s_delay_alu instid0(VALU_DEP_2) | instskip(NEXT) | instid1(VALU_DEP_2)
	v_add_f64_e32 v[7:8], v[41:42], v[31:32]
	v_add_f64_e32 v[33:34], v[37:38], v[5:6]
	s_delay_alu instid0(VALU_DEP_2) | instskip(NEXT) | instid1(VALU_DEP_2)
	v_add_f64_e64 v[41:42], v[7:8], -v[41:42]
	v_add_f64_e32 v[35:36], v[7:8], v[33:34]
	v_add_f64_e64 v[37:38], v[33:34], -v[37:38]
	s_delay_alu instid0(VALU_DEP_3) | instskip(NEXT) | instid1(VALU_DEP_3)
	v_add_f64_e64 v[31:32], v[31:32], -v[41:42]
	v_add_f64_e64 v[39:40], v[35:36], -v[7:8]
	s_delay_alu instid0(VALU_DEP_3) | instskip(NEXT) | instid1(VALU_DEP_2)
	v_add_f64_e64 v[5:6], v[5:6], -v[37:38]
	v_add_f64_e64 v[43:44], v[35:36], -v[39:40]
	;; [unrolled: 1-line block ×3, first 2 shown]
	s_delay_alu instid0(VALU_DEP_3) | instskip(NEXT) | instid1(VALU_DEP_3)
	v_add_f64_e32 v[37:38], v[31:32], v[5:6]
	v_add_f64_e64 v[7:8], v[7:8], -v[43:44]
	s_delay_alu instid0(VALU_DEP_1) | instskip(NEXT) | instid1(VALU_DEP_3)
	v_add_f64_e32 v[7:8], v[33:34], v[7:8]
	v_add_f64_e64 v[33:34], v[37:38], -v[31:32]
	s_delay_alu instid0(VALU_DEP_2) | instskip(NEXT) | instid1(VALU_DEP_2)
	v_add_f64_e32 v[7:8], v[37:38], v[7:8]
	v_add_f64_e64 v[37:38], v[37:38], -v[33:34]
	v_add_f64_e64 v[5:6], v[5:6], -v[33:34]
	s_delay_alu instid0(VALU_DEP_3) | instskip(NEXT) | instid1(VALU_DEP_3)
	v_add_f64_e32 v[39:40], v[35:36], v[7:8]
	v_add_f64_e64 v[31:32], v[31:32], -v[37:38]
	s_delay_alu instid0(VALU_DEP_2) | instskip(NEXT) | instid1(VALU_DEP_2)
	v_add_f64_e64 v[33:34], v[39:40], -v[35:36]
	v_add_f64_e32 v[5:6], v[5:6], v[31:32]
	s_delay_alu instid0(VALU_DEP_2) | instskip(NEXT) | instid1(VALU_DEP_1)
	v_add_f64_e64 v[7:8], v[7:8], -v[33:34]
	v_add_f64_e32 v[5:6], v[5:6], v[7:8]
	s_delay_alu instid0(VALU_DEP_1) | instskip(NEXT) | instid1(VALU_DEP_1)
	v_add_f64_e32 v[7:8], v[39:40], v[5:6]
	v_add_f64_e64 v[31:32], v[7:8], -v[39:40]
	v_mul_f64_e32 v[33:34], v[3:4], v[7:8]
	s_delay_alu instid0(VALU_DEP_2) | instskip(NEXT) | instid1(VALU_DEP_2)
	v_add_f64_e64 v[5:6], v[5:6], -v[31:32]
	v_fma_f64 v[7:8], v[3:4], v[7:8], -v[33:34]
	v_cmp_class_f64_e64 vcc_lo, v[33:34], 0x204
	s_delay_alu instid0(VALU_DEP_2) | instskip(NEXT) | instid1(VALU_DEP_1)
	v_fma_f64 v[5:6], v[3:4], v[5:6], v[7:8]
	v_add_f64_e32 v[7:8], v[33:34], v[5:6]
	s_wait_alu 0xfffd
	s_delay_alu instid0(VALU_DEP_1) | instskip(SKIP_1) | instid1(VALU_DEP_2)
	v_dual_cndmask_b32 v32, v8, v34 :: v_dual_cndmask_b32 v31, v7, v33
	v_add_f64_e64 v[7:8], v[7:8], -v[33:34]
	v_mul_f64_e32 v[35:36], s[56:57], v[31:32]
	v_cmp_nlt_f64_e64 s2, 0x40900000, v[31:32]
	v_cmp_neq_f64_e64 vcc_lo, 0x7ff00000, |v[31:32]|
	v_cmp_ngt_f64_e64 s3, 0xc090cc00, v[31:32]
	v_add_f64_e64 v[5:6], v[5:6], -v[7:8]
	v_trunc_f64_e32 v[7:8], v[3:4]
	v_rndne_f64_e32 v[35:36], v[35:36]
	s_wait_alu 0xfffd
	s_delay_alu instid0(VALU_DEP_3) | instskip(SKIP_2) | instid1(VALU_DEP_3)
	v_dual_cndmask_b32 v6, 0, v6 :: v_dual_cndmask_b32 v5, 0, v5
	s_and_b32 vcc_lo, s3, s2
	v_cmp_lt_f64_e64 s7, |v[1:2]|, 1.0
	v_fma_f64 v[37:38], v[35:36], s[58:59], v[31:32]
	v_cvt_i32_f64_e32 v41, v[35:36]
	v_cmp_eq_f64_e64 s4, 0, v[1:2]
	s_xor_b32 s5, s5, s7
	v_fma_f64 v[37:38], v[35:36], s[60:61], v[37:38]
	v_cmp_class_f64_e64 s7, v[1:2], 0x204
	s_delay_alu instid0(VALU_DEP_2) | instskip(NEXT) | instid1(VALU_DEP_1)
	v_fma_f64 v[39:40], v[37:38], s[64:65], s[62:63]
	v_fma_f64 v[39:40], v[37:38], v[39:40], s[66:67]
	s_delay_alu instid0(VALU_DEP_1) | instskip(NEXT) | instid1(VALU_DEP_1)
	v_fma_f64 v[39:40], v[37:38], v[39:40], s[68:69]
	v_fma_f64 v[39:40], v[37:38], v[39:40], s[70:71]
	s_delay_alu instid0(VALU_DEP_1) | instskip(NEXT) | instid1(VALU_DEP_1)
	v_fma_f64 v[39:40], v[37:38], v[39:40], s[72:73]
	v_fma_f64 v[39:40], v[37:38], v[39:40], s[74:75]
	s_delay_alu instid0(VALU_DEP_1) | instskip(NEXT) | instid1(VALU_DEP_1)
	v_fma_f64 v[39:40], v[37:38], v[39:40], s[76:77]
	v_fma_f64 v[39:40], v[37:38], v[39:40], s[78:79]
	s_delay_alu instid0(VALU_DEP_1) | instskip(NEXT) | instid1(VALU_DEP_1)
	v_fma_f64 v[39:40], v[37:38], v[39:40], s[80:81]
	v_fma_f64 v[39:40], v[37:38], v[39:40], 1.0
	s_delay_alu instid0(VALU_DEP_1) | instskip(NEXT) | instid1(VALU_DEP_1)
	v_fma_f64 v[35:36], v[37:38], v[39:40], 1.0
	v_ldexp_f64 v[33:34], v[35:36], v41
	v_mul_f64_e32 v[35:36], 0.5, v[3:4]
	s_delay_alu instid0(VALU_DEP_2) | instskip(NEXT) | instid1(VALU_DEP_2)
	v_cndmask_b32_e64 v34, 0x7ff00000, v34, s2
	v_trunc_f64_e32 v[31:32], v[35:36]
	s_wait_alu 0xfffe
	s_delay_alu instid0(VALU_DEP_4) | instskip(SKIP_2) | instid1(VALU_DEP_1)
	v_cndmask_b32_e32 v33, 0, v33, vcc_lo
	v_cmp_eq_f64_e32 vcc_lo, v[7:8], v[3:4]
	v_cndmask_b32_e64 v34, 0, v34, s3
	v_fma_f64 v[5:6], v[33:34], v[5:6], v[33:34]
	v_cmp_class_f64_e64 s3, v[33:34], 0x204
	v_cmp_neq_f64_e64 s2, v[31:32], v[35:36]
	v_cndmask_b32_e64 v31, 0x7ff00000, 0, s5
	v_cmp_neq_f64_e64 s5, |v[1:2]|, 1.0
	s_wait_alu 0xf1ff
	s_delay_alu instid0(VALU_DEP_4) | instskip(SKIP_3) | instid1(VALU_DEP_2)
	v_cndmask_b32_e64 v6, v6, v34, s3
	v_cndmask_b32_e64 v5, v5, v33, s3
	v_cmp_gt_f64_e64 s3, 0, v[3:4]
	s_wait_alu 0xfffd
	v_cndmask_b32_e32 v8, 0, v5, vcc_lo
	s_and_b32 s2, vcc_lo, s2
	s_wait_alu 0xfffe
	v_cndmask_b32_e64 v7, 0x3ff00000, v2, s2
	v_cndmask_b32_e64 v31, 0x3ff00000, v31, s5
	s_delay_alu instid0(VALU_DEP_2) | instskip(NEXT) | instid1(VALU_DEP_1)
	v_bfi_b32 v6, 0x7fffffff, v6, v7
	v_cndmask_b32_e32 v7, 0x7ff80000, v6, vcc_lo
	v_cmp_gt_f64_e32 vcc_lo, 0, v[1:2]
	s_xor_b32 s3, s3, s4
	s_wait_alu 0xfffd
	s_delay_alu instid0(VALU_DEP_2)
	v_dual_cndmask_b32 v5, v5, v8 :: v_dual_cndmask_b32 v6, v6, v7
	v_cmp_class_f64_e64 vcc_lo, v[3:4], 0x204
	s_wait_alu 0xfffe
	v_cndmask_b32_e64 v7, 0x7ff00000, 0, s3
	v_cndmask_b32_e64 v8, 0, v2, s2
	s_or_b32 s2, s4, s7
	s_delay_alu instid0(VALU_DEP_1) | instskip(SKIP_3) | instid1(VALU_DEP_1)
	v_bfi_b32 v7, 0x7fffffff, v7, v8
	s_wait_alu 0xfffd
	v_cndmask_b32_e32 v6, v6, v31, vcc_lo
	s_wait_alu 0xfffe
	v_cndmask_b32_e64 v6, v6, v7, s2
	s_or_b32 s2, s2, vcc_lo
	v_cmp_o_f64_e32 vcc_lo, v[1:2], v[3:4]
	s_wait_alu 0xfffe
	v_cndmask_b32_e64 v5, v5, 0, s2
	s_wait_alu 0xfffd
	s_delay_alu instid0(VALU_DEP_1)
	v_cndmask_b32_e32 v1, 0, v5, vcc_lo
	v_cndmask_b32_e32 v2, 0x7ff80000, v6, vcc_lo
	v_add_co_u32 v3, vcc_lo, v15, s8
	s_wait_alu 0xfffd
	v_add_co_ci_u32_e64 v4, null, s9, v16, vcc_lo
	global_store_b64 v[3:4], v[1:2], off
	s_branch .LBB66_3
.LBB66_20:
	s_mov_b32 s2, 0
.LBB66_21:
	s_wait_alu 0xfffe
	s_and_not1_b32 vcc_lo, exec_lo, s2
	s_wait_alu 0xfffe
	s_cbranch_vccnz .LBB66_25
; %bb.22:
	v_cmp_gt_i64_e64 s2, 0x10000, s[10:11]
	s_wait_loadcnt 0x0
	v_dual_mov_b32 v2, 0 :: v_dual_lshlrev_b32 v1, 2, v0
	s_mov_b32 s23, 0
	s_and_b32 s2, s2, exec_lo
	s_cselect_b32 s31, s11, 0
	s_cselect_b32 s30, s10, 0x10000
	s_mov_b32 s2, exec_lo
	s_wait_alu 0xfffe
	v_cmpx_gt_i64_e64 s[30:31], v[1:2]
	s_cbranch_execz .LBB66_25
; %bb.23:
	s_load_b32 s0, s[0:1], 0xc64
	v_dual_mov_b32 v1, v2 :: v_dual_lshlrev_b32 v2, 5, v0
	v_mov_b32_e32 v20, s29
	s_mov_b32 s34, 0x55555555
	s_mov_b32 s36, 0x968915a9
	;; [unrolled: 1-line block ×16, first 2 shown]
	s_wait_kmcnt 0x0
	s_and_b32 s29, s0, 0xffff
	v_add_co_u32 v21, s0, s8, v2
	s_delay_alu instid0(VALU_DEP_1)
	v_add_co_ci_u32_e64 v22, null, s9, 0, s0
	s_mov_b32 s72, 0x623fde64
	s_mov_b32 s74, 0x7c89e6b0
	;; [unrolled: 1-line block ×15, first 2 shown]
	s_wait_alu 0xfffe
	s_lshl_b32 s33, s29, 5
	s_mov_b32 s49, 0x3fcc71c7
	s_mov_b32 s51, 0x3fd24924
	;; [unrolled: 1-line block ×23, first 2 shown]
.LBB66_24:                              ; =>This Inner Loop Header: Depth=1
	v_add_co_u32 v2, vcc_lo, s24, v21
	s_wait_alu 0xfffd
	v_add_co_ci_u32_e64 v3, null, s25, v22, vcc_lo
	s_clause 0x1
	global_load_b128 v[6:9], v[2:3], off
	global_load_b128 v[2:5], v[2:3], off offset:16
	s_wait_loadcnt 0x1
	v_cmp_neq_f64_e32 vcc_lo, 1.0, v[6:7]
	v_cmp_neq_f64_e64 s0, 1.0, v[8:9]
	s_wait_loadcnt 0x0
	v_cmp_neq_f64_e64 s1, 1.0, v[2:3]
	v_cmp_neq_f64_e64 s2, 1.0, v[4:5]
	s_wait_alu 0xfffd
	v_cndmask_b32_e32 v17, 0x3ff00000, v20, vcc_lo
	s_wait_alu 0xf1ff
	s_delay_alu instid0(VALU_DEP_4)
	v_cndmask_b32_e64 v15, 0x3ff00000, v20, s0
	v_cndmask_b32_e64 v16, 0, s28, vcc_lo
	v_cndmask_b32_e64 v14, 0, s28, s0
	v_cndmask_b32_e64 v13, 0x3ff00000, v20, s1
	;; [unrolled: 1-line block ×5, first 2 shown]
	v_cmp_neq_f64_e32 vcc_lo, 0, v[16:17]
	v_cmp_neq_f64_e64 s0, 0, v[14:15]
	v_cmp_neq_f64_e64 s88, v[16:17], |v[16:17]|
	v_cmp_neq_f64_e64 s1, 0, v[12:13]
	v_cmp_neq_f64_e64 s2, 0, v[10:11]
	v_cmp_neq_f64_e64 s90, v[12:13], |v[12:13]|
	v_cmp_neq_f64_e64 s89, v[14:15], |v[14:15]|
	;; [unrolled: 1-line block ×3, first 2 shown]
	v_cmp_gt_f64_e64 s3, 0, v[10:11]
	s_wait_alu 0xfffd
	v_cndmask_b32_e32 v19, 0x3ff00000, v7, vcc_lo
	s_wait_alu 0xf1ff
	v_cndmask_b32_e64 v9, 0x3ff00000, v9, s0
	v_cndmask_b32_e32 v18, 0, v6, vcc_lo
	v_cndmask_b32_e64 v8, 0, v8, s0
	v_cndmask_b32_e64 v7, 0x3ff00000, v3, s1
	;; [unrolled: 1-line block ×5, first 2 shown]
	v_frexp_mant_f64_e64 v[4:5], |v[18:19]|
	v_frexp_mant_f64_e64 v[23:24], |v[8:9]|
	v_cmp_lt_f64_e64 s94, |v[8:9]|, 1.0
	v_frexp_mant_f64_e64 v[25:26], |v[6:7]|
	v_frexp_mant_f64_e64 v[27:28], |v[2:3]|
	v_cmp_lt_f64_e64 s96, |v[6:7]|, 1.0
	v_cmp_lt_f64_e64 s98, |v[2:3]|, 1.0
	v_cmp_class_f64_e64 s95, v[8:9], 0x204
	v_cmp_class_f64_e64 s97, v[6:7], 0x204
	;; [unrolled: 1-line block ×3, first 2 shown]
	v_cmp_gt_f64_e64 s0, s[34:35], v[4:5]
	v_cmp_gt_f64_e64 s1, s[34:35], v[23:24]
	;; [unrolled: 1-line block ×3, first 2 shown]
	v_cmp_gt_f64_e32 vcc_lo, s[34:35], v[27:28]
	s_wait_alu 0xf1ff
	s_delay_alu instid0(VALU_DEP_4) | instskip(NEXT) | instid1(VALU_DEP_4)
	v_cndmask_b32_e64 v29, 0, 1, s0
	v_cndmask_b32_e64 v30, 0, 1, s1
	s_delay_alu instid0(VALU_DEP_4)
	v_cndmask_b32_e64 v31, 0, 1, s2
	s_wait_alu 0xfffd
	v_cndmask_b32_e64 v32, 0, 1, vcc_lo
	v_ldexp_f64 v[4:5], v[4:5], v29
	v_ldexp_f64 v[23:24], v[23:24], v30
	;; [unrolled: 1-line block ×3, first 2 shown]
	s_delay_alu instid0(VALU_DEP_4) | instskip(NEXT) | instid1(VALU_DEP_4)
	v_ldexp_f64 v[27:28], v[27:28], v32
	v_add_f64_e32 v[29:30], 1.0, v[4:5]
	s_delay_alu instid0(VALU_DEP_4)
	v_add_f64_e32 v[31:32], 1.0, v[23:24]
	v_add_f64_e32 v[37:38], -1.0, v[4:5]
	v_add_f64_e32 v[33:34], 1.0, v[25:26]
	v_add_f64_e32 v[35:36], 1.0, v[27:28]
	v_add_f64_e32 v[39:40], -1.0, v[23:24]
	v_add_f64_e32 v[41:42], -1.0, v[25:26]
	;; [unrolled: 1-line block ×3, first 2 shown]
	v_rcp_f64_e32 v[47:48], v[29:30]
	v_rcp_f64_e32 v[55:56], v[31:32]
	v_add_f64_e32 v[45:46], -1.0, v[29:30]
	v_add_f64_e32 v[49:50], -1.0, v[31:32]
	v_rcp_f64_e32 v[57:58], v[33:34]
	v_add_f64_e32 v[51:52], -1.0, v[33:34]
	v_rcp_f64_e32 v[59:60], v[35:36]
	v_add_f64_e32 v[53:54], -1.0, v[35:36]
	s_delay_alu instid0(VALU_DEP_4) | instskip(NEXT) | instid1(VALU_DEP_4)
	v_add_f64_e64 v[4:5], v[4:5], -v[45:46]
	v_add_f64_e64 v[23:24], v[23:24], -v[49:50]
	v_fma_f64 v[45:46], -v[29:30], v[47:48], 1.0
	s_delay_alu instid0(TRANS32_DEP_3) | instskip(SKIP_1) | instid1(TRANS32_DEP_2)
	v_fma_f64 v[49:50], -v[31:32], v[55:56], 1.0
	v_add_f64_e64 v[25:26], v[25:26], -v[51:52]
	v_fma_f64 v[51:52], -v[33:34], v[57:58], 1.0
	v_add_f64_e64 v[27:28], v[27:28], -v[53:54]
	s_delay_alu instid0(TRANS32_DEP_1) | instskip(SKIP_3) | instid1(VALU_DEP_4)
	v_fma_f64 v[53:54], -v[35:36], v[59:60], 1.0
	v_fma_f64 v[45:46], v[45:46], v[47:48], v[47:48]
	v_fma_f64 v[47:48], v[49:50], v[55:56], v[55:56]
	;; [unrolled: 1-line block ×4, first 2 shown]
	s_delay_alu instid0(VALU_DEP_4) | instskip(NEXT) | instid1(VALU_DEP_4)
	v_fma_f64 v[53:54], -v[29:30], v[45:46], 1.0
	v_fma_f64 v[55:56], -v[31:32], v[47:48], 1.0
	s_delay_alu instid0(VALU_DEP_4) | instskip(NEXT) | instid1(VALU_DEP_4)
	v_fma_f64 v[57:58], -v[33:34], v[49:50], 1.0
	v_fma_f64 v[59:60], -v[35:36], v[51:52], 1.0
	s_delay_alu instid0(VALU_DEP_4) | instskip(NEXT) | instid1(VALU_DEP_4)
	v_fma_f64 v[45:46], v[53:54], v[45:46], v[45:46]
	v_fma_f64 v[47:48], v[55:56], v[47:48], v[47:48]
	s_delay_alu instid0(VALU_DEP_4) | instskip(NEXT) | instid1(VALU_DEP_4)
	v_fma_f64 v[49:50], v[57:58], v[49:50], v[49:50]
	v_fma_f64 v[51:52], v[59:60], v[51:52], v[51:52]
	s_delay_alu instid0(VALU_DEP_4) | instskip(NEXT) | instid1(VALU_DEP_4)
	v_mul_f64_e32 v[53:54], v[37:38], v[45:46]
	v_mul_f64_e32 v[55:56], v[39:40], v[47:48]
	s_delay_alu instid0(VALU_DEP_4) | instskip(NEXT) | instid1(VALU_DEP_4)
	v_mul_f64_e32 v[57:58], v[41:42], v[49:50]
	v_mul_f64_e32 v[59:60], v[43:44], v[51:52]
	;; [unrolled: 3-line block ×4, first 2 shown]
	s_delay_alu instid0(VALU_DEP_4) | instskip(NEXT) | instid1(VALU_DEP_4)
	v_fma_f64 v[29:30], v[53:54], v[29:30], -v[61:62]
	v_fma_f64 v[31:32], v[55:56], v[31:32], -v[63:64]
	s_delay_alu instid0(VALU_DEP_4) | instskip(NEXT) | instid1(VALU_DEP_4)
	v_fma_f64 v[33:34], v[57:58], v[33:34], -v[65:66]
	v_fma_f64 v[35:36], v[59:60], v[35:36], -v[67:68]
	s_delay_alu instid0(VALU_DEP_4) | instskip(NEXT) | instid1(VALU_DEP_4)
	v_fma_f64 v[4:5], v[53:54], v[4:5], v[29:30]
	v_fma_f64 v[23:24], v[55:56], v[23:24], v[31:32]
	s_delay_alu instid0(VALU_DEP_4) | instskip(NEXT) | instid1(VALU_DEP_4)
	v_fma_f64 v[25:26], v[57:58], v[25:26], v[33:34]
	v_fma_f64 v[27:28], v[59:60], v[27:28], v[35:36]
	s_delay_alu instid0(VALU_DEP_4) | instskip(NEXT) | instid1(VALU_DEP_4)
	v_add_f64_e32 v[29:30], v[61:62], v[4:5]
	v_add_f64_e32 v[31:32], v[63:64], v[23:24]
	s_delay_alu instid0(VALU_DEP_4) | instskip(NEXT) | instid1(VALU_DEP_4)
	v_add_f64_e32 v[33:34], v[65:66], v[25:26]
	v_add_f64_e32 v[35:36], v[67:68], v[27:28]
	s_delay_alu instid0(VALU_DEP_4) | instskip(NEXT) | instid1(VALU_DEP_4)
	v_add_f64_e64 v[69:70], v[37:38], -v[29:30]
	v_add_f64_e64 v[71:72], v[39:40], -v[31:32]
	;; [unrolled: 1-line block ×20, first 2 shown]
	s_delay_alu instid0(VALU_DEP_4) | instskip(NEXT) | instid1(VALU_DEP_4)
	v_add_f64_e32 v[4:5], v[4:5], v[29:30]
	v_add_f64_e32 v[23:24], v[23:24], v[31:32]
	s_delay_alu instid0(VALU_DEP_4) | instskip(NEXT) | instid1(VALU_DEP_4)
	v_add_f64_e32 v[25:26], v[25:26], v[33:34]
	v_add_f64_e32 v[27:28], v[27:28], v[35:36]
	;; [unrolled: 3-line block ×4, first 2 shown]
	s_delay_alu instid0(VALU_DEP_4) | instskip(NEXT) | instid1(VALU_DEP_4)
	v_mul_f64_e32 v[4:5], v[45:46], v[4:5]
	v_mul_f64_e32 v[23:24], v[47:48], v[23:24]
	s_delay_alu instid0(VALU_DEP_4) | instskip(NEXT) | instid1(VALU_DEP_4)
	v_mul_f64_e32 v[25:26], v[49:50], v[25:26]
	v_mul_f64_e32 v[27:28], v[51:52], v[27:28]
	s_delay_alu instid0(VALU_DEP_4) | instskip(NEXT) | instid1(VALU_DEP_4)
	v_add_f64_e32 v[29:30], v[53:54], v[4:5]
	v_add_f64_e32 v[31:32], v[55:56], v[23:24]
	s_delay_alu instid0(VALU_DEP_4) | instskip(NEXT) | instid1(VALU_DEP_4)
	v_add_f64_e32 v[33:34], v[57:58], v[25:26]
	v_add_f64_e32 v[35:36], v[59:60], v[27:28]
	s_delay_alu instid0(VALU_DEP_4) | instskip(NEXT) | instid1(VALU_DEP_4)
	v_add_f64_e64 v[37:38], v[29:30], -v[53:54]
	v_add_f64_e64 v[39:40], v[31:32], -v[55:56]
	v_mul_f64_e32 v[43:44], v[29:30], v[29:30]
	v_add_f64_e64 v[41:42], v[33:34], -v[57:58]
	v_mul_f64_e32 v[45:46], v[31:32], v[31:32]
	;; [unrolled: 2-line block ×3, first 2 shown]
	v_mul_f64_e32 v[51:52], v[35:36], v[35:36]
	v_add_f64_e64 v[4:5], v[4:5], -v[37:38]
	v_add_f64_e64 v[23:24], v[23:24], -v[39:40]
	v_fma_f64 v[37:38], v[29:30], v[29:30], -v[43:44]
	v_add_f64_e64 v[25:26], v[25:26], -v[41:42]
	v_fma_f64 v[39:40], v[31:32], v[31:32], -v[45:46]
	;; [unrolled: 2-line block ×3, first 2 shown]
	v_fma_f64 v[47:48], v[35:36], v[35:36], -v[51:52]
	v_add_f64_e32 v[53:54], v[4:5], v[4:5]
	v_add_f64_e32 v[55:56], v[23:24], v[23:24]
	;; [unrolled: 1-line block ×4, first 2 shown]
	s_delay_alu instid0(VALU_DEP_4) | instskip(NEXT) | instid1(VALU_DEP_4)
	v_fma_f64 v[37:38], v[29:30], v[53:54], v[37:38]
	v_fma_f64 v[39:40], v[31:32], v[55:56], v[39:40]
	s_delay_alu instid0(VALU_DEP_4) | instskip(NEXT) | instid1(VALU_DEP_4)
	v_fma_f64 v[41:42], v[33:34], v[57:58], v[41:42]
	v_fma_f64 v[47:48], v[35:36], v[59:60], v[47:48]
	s_delay_alu instid0(VALU_DEP_4) | instskip(NEXT) | instid1(VALU_DEP_4)
	v_add_f64_e32 v[53:54], v[43:44], v[37:38]
	v_add_f64_e32 v[55:56], v[45:46], v[39:40]
	s_delay_alu instid0(VALU_DEP_4) | instskip(NEXT) | instid1(VALU_DEP_4)
	v_add_f64_e32 v[57:58], v[49:50], v[41:42]
	v_add_f64_e32 v[59:60], v[51:52], v[47:48]
	s_delay_alu instid0(VALU_DEP_4) | instskip(NEXT) | instid1(VALU_DEP_4)
	v_fma_f64 v[61:62], v[53:54], s[38:39], s[36:37]
	v_fma_f64 v[63:64], v[55:56], s[38:39], s[36:37]
	v_add_f64_e64 v[43:44], v[53:54], -v[43:44]
	v_add_f64_e64 v[49:50], v[57:58], -v[49:50]
	v_fma_f64 v[69:70], v[57:58], s[38:39], s[36:37]
	v_add_f64_e64 v[51:52], v[59:60], -v[51:52]
	v_fma_f64 v[73:74], v[59:60], s[38:39], s[36:37]
	v_mul_f64_e32 v[65:66], v[29:30], v[53:54]
	v_add_f64_e64 v[45:46], v[55:56], -v[45:46]
	v_mul_f64_e32 v[67:68], v[31:32], v[55:56]
	v_mul_f64_e32 v[71:72], v[33:34], v[57:58]
	;; [unrolled: 1-line block ×3, first 2 shown]
	v_fma_f64 v[61:62], v[53:54], v[61:62], s[40:41]
	v_fma_f64 v[63:64], v[55:56], v[63:64], s[40:41]
	v_add_f64_e64 v[37:38], v[37:38], -v[43:44]
	v_add_f64_e64 v[41:42], v[41:42], -v[49:50]
	v_fma_f64 v[49:50], v[57:58], v[69:70], s[40:41]
	v_add_f64_e64 v[47:48], v[47:48], -v[51:52]
	v_fma_f64 v[51:52], v[59:60], v[73:74], s[40:41]
	v_fma_f64 v[43:44], v[53:54], v[29:30], -v[65:66]
	v_add_f64_e64 v[39:40], v[39:40], -v[45:46]
	v_fma_f64 v[45:46], v[55:56], v[31:32], -v[67:68]
	v_fma_f64 v[69:70], v[57:58], v[33:34], -v[71:72]
	;; [unrolled: 1-line block ×3, first 2 shown]
	v_fma_f64 v[61:62], v[53:54], v[61:62], s[42:43]
	v_fma_f64 v[63:64], v[55:56], v[63:64], s[42:43]
	v_fma_f64 v[49:50], v[57:58], v[49:50], s[42:43]
	v_fma_f64 v[51:52], v[59:60], v[51:52], s[42:43]
	v_fma_f64 v[43:44], v[53:54], v[4:5], v[43:44]
	v_ldexp_f64 v[4:5], v[4:5], 1
	v_fma_f64 v[45:46], v[55:56], v[23:24], v[45:46]
	v_fma_f64 v[69:70], v[57:58], v[25:26], v[69:70]
	;; [unrolled: 1-line block ×3, first 2 shown]
	v_ldexp_f64 v[23:24], v[23:24], 1
	v_ldexp_f64 v[25:26], v[25:26], 1
	;; [unrolled: 1-line block ×3, first 2 shown]
	v_fma_f64 v[61:62], v[53:54], v[61:62], s[44:45]
	v_fma_f64 v[63:64], v[55:56], v[63:64], s[44:45]
	;; [unrolled: 1-line block ×4, first 2 shown]
	s_delay_alu instid0(VALU_DEP_4) | instskip(NEXT) | instid1(VALU_DEP_4)
	v_fma_f64 v[61:62], v[53:54], v[61:62], s[46:47]
	v_fma_f64 v[63:64], v[55:56], v[63:64], s[46:47]
	s_delay_alu instid0(VALU_DEP_4) | instskip(NEXT) | instid1(VALU_DEP_4)
	v_fma_f64 v[49:50], v[57:58], v[49:50], s[46:47]
	v_fma_f64 v[51:52], v[59:60], v[51:52], s[46:47]
	s_wait_alu 0xfffe
	s_delay_alu instid0(VALU_DEP_4) | instskip(NEXT) | instid1(VALU_DEP_4)
	v_fma_f64 v[61:62], v[53:54], v[61:62], s[48:49]
	v_fma_f64 v[63:64], v[55:56], v[63:64], s[48:49]
	s_delay_alu instid0(VALU_DEP_4) | instskip(NEXT) | instid1(VALU_DEP_4)
	v_fma_f64 v[49:50], v[57:58], v[49:50], s[48:49]
	v_fma_f64 v[51:52], v[59:60], v[51:52], s[48:49]
	;; [unrolled: 3-line block ×6, first 2 shown]
	s_delay_alu instid0(VALU_DEP_4) | instskip(NEXT) | instid1(VALU_DEP_4)
	v_mul_f64_e32 v[77:78], v[53:54], v[61:62]
	v_mul_f64_e32 v[79:80], v[55:56], v[63:64]
	s_delay_alu instid0(VALU_DEP_4) | instskip(NEXT) | instid1(VALU_DEP_4)
	v_mul_f64_e32 v[81:82], v[57:58], v[49:50]
	v_mul_f64_e32 v[83:84], v[59:60], v[51:52]
	s_delay_alu instid0(VALU_DEP_4) | instskip(NEXT) | instid1(VALU_DEP_4)
	v_fma_f64 v[53:54], v[53:54], v[61:62], -v[77:78]
	v_fma_f64 v[55:56], v[55:56], v[63:64], -v[79:80]
	s_delay_alu instid0(VALU_DEP_4) | instskip(NEXT) | instid1(VALU_DEP_4)
	v_fma_f64 v[57:58], v[57:58], v[49:50], -v[81:82]
	v_fma_f64 v[59:60], v[59:60], v[51:52], -v[83:84]
	s_delay_alu instid0(VALU_DEP_4) | instskip(NEXT) | instid1(VALU_DEP_4)
	v_fma_f64 v[53:54], v[37:38], v[61:62], v[53:54]
	v_fma_f64 v[55:56], v[39:40], v[63:64], v[55:56]
	;; [unrolled: 1-line block ×8, first 2 shown]
	v_ldexp_f64 v[29:30], v[29:30], 1
	v_ldexp_f64 v[31:32], v[31:32], 1
	v_ldexp_f64 v[33:34], v[33:34], 1
	v_ldexp_f64 v[35:36], v[35:36], 1
	v_add_f64_e32 v[57:58], v[77:78], v[53:54]
	v_add_f64_e32 v[59:60], v[79:80], v[55:56]
	;; [unrolled: 1-line block ×4, first 2 shown]
	s_delay_alu instid0(VALU_DEP_4) | instskip(NEXT) | instid1(VALU_DEP_4)
	v_add_f64_e64 v[77:78], v[57:58], -v[77:78]
	v_add_f64_e64 v[79:80], v[59:60], -v[79:80]
	v_add_f64_e32 v[85:86], s[34:35], v[57:58]
	v_add_f64_e32 v[87:88], s[34:35], v[59:60]
	v_add_f64_e64 v[81:82], v[61:62], -v[81:82]
	v_add_f64_e32 v[89:90], s[34:35], v[61:62]
	v_add_f64_e64 v[83:84], v[63:64], -v[83:84]
	v_add_f64_e64 v[53:54], v[53:54], -v[77:78]
	v_add_f64_e32 v[77:78], s[34:35], v[63:64]
	v_add_f64_e64 v[55:56], v[55:56], -v[79:80]
	v_add_f64_e32 v[79:80], s[58:59], v[85:86]
	;; [unrolled: 2-line block ×4, first 2 shown]
	v_add_f64_e32 v[53:54], s[60:61], v[53:54]
	v_add_f64_e32 v[55:56], s[60:61], v[55:56]
	v_add_f64_e64 v[57:58], v[57:58], -v[79:80]
	v_add_f64_e32 v[79:80], s[58:59], v[77:78]
	v_add_f64_e64 v[59:60], v[59:60], -v[81:82]
	;; [unrolled: 2-line block ×3, first 2 shown]
	v_add_f64_e32 v[51:52], s[60:61], v[51:52]
	v_add_f64_e32 v[45:46], v[53:54], v[57:58]
	v_add_f64_e64 v[63:64], v[63:64], -v[79:80]
	v_add_f64_e32 v[53:54], v[65:66], v[37:38]
	v_add_f64_e32 v[47:48], v[55:56], v[59:60]
	;; [unrolled: 1-line block ×8, first 2 shown]
	v_add_f64_e64 v[65:66], v[53:54], -v[65:66]
	v_add_f64_e32 v[63:64], v[87:88], v[47:48]
	v_add_f64_e32 v[69:70], v[89:90], v[49:50]
	v_add_f64_e64 v[67:68], v[55:56], -v[67:68]
	v_add_f64_e64 v[71:72], v[57:58], -v[71:72]
	;; [unrolled: 1-line block ×3, first 2 shown]
	v_mul_f64_e32 v[79:80], v[53:54], v[61:62]
	v_add_f64_e32 v[73:74], v[77:78], v[51:52]
	v_add_f64_e64 v[37:38], v[37:38], -v[65:66]
	v_add_f64_e64 v[65:66], v[85:86], -v[61:62]
	;; [unrolled: 1-line block ×3, first 2 shown]
	v_mul_f64_e32 v[83:84], v[55:56], v[63:64]
	v_add_f64_e64 v[85:86], v[89:90], -v[69:70]
	v_mul_f64_e32 v[87:88], v[57:58], v[69:70]
	v_add_f64_e64 v[39:40], v[39:40], -v[67:68]
	v_add_f64_e64 v[41:42], v[41:42], -v[71:72]
	v_add_f64_e64 v[43:44], v[43:44], -v[75:76]
	v_add_f64_e64 v[77:78], v[77:78], -v[73:74]
	v_mul_f64_e32 v[89:90], v[59:60], v[73:74]
	v_add_f64_e32 v[45:46], v[45:46], v[65:66]
	v_fma_f64 v[65:66], v[53:54], v[61:62], -v[79:80]
	v_add_f64_e32 v[47:48], v[47:48], v[81:82]
	v_fma_f64 v[81:82], v[55:56], v[63:64], -v[83:84]
	;; [unrolled: 2-line block ×4, first 2 shown]
	v_fma_f64 v[45:46], v[53:54], v[45:46], v[65:66]
	v_frexp_exp_i32_f64_e32 v53, v[18:19]
	v_fma_f64 v[47:48], v[55:56], v[47:48], v[81:82]
	v_frexp_exp_i32_f64_e32 v54, v[8:9]
	;; [unrolled: 2-line block ×3, first 2 shown]
	v_frexp_exp_i32_f64_e32 v56, v[2:3]
	v_fma_f64 v[51:52], v[59:60], v[51:52], v[77:78]
	v_fma_f64 v[37:38], v[37:38], v[61:62], v[45:46]
	v_subrev_co_ci_u32_e64 v53, null, 0, v53, s0
	v_fma_f64 v[39:40], v[39:40], v[63:64], v[47:48]
	v_fma_f64 v[41:42], v[41:42], v[69:70], v[49:50]
	v_subrev_co_ci_u32_e64 v57, null, 0, v54, s1
	v_subrev_co_ci_u32_e64 v58, null, 0, v55, s2
	v_cvt_f64_i32_e32 v[53:54], v53
	v_subrev_co_ci_u32_e64 v59, null, 0, v56, vcc_lo
	s_delay_alu instid0(VALU_DEP_4) | instskip(NEXT) | instid1(VALU_DEP_4)
	v_cvt_f64_i32_e32 v[55:56], v57
	v_cvt_f64_i32_e32 v[57:58], v58
	s_delay_alu instid0(VALU_DEP_3)
	v_cvt_f64_i32_e32 v[59:60], v59
	v_fma_f64 v[43:44], v[43:44], v[73:74], v[51:52]
	v_add_f64_e32 v[45:46], v[79:80], v[37:38]
	v_add_f64_e32 v[47:48], v[83:84], v[39:40]
	;; [unrolled: 1-line block ×3, first 2 shown]
	v_mul_f64_e32 v[77:78], s[54:55], v[53:54]
	v_mul_f64_e32 v[81:82], s[54:55], v[57:58]
	v_add_f64_e32 v[51:52], v[89:90], v[43:44]
	v_add_f64_e32 v[61:62], v[29:30], v[45:46]
	v_add_f64_e64 v[63:64], v[45:46], -v[79:80]
	v_mul_f64_e32 v[79:80], s[54:55], v[55:56]
	v_add_f64_e32 v[65:66], v[31:32], v[47:48]
	v_add_f64_e64 v[67:68], v[47:48], -v[83:84]
	v_add_f64_e32 v[69:70], v[33:34], v[49:50]
	v_add_f64_e64 v[71:72], v[49:50], -v[87:88]
	v_mul_f64_e32 v[83:84], s[54:55], v[59:60]
	v_add_f64_e32 v[73:74], v[35:36], v[51:52]
	v_add_f64_e64 v[75:76], v[51:52], -v[89:90]
	v_add_f64_e64 v[29:30], v[61:62], -v[29:30]
	;; [unrolled: 1-line block ×3, first 2 shown]
	v_fma_f64 v[63:64], v[53:54], s[54:55], -v[77:78]
	v_add_f64_e64 v[31:32], v[65:66], -v[31:32]
	v_add_f64_e64 v[39:40], v[39:40], -v[67:68]
	;; [unrolled: 1-line block ×4, first 2 shown]
	v_fma_f64 v[67:68], v[55:56], s[54:55], -v[79:80]
	v_fma_f64 v[71:72], v[57:58], s[54:55], -v[81:82]
	v_add_f64_e64 v[35:36], v[73:74], -v[35:36]
	v_add_f64_e64 v[43:44], v[43:44], -v[75:76]
	v_add_f64_e64 v[29:30], v[45:46], -v[29:30]
	v_add_f64_e32 v[4:5], v[4:5], v[37:38]
	v_fma_f64 v[75:76], v[59:60], s[54:55], -v[83:84]
	v_add_f64_e64 v[31:32], v[47:48], -v[31:32]
	v_add_f64_e32 v[23:24], v[23:24], v[39:40]
	v_add_f64_e64 v[33:34], v[49:50], -v[33:34]
	v_add_f64_e32 v[25:26], v[25:26], v[41:42]
	v_fma_f64 v[37:38], v[53:54], s[56:57], v[63:64]
	v_fma_f64 v[39:40], v[55:56], s[56:57], v[67:68]
	;; [unrolled: 1-line block ×3, first 2 shown]
	v_add_f64_e64 v[35:36], v[51:52], -v[35:36]
	v_add_f64_e32 v[27:28], v[27:28], v[43:44]
	v_add_f64_e32 v[4:5], v[4:5], v[29:30]
	v_fma_f64 v[43:44], v[59:60], s[56:57], v[75:76]
	v_add_f64_e32 v[23:24], v[23:24], v[31:32]
	v_add_f64_e32 v[25:26], v[25:26], v[33:34]
	;; [unrolled: 1-line block ×10, first 2 shown]
	v_add_f64_e64 v[63:64], v[29:30], -v[77:78]
	v_add_f64_e64 v[67:68], v[31:32], -v[79:80]
	;; [unrolled: 1-line block ×3, first 2 shown]
	v_add_f64_e32 v[51:52], v[73:74], v[27:28]
	v_add_f64_e32 v[53:54], v[29:30], v[45:46]
	v_add_f64_e64 v[61:62], v[45:46], -v[61:62]
	v_add_f64_e64 v[83:84], v[35:36], -v[83:84]
	v_add_f64_e32 v[55:56], v[31:32], v[47:48]
	v_add_f64_e32 v[57:58], v[33:34], v[49:50]
	v_add_f64_e64 v[37:38], v[37:38], -v[63:64]
	v_add_f64_e64 v[63:64], v[47:48], -v[65:66]
	;; [unrolled: 1-line block ×5, first 2 shown]
	v_trunc_f64_e32 v[81:82], v[14:15]
	v_add_f64_e32 v[59:60], v[35:36], v[51:52]
	v_add_f64_e64 v[69:70], v[51:52], -v[73:74]
	v_add_f64_e64 v[71:72], v[53:54], -v[29:30]
	;; [unrolled: 1-line block ×5, first 2 shown]
	v_mul_f64_e32 v[83:84], 0.5, v[14:15]
	v_add_f64_e64 v[77:78], v[57:58], -v[33:34]
	v_add_f64_e64 v[23:24], v[23:24], -v[63:64]
	;; [unrolled: 1-line block ×3, first 2 shown]
	v_cmp_eq_f64_e64 s4, v[81:82], v[14:15]
	v_add_f64_e64 v[79:80], v[59:60], -v[35:36]
	v_add_f64_e64 v[27:28], v[27:28], -v[69:70]
	;; [unrolled: 1-line block ×4, first 2 shown]
	v_add_f64_e32 v[61:62], v[37:38], v[4:5]
	v_add_f64_e64 v[85:86], v[55:56], -v[75:76]
	v_add_f64_e64 v[47:48], v[47:48], -v[75:76]
	;; [unrolled: 1-line block ×4, first 2 shown]
	v_add_f64_e32 v[63:64], v[39:40], v[23:24]
	v_add_f64_e32 v[65:66], v[41:42], v[25:26]
	v_trunc_f64_e32 v[77:78], v[16:17]
	v_add_f64_e64 v[89:90], v[59:60], -v[79:80]
	v_add_f64_e64 v[51:52], v[51:52], -v[79:80]
	;; [unrolled: 1-line block ×3, first 2 shown]
	v_add_f64_e32 v[67:68], v[43:44], v[27:28]
	v_mul_f64_e32 v[79:80], 0.5, v[16:17]
	v_add_f64_e64 v[31:32], v[31:32], -v[85:86]
	v_trunc_f64_e32 v[85:86], v[12:13]
	v_add_f64_e64 v[33:34], v[33:34], -v[87:88]
	v_mul_f64_e32 v[87:88], 0.5, v[12:13]
	v_add_f64_e64 v[35:36], v[35:36], -v[89:90]
	v_trunc_f64_e32 v[89:90], v[10:11]
	v_add_f64_e32 v[29:30], v[45:46], v[29:30]
	v_add_f64_e64 v[45:46], v[61:62], -v[37:38]
	v_trunc_f64_e32 v[81:82], v[79:80]
	v_add_f64_e32 v[31:32], v[47:48], v[31:32]
	v_add_f64_e64 v[47:48], v[63:64], -v[39:40]
	v_add_f64_e32 v[33:34], v[49:50], v[33:34]
	v_add_f64_e64 v[49:50], v[65:66], -v[41:42]
	v_cmp_eq_f64_e64 s5, v[85:86], v[12:13]
	v_add_f64_e32 v[35:36], v[51:52], v[35:36]
	v_add_f64_e64 v[51:52], v[67:68], -v[43:44]
	v_add_f64_e32 v[29:30], v[61:62], v[29:30]
	v_add_f64_e64 v[61:62], v[61:62], -v[45:46]
	v_add_f64_e64 v[4:5], v[4:5], -v[45:46]
	v_add_f64_e32 v[31:32], v[63:64], v[31:32]
	v_add_f64_e64 v[63:64], v[63:64], -v[47:48]
	v_add_f64_e32 v[33:34], v[65:66], v[33:34]
	v_add_f64_e64 v[65:66], v[65:66], -v[49:50]
	v_add_f64_e64 v[23:24], v[23:24], -v[47:48]
	;; [unrolled: 1-line block ×3, first 2 shown]
	v_cmp_eq_f64_e64 s6, v[89:90], v[10:11]
	v_cmp_neq_f64_e64 s19, v[81:82], v[79:80]
	v_add_f64_e32 v[35:36], v[67:68], v[35:36]
	v_add_f64_e64 v[67:68], v[67:68], -v[51:52]
	v_add_f64_e32 v[69:70], v[53:54], v[29:30]
	v_add_f64_e64 v[37:38], v[37:38], -v[61:62]
	v_add_f64_e64 v[27:28], v[27:28], -v[51:52]
	v_add_f64_e32 v[71:72], v[55:56], v[31:32]
	v_add_f64_e64 v[39:40], v[39:40], -v[63:64]
	v_add_f64_e32 v[73:74], v[57:58], v[33:34]
	;; [unrolled: 2-line block ×3, first 2 shown]
	v_add_f64_e64 v[43:44], v[43:44], -v[67:68]
	v_add_f64_e64 v[45:46], v[69:70], -v[53:54]
	v_add_f64_e32 v[4:5], v[4:5], v[37:38]
	v_add_f64_e64 v[47:48], v[71:72], -v[55:56]
	v_add_f64_e32 v[23:24], v[23:24], v[39:40]
	;; [unrolled: 2-line block ×4, first 2 shown]
	v_add_f64_e64 v[29:30], v[29:30], -v[45:46]
	v_add_f64_e64 v[31:32], v[31:32], -v[47:48]
	;; [unrolled: 1-line block ×4, first 2 shown]
	s_delay_alu instid0(VALU_DEP_4) | instskip(NEXT) | instid1(VALU_DEP_4)
	v_add_f64_e32 v[4:5], v[4:5], v[29:30]
	v_add_f64_e32 v[23:24], v[23:24], v[31:32]
	s_delay_alu instid0(VALU_DEP_4) | instskip(NEXT) | instid1(VALU_DEP_4)
	v_add_f64_e32 v[25:26], v[25:26], v[33:34]
	v_add_f64_e32 v[27:28], v[27:28], v[35:36]
	;; [unrolled: 3-line block ×4, first 2 shown]
	s_delay_alu instid0(VALU_DEP_4)
	v_add_f64_e64 v[37:38], v[29:30], -v[69:70]
	v_mul_f64_e32 v[39:40], v[16:17], v[29:30]
	v_add_f64_e64 v[41:42], v[31:32], -v[71:72]
	v_mul_f64_e32 v[43:44], v[14:15], v[31:32]
	;; [unrolled: 2-line block ×4, first 2 shown]
	v_add_f64_e64 v[4:5], v[4:5], -v[37:38]
	v_fma_f64 v[29:30], v[16:17], v[29:30], -v[39:40]
	v_cmp_class_f64_e64 vcc_lo, v[39:40], 0x204
	v_add_f64_e64 v[23:24], v[23:24], -v[41:42]
	v_fma_f64 v[31:32], v[14:15], v[31:32], -v[43:44]
	v_add_f64_e64 v[25:26], v[25:26], -v[45:46]
	v_fma_f64 v[33:34], v[12:13], v[33:34], -v[47:48]
	v_cmp_class_f64_e64 s0, v[43:44], 0x204
	v_cmp_class_f64_e64 s1, v[47:48], 0x204
	v_add_f64_e64 v[27:28], v[27:28], -v[49:50]
	v_fma_f64 v[35:36], v[10:11], v[35:36], -v[51:52]
	v_cmp_class_f64_e64 s2, v[51:52], 0x204
	v_fma_f64 v[4:5], v[16:17], v[4:5], v[29:30]
	v_fma_f64 v[23:24], v[14:15], v[23:24], v[31:32]
	;; [unrolled: 1-line block ×4, first 2 shown]
	s_delay_alu instid0(VALU_DEP_4) | instskip(NEXT) | instid1(VALU_DEP_4)
	v_add_f64_e32 v[29:30], v[39:40], v[4:5]
	v_add_f64_e32 v[31:32], v[43:44], v[23:24]
	s_delay_alu instid0(VALU_DEP_4) | instskip(NEXT) | instid1(VALU_DEP_4)
	v_add_f64_e32 v[33:34], v[47:48], v[25:26]
	v_add_f64_e32 v[35:36], v[51:52], v[27:28]
	s_wait_alu 0xfffd
	s_delay_alu instid0(VALU_DEP_4)
	v_dual_cndmask_b32 v38, v30, v40 :: v_dual_cndmask_b32 v37, v29, v39
	v_add_f64_e64 v[29:30], v[29:30], -v[39:40]
	s_wait_alu 0xf1ff
	v_cndmask_b32_e64 v42, v32, v44, s0
	v_cndmask_b32_e64 v41, v31, v43, s0
	;; [unrolled: 1-line block ×4, first 2 shown]
	v_mul_f64_e32 v[53:54], s[62:63], v[37:38]
	v_add_f64_e64 v[31:32], v[31:32], -v[43:44]
	v_mul_f64_e32 v[55:56], s[62:63], v[41:42]
	v_cmp_nlt_f64_e64 s14, 0x40900000, v[37:38]
	v_mul_f64_e32 v[57:58], s[62:63], v[45:46]
	v_cmp_nlt_f64_e64 s11, 0x40900000, v[41:42]
	v_cmp_neq_f64_e64 s7, 0x7ff00000, |v[37:38]|
	v_cmp_ngt_f64_e64 s15, 0xc090cc00, v[37:38]
	v_add_f64_e64 v[33:34], v[33:34], -v[47:48]
	v_cmp_nlt_f64_e64 s12, 0x40900000, v[45:46]
	v_cmp_ngt_f64_e64 s16, 0xc090cc00, v[41:42]
	v_cmp_ngt_f64_e64 s17, 0xc090cc00, v[45:46]
	v_cmp_neq_f64_e64 s8, 0x7ff00000, |v[41:42]|
	v_cmp_neq_f64_e64 s9, 0x7ff00000, |v[45:46]|
	v_cmp_gt_f64_e64 s0, 0, v[14:15]
	v_cmp_lt_f64_e64 s92, |v[18:19]|, 1.0
	v_cmp_gt_f64_e32 vcc_lo, 0, v[16:17]
	v_cmp_gt_f64_e64 s1, 0, v[12:13]
	v_cmp_class_f64_e64 s93, v[18:19], 0x204
	v_cndmask_b32_e64 v50, v36, v52, s2
	v_cndmask_b32_e64 v49, v35, v51, s2
	v_add_f64_e64 v[35:36], v[35:36], -v[51:52]
	v_cmp_eq_f64_e64 s2, v[77:78], v[16:17]
	v_mul_f64_e32 v[77:78], 0.5, v[10:11]
	v_add_f64_e64 v[4:5], v[4:5], -v[29:30]
	v_mul_f64_e32 v[59:60], s[62:63], v[49:50]
	v_cmp_nlt_f64_e64 s13, 0x40900000, v[49:50]
	v_cmp_ngt_f64_e64 s18, 0xc090cc00, v[49:50]
	v_rndne_f64_e32 v[53:54], v[53:54]
	v_cmp_neq_f64_e64 s10, 0x7ff00000, |v[49:50]|
	v_rndne_f64_e32 v[55:56], v[55:56]
	v_add_f64_e64 v[23:24], v[23:24], -v[31:32]
	v_rndne_f64_e32 v[57:58], v[57:58]
	v_add_f64_e64 v[25:26], v[25:26], -v[33:34]
	v_add_f64_e64 v[27:28], v[27:28], -v[35:36]
	s_wait_alu 0xf1ff
	v_cndmask_b32_e64 v5, 0, v5, s7
	v_rndne_f64_e32 v[59:60], v[59:60]
	v_cndmask_b32_e64 v4, 0, v4, s7
	s_and_b32 s7, s15, s14
	v_fma_f64 v[61:62], v[53:54], s[64:65], v[37:38]
	v_cvt_i32_f64_e32 v91, v[53:54]
	v_fma_f64 v[63:64], v[55:56], s[64:65], v[41:42]
	v_cvt_i32_f64_e32 v92, v[55:56]
	;; [unrolled: 2-line block ×3, first 2 shown]
	v_cndmask_b32_e64 v24, 0, v24, s8
	v_cndmask_b32_e64 v23, 0, v23, s8
	;; [unrolled: 1-line block ×6, first 2 shown]
	v_fma_f64 v[67:68], v[59:60], s[64:65], v[49:50]
	v_cvt_i32_f64_e32 v94, v[59:60]
	v_fma_f64 v[61:62], v[53:54], s[66:67], v[61:62]
	v_fma_f64 v[63:64], v[55:56], s[66:67], v[63:64]
	;; [unrolled: 1-line block ×4, first 2 shown]
	s_delay_alu instid0(VALU_DEP_4) | instskip(NEXT) | instid1(VALU_DEP_4)
	v_fma_f64 v[69:70], v[61:62], s[70:71], s[68:69]
	v_fma_f64 v[71:72], v[63:64], s[70:71], s[68:69]
	s_delay_alu instid0(VALU_DEP_4) | instskip(NEXT) | instid1(VALU_DEP_4)
	v_fma_f64 v[73:74], v[65:66], s[70:71], s[68:69]
	v_fma_f64 v[75:76], v[67:68], s[70:71], s[68:69]
	;; [unrolled: 3-line block ×18, first 2 shown]
	s_delay_alu instid0(VALU_DEP_4) | instskip(NEXT) | instid1(VALU_DEP_4)
	v_fma_f64 v[69:70], v[61:62], v[69:70], 1.0
	v_fma_f64 v[71:72], v[63:64], v[71:72], 1.0
	s_delay_alu instid0(VALU_DEP_4) | instskip(NEXT) | instid1(VALU_DEP_4)
	v_fma_f64 v[73:74], v[65:66], v[73:74], 1.0
	v_fma_f64 v[75:76], v[67:68], v[75:76], 1.0
	s_delay_alu instid0(VALU_DEP_4)
	v_fma_f64 v[53:54], v[61:62], v[69:70], 1.0
	v_trunc_f64_e32 v[61:62], v[83:84]
	v_fma_f64 v[55:56], v[63:64], v[71:72], 1.0
	v_trunc_f64_e32 v[63:64], v[87:88]
	v_fma_f64 v[57:58], v[65:66], v[73:74], 1.0
	v_fma_f64 v[59:60], v[67:68], v[75:76], 1.0
	v_ldexp_f64 v[39:40], v[53:54], v91
	v_trunc_f64_e32 v[53:54], v[77:78]
	v_ldexp_f64 v[43:44], v[55:56], v92
	v_cmp_neq_f64_e64 s20, v[61:62], v[83:84]
	v_ldexp_f64 v[47:48], v[57:58], v93
	v_cmp_neq_f64_e64 s21, v[63:64], v[87:88]
	v_ldexp_f64 v[51:52], v[59:60], v94
	v_cndmask_b32_e64 v29, 0x7ff00000, v40, s14
	v_cmp_neq_f64_e64 s22, v[53:54], v[77:78]
	v_cndmask_b32_e64 v31, 0x7ff00000, v44, s11
	v_cmp_eq_f64_e64 s14, 0, v[2:3]
	v_cndmask_b32_e64 v33, 0x7ff00000, v48, s12
	v_cndmask_b32_e64 v30, 0, v29, s15
	s_wait_alu 0xfffe
	v_cndmask_b32_e64 v29, 0, v39, s7
	s_and_b32 s7, s16, s11
	v_cndmask_b32_e64 v32, 0, v31, s16
	s_wait_alu 0xfffe
	v_cndmask_b32_e64 v31, 0, v43, s7
	s_and_b32 s7, s17, s12
	;; [unrolled: 4-line block ×3, first 2 shown]
	v_fma_f64 v[4:5], v[29:30], v[4:5], v[29:30]
	v_fma_f64 v[23:24], v[31:32], v[23:24], v[31:32]
	v_cmp_class_f64_e64 s8, v[31:32], 0x204
	v_cmp_eq_f64_e64 s12, 0, v[8:9]
	v_cmp_eq_f64_e64 s11, 0, v[18:19]
	v_fma_f64 v[25:26], v[33:34], v[25:26], v[33:34]
	v_cmp_class_f64_e64 s9, v[33:34], 0x204
	s_and_b32 s15, s2, s19
	s_and_b32 s16, s4, s20
	s_wait_alu 0xfffe
	v_cndmask_b32_e64 v37, 0x3ff00000, v19, s15
	v_cndmask_b32_e64 v38, 0x3ff00000, v9, s16
	s_and_b32 s17, s5, s21
	s_wait_alu 0xfffe
	v_cndmask_b32_e64 v39, 0x3ff00000, v7, s17
	v_cndmask_b32_e64 v35, 0x7ff00000, v52, s13
	v_cmp_eq_f64_e64 s13, 0, v[6:7]
	s_delay_alu instid0(VALU_DEP_2)
	v_cndmask_b32_e64 v36, 0, v35, s18
	v_cndmask_b32_e64 v35, 0, v51, s7
	v_cmp_class_f64_e64 s7, v[29:30], 0x204
	s_and_b32 s18, s6, s22
	s_wait_alu 0xfffe
	v_cndmask_b32_e64 v40, 0x3ff00000, v3, s18
	v_fma_f64 v[27:28], v[35:36], v[27:28], v[35:36]
	v_cmp_class_f64_e64 s10, v[35:36], 0x204
	v_cndmask_b32_e64 v24, v24, v32, s8
	s_xor_b32 s0, s0, s12
	v_cndmask_b32_e64 v23, v23, v31, s8
	v_cmp_neq_f64_e64 s8, |v[18:19]|, 1.0
	v_cndmask_b32_e64 v26, v26, v34, s9
	v_bfi_b32 v24, 0x7fffffff, v24, v38
	v_cndmask_b32_e64 v25, v25, v33, s9
	v_cndmask_b32_e64 v32, 0, v23, s4
	s_delay_alu instid0(VALU_DEP_4) | instskip(NEXT) | instid1(VALU_DEP_4)
	v_bfi_b32 v26, 0x7fffffff, v26, v39
	v_cndmask_b32_e64 v31, 0x7ff80000, v24, s4
	v_cmp_gt_f64_e64 s4, 0, v[8:9]
	v_cndmask_b32_e64 v34, 0, v25, s5
	s_delay_alu instid0(VALU_DEP_4)
	v_cndmask_b32_e64 v33, 0x7ff80000, v26, s5
	v_cmp_gt_f64_e64 s5, 0, v[6:7]
	s_xor_b32 s1, s1, s13
	v_cndmask_b32_e64 v5, v5, v30, s7
	v_cndmask_b32_e64 v4, v4, v29, s7
	s_xor_b32 s7, s88, s92
	v_cndmask_b32_e64 v28, v28, v36, s10
	s_delay_alu instid0(VALU_DEP_3)
	v_bfi_b32 v5, 0x7fffffff, v5, v37
	s_wait_alu 0xfffe
	v_cndmask_b32_e64 v37, 0x7ff00000, 0, s7
	s_xor_b32 s7, vcc_lo, s11
	v_cmp_neq_f64_e64 vcc_lo, |v[8:9]|, 1.0
	v_bfi_b32 v28, 0x7fffffff, v28, v40
	v_cndmask_b32_e64 v40, 0x7ff00000, 0, s0
	s_xor_b32 s0, s90, s96
	v_cndmask_b32_e64 v29, 0x7ff80000, v5, s2
	s_wait_alu 0xfffe
	v_cndmask_b32_e64 v41, 0x7ff00000, 0, s0
	v_cmp_neq_f64_e64 s0, |v[6:7]|, 1.0
	v_cndmask_b32_e64 v30, 0, v4, s2
	v_cmp_gt_f64_e64 s2, 0, v[18:19]
	v_cndmask_b32_e64 v38, 0x7ff00000, 0, s7
	s_xor_b32 s7, s89, s94
	v_cndmask_b32_e64 v27, v27, v35, s10
	s_wait_alu 0xfffe
	v_cndmask_b32_e64 v39, 0x7ff00000, 0, s7
	v_cndmask_b32_e64 v35, 0x7ff80000, v28, s6
	;; [unrolled: 1-line block ×5, first 2 shown]
	v_cmp_gt_f64_e64 s6, 0, v[2:3]
	v_cmp_class_f64_e64 s4, v[10:11], 0x204
	s_xor_b32 s7, s91, s98
	v_cndmask_b32_e64 v32, 0, v9, s16
	s_wait_alu 0xfffe
	v_cndmask_b32_e64 v42, 0x7ff00000, 0, s7
	v_cmp_neq_f64_e64 s7, |v[2:3]|, 1.0
	v_cndmask_b32_e64 v37, 0x3ff00000, v37, s8
	v_cndmask_b32_e64 v31, 0, v19, s15
	v_cndmask_b32_e64 v26, v26, v33, s5
	v_bfi_b32 v32, 0x7fffffff, v40, v32
	v_cndmask_b32_e64 v25, v25, v34, s5
	s_or_b32 s5, s14, s99
	v_bfi_b32 v31, 0x7fffffff, v38, v31
	v_cndmask_b32_e64 v33, 0, v7, s17
	v_cndmask_b32_e64 v34, 0, v3, s18
	s_wait_alu 0xfffd
	v_cndmask_b32_e32 v39, 0x3ff00000, v39, vcc_lo
	v_cmp_class_f64_e64 vcc_lo, v[16:17], 0x204
	v_cndmask_b32_e64 v41, 0x3ff00000, v41, s0
	v_cmp_class_f64_e64 s0, v[14:15], 0x204
	v_cndmask_b32_e64 v4, v4, v30, s2
	v_cndmask_b32_e64 v5, v5, v29, s2
	v_cmp_class_f64_e64 s2, v[12:13], 0x204
	v_cndmask_b32_e64 v29, 0x7ff00000, 0, s1
	s_xor_b32 s1, s3, s14
	s_or_b32 s3, s13, s97
	s_wait_alu 0xfffe
	v_cndmask_b32_e64 v30, 0x7ff00000, 0, s1
	s_or_b32 s1, s12, s95
	v_bfi_b32 v29, 0x7fffffff, v29, v33
	v_cndmask_b32_e64 v27, v27, v36, s6
	v_cndmask_b32_e64 v28, v28, v35, s6
	s_or_b32 s6, s11, s93
	v_bfi_b32 v30, 0x7fffffff, v30, v34
	v_cndmask_b32_e64 v42, 0x3ff00000, v42, s7
	s_delay_alu instid0(VALU_DEP_1) | instskip(NEXT) | instid1(VALU_DEP_1)
	v_cndmask_b32_e64 v28, v28, v42, s4
	v_cndmask_b32_e64 v28, v28, v30, s5
	s_wait_alu 0xfffd
	v_cndmask_b32_e32 v5, v5, v37, vcc_lo
	s_wait_alu 0xfffe
	s_delay_alu instid0(VALU_DEP_1)
	v_cndmask_b32_e64 v5, v5, v31, s6
	v_cndmask_b32_e64 v24, v24, v39, s0
	s_or_b32 s0, s1, s0
	s_or_b32 s6, s6, vcc_lo
	v_cndmask_b32_e64 v26, v26, v41, s2
	v_cmp_o_f64_e32 vcc_lo, v[18:19], v[16:17]
	v_cndmask_b32_e64 v24, v24, v32, s1
	s_or_b32 s1, s3, s2
	s_or_b32 s2, s5, s4
	s_wait_alu 0xfffe
	v_cndmask_b32_e64 v16, v23, 0, s0
	v_cmp_o_f64_e64 s0, v[8:9], v[14:15]
	v_cndmask_b32_e64 v8, v25, 0, s1
	v_cmp_o_f64_e64 s1, v[6:7], v[12:13]
	;; [unrolled: 2-line block ×3, first 2 shown]
	v_cndmask_b32_e64 v26, v26, v29, s3
	v_add_co_u32 v0, s3, v0, s29
	s_wait_alu 0xf1ff
	v_add_co_ci_u32_e64 v1, null, 0, v1, s3
	v_cndmask_b32_e64 v4, v4, 0, s6
	v_add_co_u32 v10, s3, s26, v21
	s_delay_alu instid0(VALU_DEP_3)
	v_lshlrev_b64_e32 v[2:3], 2, v[0:1]
	s_wait_alu 0xf1ff
	v_add_co_ci_u32_e64 v11, null, s27, v22, s3
	v_add_co_u32 v21, s3, v21, s33
	s_wait_alu 0xf1ff
	v_add_co_ci_u32_e64 v22, null, 0, v22, s3
	v_cmp_le_i64_e64 s4, s[30:31], v[2:3]
	s_or_b32 s23, s4, s23
	s_wait_alu 0xfffd
	v_cndmask_b32_e32 v2, 0, v4, vcc_lo
	v_cndmask_b32_e32 v3, 0x7ff80000, v5, vcc_lo
	v_cndmask_b32_e64 v4, 0, v16, s0
	v_cndmask_b32_e64 v5, 0x7ff80000, v24, s0
	;; [unrolled: 1-line block ×6, first 2 shown]
	s_clause 0x1
	global_store_b128 v[10:11], v[2:5], off
	global_store_b128 v[10:11], v[6:9], off offset:16
	s_wait_alu 0xfffe
	s_and_not1_b32 exec_lo, exec_lo, s23
	s_cbranch_execnz .LBB66_24
.LBB66_25:
	s_endpgm
	.section	.rodata,"a",@progbits
	.p2align	6, 0x0
	.amdhsa_kernel _ZN2at6native12_GLOBAL__N_125multi_tensor_apply_kernelINS1_18TensorListMetadataILi2EEENS1_21BinaryOpScalarFunctorIdLi2ELi1ELi1EEEJNS1_13power_functorIdEEdEEEvT_T0_DpT1_
		.amdhsa_group_segment_fixed_size 0
		.amdhsa_private_segment_fixed_size 0
		.amdhsa_kernarg_size 3416
		.amdhsa_user_sgpr_count 2
		.amdhsa_user_sgpr_dispatch_ptr 0
		.amdhsa_user_sgpr_queue_ptr 0
		.amdhsa_user_sgpr_kernarg_segment_ptr 1
		.amdhsa_user_sgpr_dispatch_id 0
		.amdhsa_user_sgpr_private_segment_size 0
		.amdhsa_wavefront_size32 1
		.amdhsa_uses_dynamic_stack 0
		.amdhsa_enable_private_segment 0
		.amdhsa_system_sgpr_workgroup_id_x 1
		.amdhsa_system_sgpr_workgroup_id_y 0
		.amdhsa_system_sgpr_workgroup_id_z 0
		.amdhsa_system_sgpr_workgroup_info 0
		.amdhsa_system_vgpr_workitem_id 0
		.amdhsa_next_free_vgpr 95
		.amdhsa_next_free_sgpr 100
		.amdhsa_reserve_vcc 1
		.amdhsa_float_round_mode_32 0
		.amdhsa_float_round_mode_16_64 0
		.amdhsa_float_denorm_mode_32 3
		.amdhsa_float_denorm_mode_16_64 3
		.amdhsa_fp16_overflow 0
		.amdhsa_workgroup_processor_mode 1
		.amdhsa_memory_ordered 1
		.amdhsa_forward_progress 1
		.amdhsa_inst_pref_size 119
		.amdhsa_round_robin_scheduling 0
		.amdhsa_exception_fp_ieee_invalid_op 0
		.amdhsa_exception_fp_denorm_src 0
		.amdhsa_exception_fp_ieee_div_zero 0
		.amdhsa_exception_fp_ieee_overflow 0
		.amdhsa_exception_fp_ieee_underflow 0
		.amdhsa_exception_fp_ieee_inexact 0
		.amdhsa_exception_int_div_zero 0
	.end_amdhsa_kernel
	.section	.text._ZN2at6native12_GLOBAL__N_125multi_tensor_apply_kernelINS1_18TensorListMetadataILi2EEENS1_21BinaryOpScalarFunctorIdLi2ELi1ELi1EEEJNS1_13power_functorIdEEdEEEvT_T0_DpT1_,"axG",@progbits,_ZN2at6native12_GLOBAL__N_125multi_tensor_apply_kernelINS1_18TensorListMetadataILi2EEENS1_21BinaryOpScalarFunctorIdLi2ELi1ELi1EEEJNS1_13power_functorIdEEdEEEvT_T0_DpT1_,comdat
.Lfunc_end66:
	.size	_ZN2at6native12_GLOBAL__N_125multi_tensor_apply_kernelINS1_18TensorListMetadataILi2EEENS1_21BinaryOpScalarFunctorIdLi2ELi1ELi1EEEJNS1_13power_functorIdEEdEEEvT_T0_DpT1_, .Lfunc_end66-_ZN2at6native12_GLOBAL__N_125multi_tensor_apply_kernelINS1_18TensorListMetadataILi2EEENS1_21BinaryOpScalarFunctorIdLi2ELi1ELi1EEEJNS1_13power_functorIdEEdEEEvT_T0_DpT1_
                                        ; -- End function
	.set _ZN2at6native12_GLOBAL__N_125multi_tensor_apply_kernelINS1_18TensorListMetadataILi2EEENS1_21BinaryOpScalarFunctorIdLi2ELi1ELi1EEEJNS1_13power_functorIdEEdEEEvT_T0_DpT1_.num_vgpr, 95
	.set _ZN2at6native12_GLOBAL__N_125multi_tensor_apply_kernelINS1_18TensorListMetadataILi2EEENS1_21BinaryOpScalarFunctorIdLi2ELi1ELi1EEEJNS1_13power_functorIdEEdEEEvT_T0_DpT1_.num_agpr, 0
	.set _ZN2at6native12_GLOBAL__N_125multi_tensor_apply_kernelINS1_18TensorListMetadataILi2EEENS1_21BinaryOpScalarFunctorIdLi2ELi1ELi1EEEJNS1_13power_functorIdEEdEEEvT_T0_DpT1_.numbered_sgpr, 100
	.set _ZN2at6native12_GLOBAL__N_125multi_tensor_apply_kernelINS1_18TensorListMetadataILi2EEENS1_21BinaryOpScalarFunctorIdLi2ELi1ELi1EEEJNS1_13power_functorIdEEdEEEvT_T0_DpT1_.num_named_barrier, 0
	.set _ZN2at6native12_GLOBAL__N_125multi_tensor_apply_kernelINS1_18TensorListMetadataILi2EEENS1_21BinaryOpScalarFunctorIdLi2ELi1ELi1EEEJNS1_13power_functorIdEEdEEEvT_T0_DpT1_.private_seg_size, 0
	.set _ZN2at6native12_GLOBAL__N_125multi_tensor_apply_kernelINS1_18TensorListMetadataILi2EEENS1_21BinaryOpScalarFunctorIdLi2ELi1ELi1EEEJNS1_13power_functorIdEEdEEEvT_T0_DpT1_.uses_vcc, 1
	.set _ZN2at6native12_GLOBAL__N_125multi_tensor_apply_kernelINS1_18TensorListMetadataILi2EEENS1_21BinaryOpScalarFunctorIdLi2ELi1ELi1EEEJNS1_13power_functorIdEEdEEEvT_T0_DpT1_.uses_flat_scratch, 0
	.set _ZN2at6native12_GLOBAL__N_125multi_tensor_apply_kernelINS1_18TensorListMetadataILi2EEENS1_21BinaryOpScalarFunctorIdLi2ELi1ELi1EEEJNS1_13power_functorIdEEdEEEvT_T0_DpT1_.has_dyn_sized_stack, 0
	.set _ZN2at6native12_GLOBAL__N_125multi_tensor_apply_kernelINS1_18TensorListMetadataILi2EEENS1_21BinaryOpScalarFunctorIdLi2ELi1ELi1EEEJNS1_13power_functorIdEEdEEEvT_T0_DpT1_.has_recursion, 0
	.set _ZN2at6native12_GLOBAL__N_125multi_tensor_apply_kernelINS1_18TensorListMetadataILi2EEENS1_21BinaryOpScalarFunctorIdLi2ELi1ELi1EEEJNS1_13power_functorIdEEdEEEvT_T0_DpT1_.has_indirect_call, 0
	.section	.AMDGPU.csdata,"",@progbits
; Kernel info:
; codeLenInByte = 15108
; TotalNumSgprs: 102
; NumVgprs: 95
; ScratchSize: 0
; MemoryBound: 0
; FloatMode: 240
; IeeeMode: 1
; LDSByteSize: 0 bytes/workgroup (compile time only)
; SGPRBlocks: 0
; VGPRBlocks: 11
; NumSGPRsForWavesPerEU: 102
; NumVGPRsForWavesPerEU: 95
; Occupancy: 16
; WaveLimiterHint : 0
; COMPUTE_PGM_RSRC2:SCRATCH_EN: 0
; COMPUTE_PGM_RSRC2:USER_SGPR: 2
; COMPUTE_PGM_RSRC2:TRAP_HANDLER: 0
; COMPUTE_PGM_RSRC2:TGID_X_EN: 1
; COMPUTE_PGM_RSRC2:TGID_Y_EN: 0
; COMPUTE_PGM_RSRC2:TGID_Z_EN: 0
; COMPUTE_PGM_RSRC2:TIDIG_COMP_CNT: 0
	.section	.text._ZN2at6native12_GLOBAL__N_125multi_tensor_apply_kernelINS1_18TensorListMetadataILi2EEENS1_21BinaryOpScalarFunctorIfLi2ELi1ELi1EEEJNS1_13power_functorIfEEfEEEvT_T0_DpT1_,"axG",@progbits,_ZN2at6native12_GLOBAL__N_125multi_tensor_apply_kernelINS1_18TensorListMetadataILi2EEENS1_21BinaryOpScalarFunctorIfLi2ELi1ELi1EEEJNS1_13power_functorIfEEfEEEvT_T0_DpT1_,comdat
	.globl	_ZN2at6native12_GLOBAL__N_125multi_tensor_apply_kernelINS1_18TensorListMetadataILi2EEENS1_21BinaryOpScalarFunctorIfLi2ELi1ELi1EEEJNS1_13power_functorIfEEfEEEvT_T0_DpT1_ ; -- Begin function _ZN2at6native12_GLOBAL__N_125multi_tensor_apply_kernelINS1_18TensorListMetadataILi2EEENS1_21BinaryOpScalarFunctorIfLi2ELi1ELi1EEEJNS1_13power_functorIfEEfEEEvT_T0_DpT1_
	.p2align	8
	.type	_ZN2at6native12_GLOBAL__N_125multi_tensor_apply_kernelINS1_18TensorListMetadataILi2EEENS1_21BinaryOpScalarFunctorIfLi2ELi1ELi1EEEJNS1_13power_functorIfEEfEEEvT_T0_DpT1_,@function
_ZN2at6native12_GLOBAL__N_125multi_tensor_apply_kernelINS1_18TensorListMetadataILi2EEENS1_21BinaryOpScalarFunctorIfLi2ELi1ELi1EEEJNS1_13power_functorIfEEfEEEvT_T0_DpT1_: ; @_ZN2at6native12_GLOBAL__N_125multi_tensor_apply_kernelINS1_18TensorListMetadataILi2EEENS1_21BinaryOpScalarFunctorIfLi2ELi1ELi1EEEJNS1_13power_functorIfEEfEEEvT_T0_DpT1_
; %bb.0:
	s_load_u8 s8, s[0:1], ttmp9 offset:0x600
	s_mov_b32 s2, ttmp9
	s_mov_b32 s3, 0
	s_delay_alu instid0(SALU_CYCLE_1)
	s_mul_u64 s[4:5], s[2:3], 3
	s_add_nc_u64 s[6:7], s[0:1], s[2:3]
	s_mov_b32 s11, s3
	s_add_nc_u64 s[4:5], s[6:7], s[4:5]
	s_mov_b32 s13, s3
	s_load_b32 s4, s[4:5], 0x740
	s_wait_kmcnt 0x0
	s_lshl_b32 s2, s8, 3
	s_clause 0x3
	s_load_b64 s[22:23], s[0:1], s2 offset:0x0
	s_load_b64 s[24:25], s[0:1], s2 offset:0x200
	;; [unrolled: 1-line block ×3, first 2 shown]
	s_load_b32 s28, s[0:1], 0xc4c
	s_ashr_i32 s5, s4, 31
	s_delay_alu instid0(SALU_CYCLE_1)
	s_lshl_b64 s[8:9], s[4:5], 18
	s_lshl_b64 s[4:5], s[4:5], 16
	s_wait_kmcnt 0x0
	s_add_nc_u64 s[14:15], s[22:23], s[8:9]
	s_and_b32 s10, s24, 15
	s_and_b32 s12, s6, 3
	s_and_b32 s2, s14, 15
	s_or_b64 s[10:11], s[10:11], s[12:13]
	s_delay_alu instid0(SALU_CYCLE_1)
	s_or_b64 s[2:3], s[10:11], s[2:3]
	s_sub_nc_u64 s[10:11], s[6:7], s[4:5]
	s_cmp_eq_u64 s[2:3], 0
	s_mov_b32 s2, -1
	s_cbranch_scc1 .LBB67_21
; %bb.1:
	v_cmp_lt_i64_e64 s2, s[10:11], 1
	s_and_b32 vcc_lo, exec_lo, s2
	s_cbranch_vccnz .LBB67_20
; %bb.2:
	s_load_b32 s2, s[0:1], 0xc5c
	v_cmp_gt_i64_e64 s3, 0x10000, s[10:11]
	v_dual_mov_b32 v10, 0 :: v_dual_lshlrev_b32 v9, 2, v0
	v_cmp_gt_u64_e64 s4, 0x10000, s[10:11]
	s_mov_b32 s13, 0
	s_mov_b64 s[18:19], 0
	v_add_co_u32 v1, s5, s22, v9
	s_and_b32 s3, s3, exec_lo
	v_add_co_ci_u32_e64 v2, null, s23, 0, s5
	v_add_co_u32 v3, s5, s24, v9
	s_cselect_b32 s15, s11, 0
	s_cselect_b32 s14, s10, 0x10000
	v_add_co_ci_u32_e64 v4, null, s25, 0, s5
	s_mov_b32 s20, 0x3e76c4e1
	s_wait_kmcnt 0x0
	s_and_b32 s2, s2, 0xffff
	s_and_b32 s3, s4, exec_lo
	s_cselect_b32 s17, s11, 0
	s_cselect_b32 s16, s10, 0x10000
	s_mul_i32 s4, s2, 3
	s_lshl_b32 s5, s2, 3
	v_mad_co_u64_u32 v[7:8], null, s2, 12, v[9:10]
	s_wait_alu 0xfffe
	v_add_co_u32 v14, s5, s5, v9
	v_add_co_u32 v9, s4, s4, v0
	s_wait_alu 0xf1ff
	v_add_co_ci_u32_e64 v10, null, 0, 0, s4
	v_add_co_u32 v13, s4, v0, s2
	s_lshl_b32 s3, s2, 1
	v_add_co_u32 v5, vcc_lo, s22, v7
	v_lshlrev_b32_e32 v21, 2, v13
	v_add_co_ci_u32_e64 v15, null, 0, 0, s5
	v_add_co_ci_u32_e64 v6, null, s23, v8, vcc_lo
	v_add_co_u32 v7, vcc_lo, s24, v7
	s_wait_alu 0xfffe
	v_add_co_u32 v17, s3, s3, v0
	s_wait_alu 0xfffd
	v_add_co_ci_u32_e64 v8, null, s25, v8, vcc_lo
	v_add_co_u32 v11, vcc_lo, s22, v14
	s_wait_alu 0xf1ff
	v_add_co_ci_u32_e64 v18, null, 0, 0, s3
	v_add_co_u32 v19, s3, s22, v21
	s_wait_alu 0xfffd
	v_add_co_ci_u32_e64 v12, null, s23, v15, vcc_lo
	v_add_co_u32 v14, vcc_lo, s24, v14
	s_wait_alu 0xf1ff
	v_add_co_ci_u32_e64 v20, null, s23, 0, s3
	v_add_co_u32 v21, s3, s24, v21
	s_wait_alu 0xfffd
	v_add_co_ci_u32_e64 v15, null, s25, v15, vcc_lo
	v_add_co_ci_u32_e64 v16, null, 0, 0, s4
	s_wait_alu 0xf1ff
	v_add_co_ci_u32_e64 v22, null, s25, 0, s3
	s_lshl_b32 s12, s2, 2
	s_lshl_b32 s7, s2, 4
	s_branch .LBB67_4
.LBB67_3:                               ;   in Loop: Header=BB67_4 Depth=1
	s_wait_alu 0xfffe
	s_or_b32 exec_lo, exec_lo, s5
	v_add_co_u32 v1, vcc_lo, v1, s7
	s_wait_alu 0xfffd
	v_add_co_ci_u32_e64 v2, null, 0, v2, vcc_lo
	v_add_co_u32 v3, vcc_lo, v3, s7
	s_wait_alu 0xfffd
	v_add_co_ci_u32_e64 v4, null, 0, v4, vcc_lo
	;; [unrolled: 3-line block ×5, first 2 shown]
	v_add_co_u32 v14, vcc_lo, v14, s7
	s_add_nc_u64 s[18:19], s[18:19], s[12:13]
	s_wait_alu 0xfffd
	v_add_co_ci_u32_e64 v15, null, 0, v15, vcc_lo
	v_add_co_u32 v19, vcc_lo, v19, s7
	s_wait_alu 0xfffe
	v_cmp_lt_i64_e64 s2, s[18:19], s[14:15]
	s_wait_alu 0xfffd
	v_add_co_ci_u32_e64 v20, null, 0, v20, vcc_lo
	v_add_co_u32 v21, vcc_lo, v21, s7
	s_wait_alu 0xfffd
	v_add_co_ci_u32_e64 v22, null, 0, v22, vcc_lo
	s_and_b32 vcc_lo, exec_lo, s2
	s_wait_alu 0xfffe
	s_cbranch_vccz .LBB67_20
.LBB67_4:                               ; =>This Inner Loop Header: Depth=1
	s_wait_loadcnt 0x0
	v_add_co_u32 v23, s2, v0, s18
	s_wait_alu 0xf1ff
	v_add_co_ci_u32_e64 v24, null, 0, s19, s2
	v_mov_b32_e32 v26, 0
	s_delay_alu instid0(VALU_DEP_2)
	v_cmp_gt_u64_e64 s4, s[16:17], v[23:24]
	s_and_saveexec_b32 s2, s4
	s_cbranch_execz .LBB67_6
; %bb.5:                                ;   in Loop: Header=BB67_4 Depth=1
	v_add_co_u32 v23, vcc_lo, v1, s8
	s_wait_alu 0xfffd
	v_add_co_ci_u32_e64 v24, null, s9, v2, vcc_lo
	global_load_b32 v26, v[23:24], off
.LBB67_6:                               ;   in Loop: Header=BB67_4 Depth=1
	s_wait_alu 0xfffe
	s_or_b32 exec_lo, exec_lo, s2
	v_add_co_u32 v23, vcc_lo, v13, s18
	s_wait_alu 0xfffd
	v_add_co_ci_u32_e64 v24, null, s19, v16, vcc_lo
	v_mov_b32_e32 v25, 0
	s_delay_alu instid0(VALU_DEP_2)
	v_cmp_gt_u64_e64 s3, s[16:17], v[23:24]
	v_mov_b32_e32 v24, 0
	s_and_saveexec_b32 s2, s3
	s_cbranch_execz .LBB67_8
; %bb.7:                                ;   in Loop: Header=BB67_4 Depth=1
	v_add_co_u32 v27, vcc_lo, v19, s8
	s_wait_alu 0xfffd
	v_add_co_ci_u32_e64 v28, null, s9, v20, vcc_lo
	global_load_b32 v25, v[27:28], off
.LBB67_8:                               ;   in Loop: Header=BB67_4 Depth=1
	s_wait_alu 0xfffe
	s_or_b32 exec_lo, exec_lo, s2
	v_add_co_u32 v27, vcc_lo, v17, s18
	s_wait_alu 0xfffd
	v_add_co_ci_u32_e64 v28, null, s19, v18, vcc_lo
	s_delay_alu instid0(VALU_DEP_1)
	v_cmp_gt_u64_e64 s2, s[16:17], v[27:28]
	s_and_saveexec_b32 s5, s2
	s_cbranch_execz .LBB67_10
; %bb.9:                                ;   in Loop: Header=BB67_4 Depth=1
	v_add_co_u32 v23, vcc_lo, v11, s8
	s_wait_alu 0xfffd
	v_add_co_ci_u32_e64 v24, null, s9, v12, vcc_lo
	global_load_b32 v24, v[23:24], off
.LBB67_10:                              ;   in Loop: Header=BB67_4 Depth=1
	s_wait_alu 0xfffe
	s_or_b32 exec_lo, exec_lo, s5
	v_add_co_u32 v27, vcc_lo, v9, s18
	s_wait_alu 0xfffd
	v_add_co_ci_u32_e64 v28, null, s19, v10, vcc_lo
	v_mov_b32_e32 v23, 0
	s_delay_alu instid0(VALU_DEP_2)
	v_cmp_gt_u64_e32 vcc_lo, s[16:17], v[27:28]
	s_and_saveexec_b32 s6, vcc_lo
	s_cbranch_execnz .LBB67_15
; %bb.11:                               ;   in Loop: Header=BB67_4 Depth=1
	s_wait_alu 0xfffe
	s_or_b32 exec_lo, exec_lo, s6
	s_and_saveexec_b32 s21, s4
	s_cbranch_execnz .LBB67_16
.LBB67_12:                              ;   in Loop: Header=BB67_4 Depth=1
	s_wait_alu 0xfffe
	s_or_b32 exec_lo, exec_lo, s21
	s_and_saveexec_b32 s21, s3
	s_cbranch_execnz .LBB67_17
.LBB67_13:                              ;   in Loop: Header=BB67_4 Depth=1
	s_wait_alu 0xfffe
	s_or_b32 exec_lo, exec_lo, s21
	s_and_saveexec_b32 s6, s2
	s_cbranch_execnz .LBB67_18
.LBB67_14:                              ;   in Loop: Header=BB67_4 Depth=1
	s_wait_alu 0xfffe
	s_or_b32 exec_lo, exec_lo, s6
	s_and_saveexec_b32 s5, vcc_lo
	s_cbranch_execz .LBB67_3
	s_branch .LBB67_19
.LBB67_15:                              ;   in Loop: Header=BB67_4 Depth=1
	v_add_co_u32 v27, s5, v5, s8
	s_wait_alu 0xf1ff
	v_add_co_ci_u32_e64 v28, null, s9, v6, s5
	global_load_b32 v23, v[27:28], off
	s_wait_alu 0xfffe
	s_or_b32 exec_lo, exec_lo, s6
	s_and_saveexec_b32 s21, s4
	s_cbranch_execz .LBB67_12
.LBB67_16:                              ;   in Loop: Header=BB67_4 Depth=1
	s_wait_loadcnt 0x0
	v_cmp_neq_f32_e64 s4, 1.0, v26
	s_wait_alu 0xf1ff
	s_delay_alu instid0(VALU_DEP_1) | instskip(NEXT) | instid1(VALU_DEP_1)
	v_cndmask_b32_e64 v28, 1.0, s28, s4
	v_cmp_neq_f32_e64 s4, 0, v28
	v_cmp_neq_f32_e64 s26, v28, |v28|
	s_wait_alu 0xf1ff
	s_delay_alu instid0(VALU_DEP_2) | instskip(NEXT) | instid1(VALU_DEP_1)
	v_cndmask_b32_e64 v29, 1.0, v26, s4
	v_cvt_f64_f32_e64 v[26:27], |v29|
	v_cmp_lt_f32_e64 s27, |v29|, 1.0
	v_cmp_eq_f32_e64 s6, 0, v29
	s_xor_b32 s26, s26, s27
	v_frexp_exp_i32_f64_e32 v26, v[26:27]
	v_frexp_mant_f32_e64 v27, |v29|
	s_delay_alu instid0(VALU_DEP_1) | instskip(SKIP_1) | instid1(VALU_DEP_1)
	v_cmp_gt_f32_e64 s4, 0x3f2aaaab, v27
	s_wait_alu 0xf1ff
	v_cndmask_b32_e64 v30, 1.0, 2.0, s4
	s_delay_alu instid0(VALU_DEP_1) | instskip(NEXT) | instid1(VALU_DEP_1)
	v_mul_f32_e32 v27, v27, v30
	v_add_f32_e32 v30, 1.0, v27
	v_add_f32_e32 v32, -1.0, v27
	s_delay_alu instid0(VALU_DEP_2) | instskip(NEXT) | instid1(VALU_DEP_1)
	v_add_f32_e32 v34, -1.0, v30
	v_sub_f32_e32 v27, v27, v34
	v_rcp_f32_e32 v31, v30
	v_subrev_co_ci_u32_e64 v26, null, 0, v26, s4
	s_delay_alu instid0(TRANS32_DEP_1) | instskip(NEXT) | instid1(VALU_DEP_2)
	v_mul_f32_e32 v33, v32, v31
	v_cvt_f32_i32_e32 v26, v26
	s_delay_alu instid0(VALU_DEP_2) | instskip(NEXT) | instid1(VALU_DEP_1)
	v_mul_f32_e32 v35, v30, v33
	v_fma_f32 v30, v33, v30, -v35
	s_delay_alu instid0(VALU_DEP_1) | instskip(NEXT) | instid1(VALU_DEP_1)
	v_fmac_f32_e32 v30, v33, v27
	v_add_f32_e32 v27, v35, v30
	s_delay_alu instid0(VALU_DEP_1) | instskip(NEXT) | instid1(VALU_DEP_1)
	v_sub_f32_e32 v35, v27, v35
	v_sub_f32_e32 v30, v35, v30
	;; [unrolled: 1-line block ×3, first 2 shown]
	s_delay_alu instid0(VALU_DEP_1) | instskip(NEXT) | instid1(VALU_DEP_1)
	v_sub_f32_e32 v32, v32, v34
	v_sub_f32_e32 v27, v32, v27
	s_delay_alu instid0(VALU_DEP_1) | instskip(NEXT) | instid1(VALU_DEP_1)
	v_add_f32_e32 v27, v30, v27
	v_add_f32_e32 v27, v34, v27
	s_delay_alu instid0(VALU_DEP_1) | instskip(NEXT) | instid1(VALU_DEP_1)
	v_mul_f32_e32 v27, v31, v27
	v_add_f32_e32 v30, v33, v27
	s_delay_alu instid0(VALU_DEP_1) | instskip(NEXT) | instid1(VALU_DEP_1)
	v_sub_f32_e32 v31, v30, v33
	v_dual_mul_f32 v32, v30, v30 :: v_dual_sub_f32 v27, v27, v31
	s_delay_alu instid0(VALU_DEP_1) | instskip(NEXT) | instid1(VALU_DEP_2)
	v_fma_f32 v31, v30, v30, -v32
	v_add_f32_e32 v33, v27, v27
	s_delay_alu instid0(VALU_DEP_1) | instskip(NEXT) | instid1(VALU_DEP_1)
	v_fmac_f32_e32 v31, v30, v33
	v_add_f32_e32 v33, v32, v31
	s_delay_alu instid0(VALU_DEP_1) | instskip(SKIP_1) | instid1(VALU_DEP_1)
	v_fmaak_f32 v34, s20, v33, 0x3e91f4c4
	v_sub_f32_e32 v32, v33, v32
	v_dual_fmaak_f32 v34, v33, v34, 0x3ecccdef :: v_dual_sub_f32 v31, v31, v32
	s_delay_alu instid0(VALU_DEP_1) | instskip(NEXT) | instid1(VALU_DEP_1)
	v_mul_f32_e32 v35, v33, v34
	v_fma_f32 v32, v33, v34, -v35
	s_delay_alu instid0(VALU_DEP_1) | instskip(NEXT) | instid1(VALU_DEP_1)
	v_fmac_f32_e32 v32, v31, v34
	v_add_f32_e32 v34, v35, v32
	s_delay_alu instid0(VALU_DEP_1) | instskip(NEXT) | instid1(VALU_DEP_1)
	v_dual_sub_f32 v35, v34, v35 :: v_dual_add_f32 v36, 0x3f2aaaaa, v34
	v_dual_sub_f32 v32, v32, v35 :: v_dual_add_f32 v35, 0xbf2aaaaa, v36
	s_delay_alu instid0(VALU_DEP_1) | instskip(NEXT) | instid1(VALU_DEP_2)
	v_dual_add_f32 v32, 0x31739010, v32 :: v_dual_mul_f32 v37, v30, v33
	v_sub_f32_e32 v34, v34, v35
	s_delay_alu instid0(VALU_DEP_2) | instskip(NEXT) | instid1(VALU_DEP_2)
	v_fma_f32 v38, v33, v30, -v37
	v_add_f32_e32 v32, v32, v34
	s_delay_alu instid0(VALU_DEP_2) | instskip(SKIP_1) | instid1(VALU_DEP_2)
	v_fmac_f32_e32 v38, v33, v27
	v_ldexp_f32 v27, v27, 1
	v_dual_fmac_f32 v38, v31, v30 :: v_dual_add_f32 v31, v36, v32
	v_ldexp_f32 v30, v30, 1
	s_delay_alu instid0(VALU_DEP_2) | instskip(NEXT) | instid1(VALU_DEP_1)
	v_dual_add_f32 v33, v37, v38 :: v_dual_sub_f32 v34, v36, v31
	v_dual_mul_f32 v35, v33, v31 :: v_dual_add_f32 v32, v32, v34
	v_sub_f32_e32 v36, v33, v37
	s_delay_alu instid0(VALU_DEP_2) | instskip(NEXT) | instid1(VALU_DEP_2)
	v_fma_f32 v34, v33, v31, -v35
	v_sub_f32_e32 v36, v38, v36
	s_delay_alu instid0(VALU_DEP_2) | instskip(NEXT) | instid1(VALU_DEP_1)
	v_fmac_f32_e32 v34, v33, v32
	v_fmac_f32_e32 v34, v36, v31
	s_delay_alu instid0(VALU_DEP_1) | instskip(NEXT) | instid1(VALU_DEP_1)
	v_add_f32_e32 v31, v35, v34
	v_add_f32_e32 v33, v30, v31
	v_dual_sub_f32 v32, v31, v35 :: v_dual_mul_f32 v35, 0x3f317218, v26
	s_delay_alu instid0(VALU_DEP_2) | instskip(NEXT) | instid1(VALU_DEP_2)
	v_sub_f32_e32 v30, v33, v30
	v_sub_f32_e32 v32, v34, v32
	s_delay_alu instid0(VALU_DEP_3) | instskip(NEXT) | instid1(VALU_DEP_3)
	v_fma_f32 v34, 0x3f317218, v26, -v35
	v_sub_f32_e32 v30, v31, v30
	s_delay_alu instid0(VALU_DEP_2) | instskip(NEXT) | instid1(VALU_DEP_1)
	v_dual_add_f32 v27, v27, v32 :: v_dual_fmac_f32 v34, 0xb102e308, v26
	v_add_f32_e32 v26, v27, v30
	s_delay_alu instid0(VALU_DEP_2) | instskip(NEXT) | instid1(VALU_DEP_1)
	v_add_f32_e32 v27, v35, v34
	v_dual_add_f32 v30, v33, v26 :: v_dual_sub_f32 v35, v27, v35
	s_delay_alu instid0(VALU_DEP_1) | instskip(NEXT) | instid1(VALU_DEP_1)
	v_add_f32_e32 v31, v27, v30
	v_dual_sub_f32 v33, v30, v33 :: v_dual_sub_f32 v32, v31, v27
	s_delay_alu instid0(VALU_DEP_1) | instskip(SKIP_1) | instid1(VALU_DEP_2)
	v_sub_f32_e32 v36, v31, v32
	v_sub_f32_e32 v30, v30, v32
	v_dual_sub_f32 v27, v27, v36 :: v_dual_sub_f32 v34, v34, v35
	s_delay_alu instid0(VALU_DEP_1) | instskip(SKIP_1) | instid1(VALU_DEP_1)
	v_add_f32_e32 v27, v30, v27
	v_sub_f32_e32 v26, v26, v33
	v_add_f32_e32 v32, v34, v26
	s_delay_alu instid0(VALU_DEP_1) | instskip(NEXT) | instid1(VALU_DEP_1)
	v_add_f32_e32 v27, v32, v27
	v_dual_sub_f32 v30, v32, v34 :: v_dual_add_f32 v33, v31, v27
	s_delay_alu instid0(VALU_DEP_1) | instskip(NEXT) | instid1(VALU_DEP_1)
	v_dual_sub_f32 v32, v32, v30 :: v_dual_sub_f32 v31, v33, v31
	v_dual_sub_f32 v27, v27, v31 :: v_dual_sub_f32 v26, v26, v30
	s_delay_alu instid0(VALU_DEP_2) | instskip(NEXT) | instid1(VALU_DEP_1)
	v_sub_f32_e32 v30, v34, v32
	v_add_f32_e32 v26, v26, v30
	s_delay_alu instid0(VALU_DEP_1) | instskip(NEXT) | instid1(VALU_DEP_1)
	v_add_f32_e32 v26, v26, v27
	v_add_f32_e32 v27, v33, v26
	s_delay_alu instid0(VALU_DEP_1) | instskip(NEXT) | instid1(VALU_DEP_1)
	v_dual_sub_f32 v30, v27, v33 :: v_dual_mul_f32 v31, v28, v27
	v_sub_f32_e32 v26, v26, v30
	s_delay_alu instid0(VALU_DEP_2) | instskip(SKIP_1) | instid1(VALU_DEP_2)
	v_fma_f32 v27, v28, v27, -v31
	v_cmp_class_f32_e64 s4, v31, 0x204
	v_fmac_f32_e32 v27, v28, v26
	s_delay_alu instid0(VALU_DEP_1) | instskip(SKIP_1) | instid1(VALU_DEP_1)
	v_add_f32_e32 v26, v31, v27
	s_wait_alu 0xf1ff
	v_cndmask_b32_e64 v30, v26, v31, s4
	s_delay_alu instid0(VALU_DEP_1) | instskip(SKIP_1) | instid1(VALU_DEP_1)
	v_cmp_eq_f32_e64 s4, 0x42b17218, v30
	s_wait_alu 0xf1ff
	v_cndmask_b32_e64 v32, 0, 0x37000000, s4
	v_cmp_neq_f32_e64 s4, 0x7f800000, |v30|
	s_delay_alu instid0(VALU_DEP_2) | instskip(SKIP_1) | instid1(VALU_DEP_2)
	v_sub_f32_e32 v33, v30, v32
	v_sub_f32_e32 v26, v26, v31
	v_mul_f32_e32 v34, 0x3fb8aa3b, v33
	s_delay_alu instid0(VALU_DEP_2) | instskip(SKIP_2) | instid1(VALU_DEP_4)
	v_sub_f32_e32 v26, v27, v26
	v_trunc_f32_e32 v27, v28
	v_cmp_nlt_f32_e64 s5, 0x42b17218, v33
	v_fma_f32 v35, 0x3fb8aa3b, v33, -v34
	v_rndne_f32_e32 v36, v34
	s_wait_alu 0xf1ff
	v_cndmask_b32_e64 v26, 0, v26, s4
	v_cmp_ngt_f32_e64 s4, 0xc2ce8ed0, v33
	s_delay_alu instid0(VALU_DEP_3) | instskip(SKIP_1) | instid1(VALU_DEP_4)
	v_dual_fmac_f32 v35, 0x32a5705f, v33 :: v_dual_sub_f32 v34, v34, v36
	v_cvt_i32_f32_e32 v31, v36
	v_add_f32_e32 v26, v32, v26
	s_delay_alu instid0(VALU_DEP_3) | instskip(NEXT) | instid1(VALU_DEP_1)
	v_add_f32_e32 v34, v34, v35
	v_exp_f32_e32 v34, v34
	s_delay_alu instid0(TRANS32_DEP_1) | instskip(SKIP_2) | instid1(VALU_DEP_2)
	v_ldexp_f32 v31, v34, v31
	v_mul_f32_e32 v34, 0.5, v28
	s_wait_alu 0xf1ff
	v_cndmask_b32_e64 v30, 0, v31, s4
	s_delay_alu instid0(VALU_DEP_2) | instskip(SKIP_1) | instid1(VALU_DEP_3)
	v_trunc_f32_e32 v31, v34
	v_cmp_eq_f32_e64 s4, v27, v28
	v_cndmask_b32_e64 v27, 0x7f800000, v30, s5
	s_delay_alu instid0(VALU_DEP_3) | instskip(NEXT) | instid1(VALU_DEP_2)
	v_cmp_neq_f32_e64 s5, v31, v34
	v_fma_f32 v26, v27, v26, v27
	s_and_b32 s5, s4, s5
	s_wait_alu 0xfffe
	v_cndmask_b32_e64 v30, 0, v29, s5
	v_cndmask_b32_e64 v31, 1.0, v29, s5
	v_cmp_class_f32_e64 s5, v27, 0x204
	s_wait_alu 0xf1ff
	s_delay_alu instid0(VALU_DEP_1) | instskip(SKIP_2) | instid1(VALU_DEP_3)
	v_cndmask_b32_e64 v26, v26, v27, s5
	v_cmp_gt_f32_e64 s5, 0, v28
	v_cndmask_b32_e64 v27, 0x7f800000, 0, s26
	v_bfi_b32 v26, 0x7fffffff, v26, v31
	s_delay_alu instid0(VALU_DEP_1)
	v_cndmask_b32_e64 v31, 0x7fc00000, v26, s4
	s_xor_b32 s4, s5, s6
	v_cmp_class_f32_e64 s5, v29, 0x204
	s_wait_alu 0xfffe
	v_cndmask_b32_e64 v32, 0x7f800000, 0, s4
	v_cmp_neq_f32_e64 s4, |v29|, 1.0
	s_delay_alu instid0(VALU_DEP_2) | instskip(SKIP_1) | instid1(VALU_DEP_2)
	v_bfi_b32 v30, 0x7fffffff, v32, v30
	s_wait_alu 0xf1ff
	v_cndmask_b32_e64 v27, 1.0, v27, s4
	v_cmp_gt_f32_e64 s4, 0, v29
	s_wait_alu 0xf1ff
	s_delay_alu instid0(VALU_DEP_1) | instskip(SKIP_2) | instid1(VALU_DEP_1)
	v_cndmask_b32_e64 v26, v26, v31, s4
	v_cmp_class_f32_e64 s4, v28, 0x204
	s_wait_alu 0xf1ff
	v_cndmask_b32_e64 v26, v26, v27, s4
	s_or_b32 s4, s6, s5
	s_wait_alu 0xfffe
	s_delay_alu instid0(VALU_DEP_1)
	v_cndmask_b32_e64 v30, v26, v30, s4
	v_add_co_u32 v26, s4, v3, s8
	s_wait_alu 0xf1ff
	v_add_co_ci_u32_e64 v27, null, s9, v4, s4
	v_cmp_o_f32_e64 s4, v29, v28
	s_wait_alu 0xf1ff
	s_delay_alu instid0(VALU_DEP_1)
	v_cndmask_b32_e64 v28, 0x7fc00000, v30, s4
	global_store_b32 v[26:27], v28, off
	s_or_b32 exec_lo, exec_lo, s21
	s_and_saveexec_b32 s21, s3
	s_cbranch_execz .LBB67_13
.LBB67_17:                              ;   in Loop: Header=BB67_4 Depth=1
	s_wait_loadcnt 0x0
	v_cmp_neq_f32_e64 s3, 1.0, v25
	s_wait_alu 0xf1ff
	s_delay_alu instid0(VALU_DEP_1) | instskip(NEXT) | instid1(VALU_DEP_1)
	v_cndmask_b32_e64 v27, 1.0, s28, s3
	v_cmp_neq_f32_e64 s3, 0, v27
	v_cmp_neq_f32_e64 s26, v27, |v27|
	s_wait_alu 0xf1ff
	s_delay_alu instid0(VALU_DEP_2) | instskip(NEXT) | instid1(VALU_DEP_1)
	v_cndmask_b32_e64 v28, 1.0, v25, s3
	v_frexp_mant_f32_e64 v25, |v28|
	v_cmp_lt_f32_e64 s27, |v28|, 1.0
	v_cmp_eq_f32_e64 s6, 0, v28
	s_delay_alu instid0(VALU_DEP_3) | instskip(SKIP_2) | instid1(VALU_DEP_1)
	v_cmp_gt_f32_e64 s3, 0x3f2aaaab, v25
	s_xor_b32 s26, s26, s27
	v_cndmask_b32_e64 v26, 1.0, 2.0, s3
	v_mul_f32_e32 v25, v25, v26
	s_delay_alu instid0(VALU_DEP_1) | instskip(SKIP_1) | instid1(VALU_DEP_2)
	v_add_f32_e32 v26, 1.0, v25
	v_add_f32_e32 v30, -1.0, v25
	v_add_f32_e32 v32, -1.0, v26
	s_delay_alu instid0(VALU_DEP_1) | instskip(SKIP_1) | instid1(TRANS32_DEP_1)
	v_sub_f32_e32 v25, v25, v32
	v_rcp_f32_e32 v29, v26
	v_mul_f32_e32 v31, v30, v29
	s_delay_alu instid0(VALU_DEP_1) | instskip(NEXT) | instid1(VALU_DEP_1)
	v_mul_f32_e32 v33, v26, v31
	v_fma_f32 v26, v31, v26, -v33
	s_delay_alu instid0(VALU_DEP_1) | instskip(NEXT) | instid1(VALU_DEP_1)
	v_fmac_f32_e32 v26, v31, v25
	v_add_f32_e32 v25, v33, v26
	s_delay_alu instid0(VALU_DEP_1) | instskip(NEXT) | instid1(VALU_DEP_1)
	v_sub_f32_e32 v32, v30, v25
	v_dual_sub_f32 v33, v25, v33 :: v_dual_sub_f32 v30, v30, v32
	s_delay_alu instid0(VALU_DEP_1) | instskip(NEXT) | instid1(VALU_DEP_1)
	v_dual_sub_f32 v26, v33, v26 :: v_dual_sub_f32 v25, v30, v25
	v_add_f32_e32 v25, v26, v25
	s_delay_alu instid0(VALU_DEP_1) | instskip(NEXT) | instid1(VALU_DEP_1)
	v_add_f32_e32 v25, v32, v25
	v_mul_f32_e32 v25, v29, v25
	s_delay_alu instid0(VALU_DEP_1) | instskip(NEXT) | instid1(VALU_DEP_1)
	v_add_f32_e32 v29, v31, v25
	v_sub_f32_e32 v26, v29, v31
	s_delay_alu instid0(VALU_DEP_1) | instskip(NEXT) | instid1(VALU_DEP_1)
	v_sub_f32_e32 v31, v25, v26
	v_dual_mul_f32 v30, v29, v29 :: v_dual_add_f32 v25, v31, v31
	s_delay_alu instid0(VALU_DEP_1) | instskip(NEXT) | instid1(VALU_DEP_1)
	v_fma_f32 v32, v29, v29, -v30
	v_fmac_f32_e32 v32, v29, v25
	v_cvt_f64_f32_e64 v[25:26], |v28|
	s_delay_alu instid0(VALU_DEP_2) | instskip(NEXT) | instid1(VALU_DEP_1)
	v_add_f32_e32 v33, v30, v32
	v_fmaak_f32 v34, s20, v33, 0x3e91f4c4
	v_sub_f32_e32 v30, v33, v30
	s_delay_alu instid0(VALU_DEP_2) | instskip(NEXT) | instid1(VALU_DEP_2)
	v_fmaak_f32 v34, v33, v34, 0x3ecccdef
	v_sub_f32_e32 v30, v32, v30
	s_delay_alu instid0(VALU_DEP_2) | instskip(NEXT) | instid1(VALU_DEP_1)
	v_mul_f32_e32 v35, v33, v34
	v_fma_f32 v32, v33, v34, -v35
	s_delay_alu instid0(VALU_DEP_1) | instskip(NEXT) | instid1(VALU_DEP_1)
	v_dual_fmac_f32 v32, v30, v34 :: v_dual_mul_f32 v37, v29, v33
	v_add_f32_e32 v34, v35, v32
	v_frexp_exp_i32_f64_e32 v25, v[25:26]
	s_delay_alu instid0(VALU_DEP_2) | instskip(NEXT) | instid1(VALU_DEP_1)
	v_sub_f32_e32 v35, v34, v35
	v_sub_f32_e32 v26, v32, v35
	v_fma_f32 v35, v33, v29, -v37
	s_delay_alu instid0(VALU_DEP_1) | instskip(NEXT) | instid1(VALU_DEP_1)
	v_dual_add_f32 v36, 0x3f2aaaaa, v34 :: v_dual_fmac_f32 v35, v33, v31
	v_add_f32_e32 v32, 0xbf2aaaaa, v36
	v_ldexp_f32 v31, v31, 1
	s_delay_alu instid0(VALU_DEP_3) | instskip(NEXT) | instid1(VALU_DEP_3)
	v_dual_fmac_f32 v35, v30, v29 :: v_dual_add_f32 v26, 0x31739010, v26
	v_sub_f32_e32 v32, v34, v32
	s_delay_alu instid0(VALU_DEP_1) | instskip(NEXT) | instid1(VALU_DEP_1)
	v_add_f32_e32 v26, v26, v32
	v_add_f32_e32 v30, v36, v26
	s_delay_alu instid0(VALU_DEP_1) | instskip(SKIP_1) | instid1(VALU_DEP_2)
	v_sub_f32_e32 v33, v36, v30
	v_subrev_co_ci_u32_e64 v25, null, 0, v25, s3
	v_add_f32_e32 v26, v26, v33
	s_delay_alu instid0(VALU_DEP_2) | instskip(SKIP_1) | instid1(VALU_DEP_1)
	v_cvt_f32_i32_e32 v25, v25
	v_add_f32_e32 v32, v37, v35
	v_mul_f32_e32 v34, v32, v30
	v_sub_f32_e32 v36, v32, v37
	s_delay_alu instid0(VALU_DEP_2) | instskip(NEXT) | instid1(VALU_DEP_2)
	v_fma_f32 v33, v32, v30, -v34
	v_sub_f32_e32 v35, v35, v36
	s_delay_alu instid0(VALU_DEP_2) | instskip(SKIP_1) | instid1(VALU_DEP_2)
	v_fmac_f32_e32 v33, v32, v26
	v_ldexp_f32 v26, v29, 1
	v_fmac_f32_e32 v33, v35, v30
	s_delay_alu instid0(VALU_DEP_1) | instskip(NEXT) | instid1(VALU_DEP_1)
	v_add_f32_e32 v29, v34, v33
	v_add_f32_e32 v30, v26, v29
	v_sub_f32_e32 v32, v29, v34
	v_mul_f32_e32 v34, 0x3f317218, v25
	s_delay_alu instid0(VALU_DEP_3) | instskip(NEXT) | instid1(VALU_DEP_3)
	v_sub_f32_e32 v26, v30, v26
	v_sub_f32_e32 v32, v33, v32
	s_delay_alu instid0(VALU_DEP_3) | instskip(NEXT) | instid1(VALU_DEP_2)
	v_fma_f32 v33, 0x3f317218, v25, -v34
	v_dual_sub_f32 v26, v29, v26 :: v_dual_add_f32 v29, v31, v32
	s_delay_alu instid0(VALU_DEP_2) | instskip(NEXT) | instid1(VALU_DEP_2)
	v_fmac_f32_e32 v33, 0xb102e308, v25
	v_add_f32_e32 v25, v29, v26
	s_delay_alu instid0(VALU_DEP_1) | instskip(NEXT) | instid1(VALU_DEP_1)
	v_add_f32_e32 v29, v30, v25
	v_sub_f32_e32 v30, v29, v30
	s_delay_alu instid0(VALU_DEP_1) | instskip(NEXT) | instid1(VALU_DEP_1)
	v_dual_sub_f32 v25, v25, v30 :: v_dual_add_f32 v26, v34, v33
	v_sub_f32_e32 v34, v26, v34
	s_delay_alu instid0(VALU_DEP_1) | instskip(SKIP_1) | instid1(VALU_DEP_2)
	v_sub_f32_e32 v33, v33, v34
	v_add_f32_e32 v31, v26, v29
	v_add_f32_e32 v30, v33, v25
	s_delay_alu instid0(VALU_DEP_2) | instskip(NEXT) | instid1(VALU_DEP_1)
	v_sub_f32_e32 v32, v31, v26
	v_sub_f32_e32 v35, v31, v32
	s_delay_alu instid0(VALU_DEP_1) | instskip(NEXT) | instid1(VALU_DEP_1)
	v_dual_sub_f32 v29, v29, v32 :: v_dual_sub_f32 v26, v26, v35
	v_dual_add_f32 v26, v29, v26 :: v_dual_sub_f32 v29, v30, v33
	s_delay_alu instid0(VALU_DEP_1) | instskip(NEXT) | instid1(VALU_DEP_2)
	v_add_f32_e32 v26, v30, v26
	v_sub_f32_e32 v30, v30, v29
	s_delay_alu instid0(VALU_DEP_2) | instskip(NEXT) | instid1(VALU_DEP_1)
	v_dual_sub_f32 v25, v25, v29 :: v_dual_add_f32 v32, v31, v26
	v_dual_sub_f32 v29, v33, v30 :: v_dual_sub_f32 v30, v32, v31
	s_delay_alu instid0(VALU_DEP_1) | instskip(NEXT) | instid1(VALU_DEP_1)
	v_dual_add_f32 v25, v25, v29 :: v_dual_sub_f32 v26, v26, v30
	v_add_f32_e32 v25, v25, v26
	s_delay_alu instid0(VALU_DEP_1) | instskip(NEXT) | instid1(VALU_DEP_1)
	v_add_f32_e32 v26, v32, v25
	v_dual_sub_f32 v29, v26, v32 :: v_dual_mul_f32 v30, v27, v26
	s_delay_alu instid0(VALU_DEP_1) | instskip(NEXT) | instid1(VALU_DEP_2)
	v_sub_f32_e32 v25, v25, v29
	v_fma_f32 v26, v27, v26, -v30
	v_cmp_class_f32_e64 s3, v30, 0x204
	s_delay_alu instid0(VALU_DEP_2) | instskip(NEXT) | instid1(VALU_DEP_1)
	v_fmac_f32_e32 v26, v27, v25
	v_add_f32_e32 v25, v30, v26
	s_wait_alu 0xf1ff
	s_delay_alu instid0(VALU_DEP_1) | instskip(NEXT) | instid1(VALU_DEP_1)
	v_cndmask_b32_e64 v29, v25, v30, s3
	v_cmp_eq_f32_e64 s3, 0x42b17218, v29
	s_wait_alu 0xf1ff
	s_delay_alu instid0(VALU_DEP_1) | instskip(SKIP_1) | instid1(VALU_DEP_2)
	v_cndmask_b32_e64 v31, 0, 0x37000000, s3
	v_cmp_neq_f32_e64 s3, 0x7f800000, |v29|
	v_sub_f32_e32 v32, v29, v31
	v_sub_f32_e32 v25, v25, v30
	v_trunc_f32_e32 v29, v27
	s_delay_alu instid0(VALU_DEP_3) | instskip(NEXT) | instid1(VALU_DEP_3)
	v_mul_f32_e32 v33, 0x3fb8aa3b, v32
	v_sub_f32_e32 v25, v26, v25
	s_delay_alu instid0(VALU_DEP_2) | instskip(SKIP_2) | instid1(VALU_DEP_3)
	v_fma_f32 v34, 0x3fb8aa3b, v32, -v33
	v_rndne_f32_e32 v35, v33
	s_wait_alu 0xf1ff
	v_cndmask_b32_e64 v25, 0, v25, s3
	v_cmp_ngt_f32_e64 s3, 0xc2ce8ed0, v32
	s_delay_alu instid0(VALU_DEP_3) | instskip(SKIP_1) | instid1(VALU_DEP_4)
	v_dual_fmac_f32 v34, 0x32a5705f, v32 :: v_dual_sub_f32 v33, v33, v35
	v_cvt_i32_f32_e32 v30, v35
	v_add_f32_e32 v25, v31, v25
	s_delay_alu instid0(VALU_DEP_3) | instskip(NEXT) | instid1(VALU_DEP_1)
	v_add_f32_e32 v33, v33, v34
	v_exp_f32_e32 v33, v33
	s_delay_alu instid0(TRANS32_DEP_1) | instskip(SKIP_2) | instid1(VALU_DEP_2)
	v_ldexp_f32 v26, v33, v30
	v_mul_f32_e32 v30, 0.5, v27
	s_wait_alu 0xf1ff
	v_cndmask_b32_e64 v26, 0, v26, s3
	v_cmp_nlt_f32_e64 s3, 0x42b17218, v32
	s_delay_alu instid0(VALU_DEP_3) | instskip(SKIP_1) | instid1(VALU_DEP_2)
	v_trunc_f32_e32 v33, v30
	s_wait_alu 0xf1ff
	v_cndmask_b32_e64 v26, 0x7f800000, v26, s3
	v_cmp_eq_f32_e64 s3, v29, v27
	s_delay_alu instid0(VALU_DEP_3) | instskip(NEXT) | instid1(VALU_DEP_3)
	v_cmp_neq_f32_e64 s4, v33, v30
	v_fma_f32 v25, v26, v25, v26
	v_cmp_class_f32_e64 s5, v26, 0x204
	s_and_b32 s4, s3, s4
	s_wait_alu 0xfffe
	v_cndmask_b32_e64 v29, 1.0, v28, s4
	v_cndmask_b32_e64 v31, 0, v28, s4
	v_cndmask_b32_e64 v25, v25, v26, s5
	;; [unrolled: 1-line block ×3, first 2 shown]
	v_cmp_gt_f32_e64 s5, 0, v27
	v_cmp_class_f32_e64 s4, v28, 0x204
	s_delay_alu instid0(VALU_DEP_4) | instskip(SKIP_3) | instid1(VALU_DEP_2)
	v_bfi_b32 v25, 0x7fffffff, v25, v29
	s_xor_b32 s5, s5, s6
	s_wait_alu 0xfffe
	v_cndmask_b32_e64 v29, 0x7f800000, 0, s5
	v_cndmask_b32_e64 v30, 0x7fc00000, v25, s3
	v_cmp_neq_f32_e64 s3, |v28|, 1.0
	s_delay_alu instid0(VALU_DEP_3) | instskip(SKIP_1) | instid1(VALU_DEP_2)
	v_bfi_b32 v29, 0x7fffffff, v29, v31
	s_wait_alu 0xf1ff
	v_cndmask_b32_e64 v26, 1.0, v26, s3
	v_cmp_gt_f32_e64 s3, 0, v28
	s_wait_alu 0xf1ff
	s_delay_alu instid0(VALU_DEP_1) | instskip(SKIP_2) | instid1(VALU_DEP_1)
	v_cndmask_b32_e64 v25, v25, v30, s3
	v_cmp_class_f32_e64 s3, v27, 0x204
	s_wait_alu 0xf1ff
	v_cndmask_b32_e64 v25, v25, v26, s3
	s_or_b32 s3, s6, s4
	s_wait_alu 0xfffe
	s_delay_alu instid0(VALU_DEP_1) | instskip(SKIP_2) | instid1(VALU_DEP_1)
	v_cndmask_b32_e64 v25, v25, v29, s3
	v_cmp_o_f32_e64 s3, v28, v27
	s_wait_alu 0xf1ff
	v_cndmask_b32_e64 v27, 0x7fc00000, v25, s3
	v_add_co_u32 v25, s3, v21, s8
	s_wait_alu 0xf1ff
	v_add_co_ci_u32_e64 v26, null, s9, v22, s3
	global_store_b32 v[25:26], v27, off
	s_or_b32 exec_lo, exec_lo, s21
	s_and_saveexec_b32 s6, s2
	s_cbranch_execz .LBB67_14
.LBB67_18:                              ;   in Loop: Header=BB67_4 Depth=1
	s_wait_loadcnt 0x0
	v_cmp_neq_f32_e64 s2, 1.0, v24
	s_wait_alu 0xf1ff
	s_delay_alu instid0(VALU_DEP_1) | instskip(NEXT) | instid1(VALU_DEP_1)
	v_cndmask_b32_e64 v26, 1.0, s28, s2
	v_cmp_neq_f32_e64 s2, 0, v26
	v_cmp_neq_f32_e64 s21, v26, |v26|
	s_wait_alu 0xf1ff
	s_delay_alu instid0(VALU_DEP_2) | instskip(NEXT) | instid1(VALU_DEP_1)
	v_cndmask_b32_e64 v27, 1.0, v24, s2
	v_frexp_mant_f32_e64 v24, |v27|
	v_cmp_lt_f32_e64 s26, |v27|, 1.0
	v_cmp_eq_f32_e64 s5, 0, v27
	s_delay_alu instid0(VALU_DEP_3) | instskip(SKIP_2) | instid1(VALU_DEP_1)
	v_cmp_gt_f32_e64 s2, 0x3f2aaaab, v24
	s_xor_b32 s21, s21, s26
	v_cndmask_b32_e64 v25, 1.0, 2.0, s2
	v_mul_f32_e32 v24, v24, v25
	s_delay_alu instid0(VALU_DEP_1) | instskip(SKIP_1) | instid1(VALU_DEP_2)
	v_add_f32_e32 v25, 1.0, v24
	v_add_f32_e32 v29, -1.0, v24
	v_add_f32_e32 v31, -1.0, v25
	s_delay_alu instid0(VALU_DEP_1) | instskip(SKIP_1) | instid1(TRANS32_DEP_1)
	v_sub_f32_e32 v24, v24, v31
	v_rcp_f32_e32 v28, v25
	v_mul_f32_e32 v30, v29, v28
	s_delay_alu instid0(VALU_DEP_1) | instskip(NEXT) | instid1(VALU_DEP_1)
	v_mul_f32_e32 v32, v25, v30
	v_fma_f32 v25, v30, v25, -v32
	s_delay_alu instid0(VALU_DEP_1) | instskip(NEXT) | instid1(VALU_DEP_1)
	v_fmac_f32_e32 v25, v30, v24
	v_add_f32_e32 v24, v32, v25
	s_delay_alu instid0(VALU_DEP_1) | instskip(NEXT) | instid1(VALU_DEP_1)
	v_sub_f32_e32 v31, v29, v24
	v_dual_sub_f32 v32, v24, v32 :: v_dual_sub_f32 v29, v29, v31
	s_delay_alu instid0(VALU_DEP_1) | instskip(NEXT) | instid1(VALU_DEP_1)
	v_dual_sub_f32 v25, v32, v25 :: v_dual_sub_f32 v24, v29, v24
	v_add_f32_e32 v24, v25, v24
	s_delay_alu instid0(VALU_DEP_1) | instskip(NEXT) | instid1(VALU_DEP_1)
	v_add_f32_e32 v24, v31, v24
	v_mul_f32_e32 v24, v28, v24
	s_delay_alu instid0(VALU_DEP_1) | instskip(NEXT) | instid1(VALU_DEP_1)
	v_add_f32_e32 v28, v30, v24
	v_sub_f32_e32 v25, v28, v30
	s_delay_alu instid0(VALU_DEP_1) | instskip(NEXT) | instid1(VALU_DEP_1)
	v_sub_f32_e32 v30, v24, v25
	v_dual_mul_f32 v29, v28, v28 :: v_dual_add_f32 v24, v30, v30
	s_delay_alu instid0(VALU_DEP_1) | instskip(NEXT) | instid1(VALU_DEP_1)
	v_fma_f32 v31, v28, v28, -v29
	v_fmac_f32_e32 v31, v28, v24
	v_cvt_f64_f32_e64 v[24:25], |v27|
	s_delay_alu instid0(VALU_DEP_2) | instskip(NEXT) | instid1(VALU_DEP_1)
	v_add_f32_e32 v32, v29, v31
	v_fmaak_f32 v33, s20, v32, 0x3e91f4c4
	v_sub_f32_e32 v29, v32, v29
	s_delay_alu instid0(VALU_DEP_2) | instskip(NEXT) | instid1(VALU_DEP_2)
	v_fmaak_f32 v33, v32, v33, 0x3ecccdef
	v_sub_f32_e32 v29, v31, v29
	s_delay_alu instid0(VALU_DEP_2) | instskip(NEXT) | instid1(VALU_DEP_1)
	v_mul_f32_e32 v34, v32, v33
	v_fma_f32 v31, v32, v33, -v34
	s_delay_alu instid0(VALU_DEP_1) | instskip(NEXT) | instid1(VALU_DEP_1)
	v_dual_fmac_f32 v31, v29, v33 :: v_dual_mul_f32 v36, v28, v32
	v_add_f32_e32 v33, v34, v31
	v_frexp_exp_i32_f64_e32 v24, v[24:25]
	s_delay_alu instid0(VALU_DEP_2) | instskip(NEXT) | instid1(VALU_DEP_1)
	v_sub_f32_e32 v34, v33, v34
	v_sub_f32_e32 v25, v31, v34
	v_fma_f32 v34, v32, v28, -v36
	s_delay_alu instid0(VALU_DEP_1) | instskip(NEXT) | instid1(VALU_DEP_1)
	v_dual_add_f32 v35, 0x3f2aaaaa, v33 :: v_dual_fmac_f32 v34, v32, v30
	v_add_f32_e32 v31, 0xbf2aaaaa, v35
	v_ldexp_f32 v30, v30, 1
	s_delay_alu instid0(VALU_DEP_3) | instskip(NEXT) | instid1(VALU_DEP_3)
	v_dual_fmac_f32 v34, v29, v28 :: v_dual_add_f32 v25, 0x31739010, v25
	v_sub_f32_e32 v31, v33, v31
	s_delay_alu instid0(VALU_DEP_1) | instskip(NEXT) | instid1(VALU_DEP_1)
	v_add_f32_e32 v25, v25, v31
	v_add_f32_e32 v29, v35, v25
	s_delay_alu instid0(VALU_DEP_1) | instskip(SKIP_1) | instid1(VALU_DEP_2)
	v_sub_f32_e32 v32, v35, v29
	v_subrev_co_ci_u32_e64 v24, null, 0, v24, s2
	v_add_f32_e32 v25, v25, v32
	s_delay_alu instid0(VALU_DEP_2) | instskip(SKIP_1) | instid1(VALU_DEP_1)
	v_cvt_f32_i32_e32 v24, v24
	v_add_f32_e32 v31, v36, v34
	v_mul_f32_e32 v33, v31, v29
	v_sub_f32_e32 v35, v31, v36
	s_delay_alu instid0(VALU_DEP_2) | instskip(NEXT) | instid1(VALU_DEP_2)
	v_fma_f32 v32, v31, v29, -v33
	v_sub_f32_e32 v34, v34, v35
	s_delay_alu instid0(VALU_DEP_2) | instskip(SKIP_1) | instid1(VALU_DEP_2)
	v_fmac_f32_e32 v32, v31, v25
	v_ldexp_f32 v25, v28, 1
	v_fmac_f32_e32 v32, v34, v29
	s_delay_alu instid0(VALU_DEP_1) | instskip(NEXT) | instid1(VALU_DEP_1)
	v_add_f32_e32 v28, v33, v32
	v_add_f32_e32 v29, v25, v28
	v_sub_f32_e32 v31, v28, v33
	v_mul_f32_e32 v33, 0x3f317218, v24
	s_delay_alu instid0(VALU_DEP_3) | instskip(NEXT) | instid1(VALU_DEP_3)
	v_sub_f32_e32 v25, v29, v25
	v_sub_f32_e32 v31, v32, v31
	s_delay_alu instid0(VALU_DEP_3) | instskip(NEXT) | instid1(VALU_DEP_2)
	v_fma_f32 v32, 0x3f317218, v24, -v33
	v_dual_sub_f32 v25, v28, v25 :: v_dual_add_f32 v28, v30, v31
	s_delay_alu instid0(VALU_DEP_2) | instskip(NEXT) | instid1(VALU_DEP_2)
	v_fmac_f32_e32 v32, 0xb102e308, v24
	v_add_f32_e32 v24, v28, v25
	s_delay_alu instid0(VALU_DEP_1) | instskip(NEXT) | instid1(VALU_DEP_1)
	v_add_f32_e32 v28, v29, v24
	v_sub_f32_e32 v29, v28, v29
	s_delay_alu instid0(VALU_DEP_1) | instskip(NEXT) | instid1(VALU_DEP_1)
	v_dual_sub_f32 v24, v24, v29 :: v_dual_add_f32 v25, v33, v32
	v_sub_f32_e32 v33, v25, v33
	s_delay_alu instid0(VALU_DEP_1) | instskip(SKIP_1) | instid1(VALU_DEP_2)
	v_sub_f32_e32 v32, v32, v33
	v_add_f32_e32 v30, v25, v28
	v_add_f32_e32 v29, v32, v24
	s_delay_alu instid0(VALU_DEP_2) | instskip(NEXT) | instid1(VALU_DEP_1)
	v_sub_f32_e32 v31, v30, v25
	v_sub_f32_e32 v34, v30, v31
	s_delay_alu instid0(VALU_DEP_1) | instskip(NEXT) | instid1(VALU_DEP_1)
	v_dual_sub_f32 v28, v28, v31 :: v_dual_sub_f32 v25, v25, v34
	v_dual_add_f32 v25, v28, v25 :: v_dual_sub_f32 v28, v29, v32
	s_delay_alu instid0(VALU_DEP_1) | instskip(NEXT) | instid1(VALU_DEP_2)
	v_add_f32_e32 v25, v29, v25
	v_sub_f32_e32 v29, v29, v28
	s_delay_alu instid0(VALU_DEP_2) | instskip(NEXT) | instid1(VALU_DEP_1)
	v_dual_sub_f32 v24, v24, v28 :: v_dual_add_f32 v31, v30, v25
	v_dual_sub_f32 v28, v32, v29 :: v_dual_sub_f32 v29, v31, v30
	s_delay_alu instid0(VALU_DEP_1) | instskip(NEXT) | instid1(VALU_DEP_1)
	v_dual_add_f32 v24, v24, v28 :: v_dual_sub_f32 v25, v25, v29
	v_add_f32_e32 v24, v24, v25
	s_delay_alu instid0(VALU_DEP_1) | instskip(NEXT) | instid1(VALU_DEP_1)
	v_add_f32_e32 v25, v31, v24
	v_dual_sub_f32 v28, v25, v31 :: v_dual_mul_f32 v29, v26, v25
	s_delay_alu instid0(VALU_DEP_1) | instskip(NEXT) | instid1(VALU_DEP_2)
	v_sub_f32_e32 v24, v24, v28
	v_fma_f32 v25, v26, v25, -v29
	v_cmp_class_f32_e64 s2, v29, 0x204
	s_delay_alu instid0(VALU_DEP_2) | instskip(NEXT) | instid1(VALU_DEP_1)
	v_fmac_f32_e32 v25, v26, v24
	v_add_f32_e32 v24, v29, v25
	s_wait_alu 0xf1ff
	s_delay_alu instid0(VALU_DEP_1) | instskip(NEXT) | instid1(VALU_DEP_1)
	v_cndmask_b32_e64 v28, v24, v29, s2
	v_cmp_eq_f32_e64 s2, 0x42b17218, v28
	s_wait_alu 0xf1ff
	s_delay_alu instid0(VALU_DEP_1) | instskip(SKIP_1) | instid1(VALU_DEP_2)
	v_cndmask_b32_e64 v30, 0, 0x37000000, s2
	v_cmp_neq_f32_e64 s2, 0x7f800000, |v28|
	v_sub_f32_e32 v31, v28, v30
	v_sub_f32_e32 v24, v24, v29
	v_trunc_f32_e32 v28, v26
	s_delay_alu instid0(VALU_DEP_3) | instskip(NEXT) | instid1(VALU_DEP_3)
	v_mul_f32_e32 v32, 0x3fb8aa3b, v31
	v_sub_f32_e32 v24, v25, v24
	s_delay_alu instid0(VALU_DEP_2) | instskip(SKIP_2) | instid1(VALU_DEP_3)
	v_fma_f32 v33, 0x3fb8aa3b, v31, -v32
	v_rndne_f32_e32 v34, v32
	s_wait_alu 0xf1ff
	v_cndmask_b32_e64 v24, 0, v24, s2
	v_cmp_ngt_f32_e64 s2, 0xc2ce8ed0, v31
	s_delay_alu instid0(VALU_DEP_3) | instskip(SKIP_1) | instid1(VALU_DEP_4)
	v_dual_fmac_f32 v33, 0x32a5705f, v31 :: v_dual_sub_f32 v32, v32, v34
	v_cvt_i32_f32_e32 v29, v34
	v_add_f32_e32 v24, v30, v24
	s_delay_alu instid0(VALU_DEP_3) | instskip(NEXT) | instid1(VALU_DEP_1)
	v_add_f32_e32 v32, v32, v33
	v_exp_f32_e32 v32, v32
	s_delay_alu instid0(TRANS32_DEP_1) | instskip(SKIP_2) | instid1(VALU_DEP_2)
	v_ldexp_f32 v25, v32, v29
	v_mul_f32_e32 v29, 0.5, v26
	s_wait_alu 0xf1ff
	v_cndmask_b32_e64 v25, 0, v25, s2
	v_cmp_nlt_f32_e64 s2, 0x42b17218, v31
	s_delay_alu instid0(VALU_DEP_3) | instskip(SKIP_1) | instid1(VALU_DEP_2)
	v_trunc_f32_e32 v32, v29
	s_wait_alu 0xf1ff
	v_cndmask_b32_e64 v25, 0x7f800000, v25, s2
	v_cmp_eq_f32_e64 s2, v28, v26
	s_delay_alu instid0(VALU_DEP_3) | instskip(NEXT) | instid1(VALU_DEP_3)
	v_cmp_neq_f32_e64 s3, v32, v29
	v_fma_f32 v24, v25, v24, v25
	v_cmp_class_f32_e64 s4, v25, 0x204
	s_and_b32 s3, s2, s3
	s_wait_alu 0xfffe
	v_cndmask_b32_e64 v28, 1.0, v27, s3
	v_cndmask_b32_e64 v30, 0, v27, s3
	v_cndmask_b32_e64 v24, v24, v25, s4
	;; [unrolled: 1-line block ×3, first 2 shown]
	v_cmp_gt_f32_e64 s4, 0, v26
	v_cmp_class_f32_e64 s3, v27, 0x204
	s_delay_alu instid0(VALU_DEP_4) | instskip(SKIP_3) | instid1(VALU_DEP_2)
	v_bfi_b32 v24, 0x7fffffff, v24, v28
	s_xor_b32 s4, s4, s5
	s_wait_alu 0xfffe
	v_cndmask_b32_e64 v28, 0x7f800000, 0, s4
	v_cndmask_b32_e64 v29, 0x7fc00000, v24, s2
	v_cmp_neq_f32_e64 s2, |v27|, 1.0
	s_delay_alu instid0(VALU_DEP_3) | instskip(SKIP_1) | instid1(VALU_DEP_2)
	v_bfi_b32 v28, 0x7fffffff, v28, v30
	s_wait_alu 0xf1ff
	v_cndmask_b32_e64 v25, 1.0, v25, s2
	v_cmp_gt_f32_e64 s2, 0, v27
	s_wait_alu 0xf1ff
	s_delay_alu instid0(VALU_DEP_1) | instskip(SKIP_2) | instid1(VALU_DEP_1)
	v_cndmask_b32_e64 v24, v24, v29, s2
	v_cmp_class_f32_e64 s2, v26, 0x204
	s_wait_alu 0xf1ff
	v_cndmask_b32_e64 v24, v24, v25, s2
	s_or_b32 s2, s5, s3
	s_wait_alu 0xfffe
	s_delay_alu instid0(VALU_DEP_1) | instskip(SKIP_2) | instid1(VALU_DEP_1)
	v_cndmask_b32_e64 v24, v24, v28, s2
	v_cmp_o_f32_e64 s2, v27, v26
	s_wait_alu 0xf1ff
	v_cndmask_b32_e64 v26, 0x7fc00000, v24, s2
	v_add_co_u32 v24, s2, v14, s8
	s_wait_alu 0xf1ff
	v_add_co_ci_u32_e64 v25, null, s9, v15, s2
	global_store_b32 v[24:25], v26, off
	s_or_b32 exec_lo, exec_lo, s6
	s_and_saveexec_b32 s5, vcc_lo
	s_cbranch_execz .LBB67_3
.LBB67_19:                              ;   in Loop: Header=BB67_4 Depth=1
	s_wait_loadcnt 0x0
	v_cmp_neq_f32_e32 vcc_lo, 1.0, v23
	s_wait_alu 0xfffd
	v_cndmask_b32_e64 v25, 1.0, s28, vcc_lo
	s_delay_alu instid0(VALU_DEP_1) | instskip(SKIP_3) | instid1(VALU_DEP_1)
	v_cmp_neq_f32_e32 vcc_lo, 0, v25
	v_cmp_neq_f32_e64 s6, v25, |v25|
	s_wait_alu 0xfffd
	v_cndmask_b32_e32 v26, 1.0, v23, vcc_lo
	v_frexp_mant_f32_e64 v23, |v26|
	s_delay_alu instid0(VALU_DEP_1) | instskip(SKIP_2) | instid1(VALU_DEP_1)
	v_cmp_gt_f32_e32 vcc_lo, 0x3f2aaaab, v23
	s_wait_alu 0xfffd
	v_cndmask_b32_e64 v24, 1.0, 2.0, vcc_lo
	v_mul_f32_e32 v23, v23, v24
	v_cmp_lt_f32_e64 s21, |v26|, 1.0
	v_cmp_eq_f32_e64 s4, 0, v26
	s_delay_alu instid0(VALU_DEP_3) | instskip(SKIP_2) | instid1(VALU_DEP_2)
	v_add_f32_e32 v24, 1.0, v23
	v_add_f32_e32 v28, -1.0, v23
	s_xor_b32 s6, s6, s21
	v_add_f32_e32 v30, -1.0, v24
	s_delay_alu instid0(VALU_DEP_1) | instskip(SKIP_1) | instid1(TRANS32_DEP_1)
	v_sub_f32_e32 v23, v23, v30
	v_rcp_f32_e32 v27, v24
	v_mul_f32_e32 v29, v28, v27
	s_delay_alu instid0(VALU_DEP_1) | instskip(NEXT) | instid1(VALU_DEP_1)
	v_mul_f32_e32 v31, v24, v29
	v_fma_f32 v24, v29, v24, -v31
	s_delay_alu instid0(VALU_DEP_1) | instskip(NEXT) | instid1(VALU_DEP_1)
	v_fmac_f32_e32 v24, v29, v23
	v_add_f32_e32 v23, v31, v24
	s_delay_alu instid0(VALU_DEP_1) | instskip(NEXT) | instid1(VALU_DEP_1)
	v_sub_f32_e32 v30, v28, v23
	v_dual_sub_f32 v28, v28, v30 :: v_dual_sub_f32 v31, v23, v31
	s_delay_alu instid0(VALU_DEP_1) | instskip(NEXT) | instid1(VALU_DEP_1)
	v_dual_sub_f32 v23, v28, v23 :: v_dual_sub_f32 v24, v31, v24
	v_add_f32_e32 v23, v24, v23
	s_delay_alu instid0(VALU_DEP_1) | instskip(NEXT) | instid1(VALU_DEP_1)
	v_add_f32_e32 v23, v30, v23
	v_mul_f32_e32 v23, v27, v23
	s_delay_alu instid0(VALU_DEP_1) | instskip(NEXT) | instid1(VALU_DEP_1)
	v_add_f32_e32 v27, v29, v23
	v_sub_f32_e32 v24, v27, v29
	s_delay_alu instid0(VALU_DEP_1) | instskip(NEXT) | instid1(VALU_DEP_1)
	v_sub_f32_e32 v29, v23, v24
	v_dual_mul_f32 v28, v27, v27 :: v_dual_add_f32 v23, v29, v29
	s_delay_alu instid0(VALU_DEP_1) | instskip(NEXT) | instid1(VALU_DEP_1)
	v_fma_f32 v30, v27, v27, -v28
	v_fmac_f32_e32 v30, v27, v23
	v_cvt_f64_f32_e64 v[23:24], |v26|
	s_delay_alu instid0(VALU_DEP_2) | instskip(NEXT) | instid1(VALU_DEP_1)
	v_add_f32_e32 v31, v28, v30
	v_fmaak_f32 v32, s20, v31, 0x3e91f4c4
	v_sub_f32_e32 v28, v31, v28
	s_delay_alu instid0(VALU_DEP_2) | instskip(NEXT) | instid1(VALU_DEP_2)
	v_fmaak_f32 v32, v31, v32, 0x3ecccdef
	v_sub_f32_e32 v28, v30, v28
	s_delay_alu instid0(VALU_DEP_2) | instskip(NEXT) | instid1(VALU_DEP_1)
	v_mul_f32_e32 v33, v31, v32
	v_fma_f32 v30, v31, v32, -v33
	s_delay_alu instid0(VALU_DEP_1) | instskip(NEXT) | instid1(VALU_DEP_1)
	v_dual_fmac_f32 v30, v28, v32 :: v_dual_mul_f32 v35, v27, v31
	v_add_f32_e32 v32, v33, v30
	v_frexp_exp_i32_f64_e32 v23, v[23:24]
	s_delay_alu instid0(VALU_DEP_2) | instskip(NEXT) | instid1(VALU_DEP_1)
	v_sub_f32_e32 v33, v32, v33
	v_sub_f32_e32 v24, v30, v33
	v_fma_f32 v33, v31, v27, -v35
	s_delay_alu instid0(VALU_DEP_1) | instskip(SKIP_2) | instid1(VALU_DEP_2)
	v_dual_add_f32 v24, 0x31739010, v24 :: v_dual_fmac_f32 v33, v31, v29
	v_add_f32_e32 v34, 0x3f2aaaaa, v32
	v_ldexp_f32 v29, v29, 1
	v_dual_fmac_f32 v33, v28, v27 :: v_dual_add_f32 v30, 0xbf2aaaaa, v34
	s_delay_alu instid0(VALU_DEP_1) | instskip(NEXT) | instid1(VALU_DEP_1)
	v_sub_f32_e32 v30, v32, v30
	v_add_f32_e32 v24, v24, v30
	s_delay_alu instid0(VALU_DEP_1) | instskip(SKIP_1) | instid1(VALU_DEP_2)
	v_add_f32_e32 v28, v34, v24
	v_subrev_co_ci_u32_e64 v23, null, 0, v23, vcc_lo
	v_sub_f32_e32 v31, v34, v28
	s_delay_alu instid0(VALU_DEP_2) | instskip(SKIP_1) | instid1(VALU_DEP_3)
	v_cvt_f32_i32_e32 v23, v23
	v_add_f32_e32 v30, v35, v33
	v_add_f32_e32 v24, v24, v31
	s_delay_alu instid0(VALU_DEP_2) | instskip(SKIP_1) | instid1(VALU_DEP_2)
	v_mul_f32_e32 v32, v30, v28
	v_sub_f32_e32 v34, v30, v35
	v_fma_f32 v31, v30, v28, -v32
	s_delay_alu instid0(VALU_DEP_2) | instskip(NEXT) | instid1(VALU_DEP_2)
	v_sub_f32_e32 v33, v33, v34
	v_fmac_f32_e32 v31, v30, v24
	v_ldexp_f32 v24, v27, 1
	s_delay_alu instid0(VALU_DEP_2) | instskip(NEXT) | instid1(VALU_DEP_1)
	v_fmac_f32_e32 v31, v33, v28
	v_add_f32_e32 v27, v32, v31
	s_delay_alu instid0(VALU_DEP_1) | instskip(SKIP_2) | instid1(VALU_DEP_3)
	v_add_f32_e32 v28, v24, v27
	v_sub_f32_e32 v30, v27, v32
	v_mul_f32_e32 v32, 0x3f317218, v23
	v_sub_f32_e32 v24, v28, v24
	s_delay_alu instid0(VALU_DEP_3) | instskip(NEXT) | instid1(VALU_DEP_3)
	v_sub_f32_e32 v30, v31, v30
	v_fma_f32 v31, 0x3f317218, v23, -v32
	s_delay_alu instid0(VALU_DEP_2) | instskip(NEXT) | instid1(VALU_DEP_2)
	v_dual_sub_f32 v24, v27, v24 :: v_dual_add_f32 v27, v29, v30
	v_fmac_f32_e32 v31, 0xb102e308, v23
	s_delay_alu instid0(VALU_DEP_2) | instskip(NEXT) | instid1(VALU_DEP_1)
	v_add_f32_e32 v23, v27, v24
	v_add_f32_e32 v27, v28, v23
	s_delay_alu instid0(VALU_DEP_1) | instskip(NEXT) | instid1(VALU_DEP_1)
	v_sub_f32_e32 v28, v27, v28
	v_dual_sub_f32 v23, v23, v28 :: v_dual_add_f32 v24, v32, v31
	s_delay_alu instid0(VALU_DEP_1) | instskip(NEXT) | instid1(VALU_DEP_1)
	v_sub_f32_e32 v32, v24, v32
	v_sub_f32_e32 v31, v31, v32
	v_add_f32_e32 v29, v24, v27
	s_delay_alu instid0(VALU_DEP_2) | instskip(NEXT) | instid1(VALU_DEP_2)
	v_add_f32_e32 v28, v31, v23
	v_sub_f32_e32 v30, v29, v24
	s_delay_alu instid0(VALU_DEP_1) | instskip(NEXT) | instid1(VALU_DEP_1)
	v_sub_f32_e32 v33, v29, v30
	v_dual_sub_f32 v27, v27, v30 :: v_dual_sub_f32 v24, v24, v33
	s_delay_alu instid0(VALU_DEP_1) | instskip(NEXT) | instid1(VALU_DEP_1)
	v_dual_add_f32 v24, v27, v24 :: v_dual_sub_f32 v27, v28, v31
	v_add_f32_e32 v24, v28, v24
	s_delay_alu instid0(VALU_DEP_2) | instskip(NEXT) | instid1(VALU_DEP_2)
	v_sub_f32_e32 v28, v28, v27
	v_dual_sub_f32 v23, v23, v27 :: v_dual_add_f32 v30, v29, v24
	s_delay_alu instid0(VALU_DEP_1) | instskip(NEXT) | instid1(VALU_DEP_1)
	v_dual_sub_f32 v27, v31, v28 :: v_dual_sub_f32 v28, v30, v29
	v_dual_add_f32 v23, v23, v27 :: v_dual_sub_f32 v24, v24, v28
	s_delay_alu instid0(VALU_DEP_1) | instskip(NEXT) | instid1(VALU_DEP_1)
	v_add_f32_e32 v23, v23, v24
	v_add_f32_e32 v24, v30, v23
	s_delay_alu instid0(VALU_DEP_1) | instskip(NEXT) | instid1(VALU_DEP_1)
	v_dual_sub_f32 v27, v24, v30 :: v_dual_mul_f32 v28, v25, v24
	v_sub_f32_e32 v23, v23, v27
	s_delay_alu instid0(VALU_DEP_2) | instskip(SKIP_1) | instid1(VALU_DEP_2)
	v_fma_f32 v24, v25, v24, -v28
	v_cmp_class_f32_e64 vcc_lo, v28, 0x204
	v_fmac_f32_e32 v24, v25, v23
	s_delay_alu instid0(VALU_DEP_1) | instskip(SKIP_1) | instid1(VALU_DEP_1)
	v_add_f32_e32 v23, v28, v24
	s_wait_alu 0xfffd
	v_cndmask_b32_e32 v27, v23, v28, vcc_lo
	s_delay_alu instid0(VALU_DEP_1) | instskip(SKIP_3) | instid1(VALU_DEP_2)
	v_cmp_eq_f32_e32 vcc_lo, 0x42b17218, v27
	s_wait_alu 0xfffd
	v_cndmask_b32_e64 v29, 0, 0x37000000, vcc_lo
	v_cmp_neq_f32_e64 vcc_lo, 0x7f800000, |v27|
	v_sub_f32_e32 v30, v27, v29
	v_sub_f32_e32 v23, v23, v28
	v_trunc_f32_e32 v27, v25
	s_delay_alu instid0(VALU_DEP_3) | instskip(NEXT) | instid1(VALU_DEP_3)
	v_mul_f32_e32 v31, 0x3fb8aa3b, v30
	v_sub_f32_e32 v23, v24, v23
	s_delay_alu instid0(VALU_DEP_2) | instskip(SKIP_2) | instid1(VALU_DEP_3)
	v_fma_f32 v32, 0x3fb8aa3b, v30, -v31
	v_rndne_f32_e32 v33, v31
	s_wait_alu 0xfffd
	v_cndmask_b32_e32 v23, 0, v23, vcc_lo
	v_cmp_ngt_f32_e32 vcc_lo, 0xc2ce8ed0, v30
	s_delay_alu instid0(VALU_DEP_3) | instskip(SKIP_1) | instid1(VALU_DEP_4)
	v_dual_fmac_f32 v32, 0x32a5705f, v30 :: v_dual_sub_f32 v31, v31, v33
	v_cvt_i32_f32_e32 v28, v33
	v_add_f32_e32 v23, v29, v23
	s_delay_alu instid0(VALU_DEP_3) | instskip(NEXT) | instid1(VALU_DEP_1)
	v_add_f32_e32 v31, v31, v32
	v_exp_f32_e32 v31, v31
	s_delay_alu instid0(TRANS32_DEP_1) | instskip(SKIP_2) | instid1(VALU_DEP_2)
	v_ldexp_f32 v24, v31, v28
	v_mul_f32_e32 v28, 0.5, v25
	s_wait_alu 0xfffd
	v_cndmask_b32_e32 v24, 0, v24, vcc_lo
	v_cmp_nlt_f32_e32 vcc_lo, 0x42b17218, v30
	s_delay_alu instid0(VALU_DEP_3) | instskip(SKIP_1) | instid1(VALU_DEP_3)
	v_trunc_f32_e32 v31, v28
	s_wait_alu 0xfffd
	v_cndmask_b32_e32 v24, 0x7f800000, v24, vcc_lo
	v_cmp_eq_f32_e32 vcc_lo, v27, v25
	s_delay_alu instid0(VALU_DEP_3) | instskip(NEXT) | instid1(VALU_DEP_3)
	v_cmp_neq_f32_e64 s2, v31, v28
	v_fma_f32 v23, v24, v23, v24
	v_cmp_class_f32_e64 s3, v24, 0x204
	s_and_b32 s2, vcc_lo, s2
	s_wait_alu 0xfffe
	v_cndmask_b32_e64 v27, 1.0, v26, s2
	v_cndmask_b32_e64 v29, 0, v26, s2
	v_cndmask_b32_e64 v23, v23, v24, s3
	;; [unrolled: 1-line block ×3, first 2 shown]
	v_cmp_gt_f32_e64 s3, 0, v25
	v_cmp_class_f32_e64 s2, v26, 0x204
	s_delay_alu instid0(VALU_DEP_4) | instskip(SKIP_3) | instid1(VALU_DEP_2)
	v_bfi_b32 v23, 0x7fffffff, v23, v27
	s_xor_b32 s3, s3, s4
	s_wait_alu 0xfffe
	v_cndmask_b32_e64 v27, 0x7f800000, 0, s3
	v_cndmask_b32_e32 v28, 0x7fc00000, v23, vcc_lo
	v_cmp_neq_f32_e64 vcc_lo, |v26|, 1.0
	s_delay_alu instid0(VALU_DEP_3)
	v_bfi_b32 v27, 0x7fffffff, v27, v29
	s_wait_alu 0xfffd
	v_cndmask_b32_e32 v24, 1.0, v24, vcc_lo
	v_cmp_gt_f32_e32 vcc_lo, 0, v26
	s_wait_alu 0xfffd
	v_cndmask_b32_e32 v23, v23, v28, vcc_lo
	v_cmp_class_f32_e64 vcc_lo, v25, 0x204
	s_wait_alu 0xfffd
	s_delay_alu instid0(VALU_DEP_2) | instskip(SKIP_2) | instid1(VALU_DEP_1)
	v_cndmask_b32_e32 v23, v23, v24, vcc_lo
	s_or_b32 vcc_lo, s4, s2
	s_wait_alu 0xfffe
	v_cndmask_b32_e32 v23, v23, v27, vcc_lo
	v_cmp_o_f32_e32 vcc_lo, v26, v25
	s_wait_alu 0xfffd
	s_delay_alu instid0(VALU_DEP_2)
	v_cndmask_b32_e32 v25, 0x7fc00000, v23, vcc_lo
	v_add_co_u32 v23, vcc_lo, v7, s8
	s_wait_alu 0xfffd
	v_add_co_ci_u32_e64 v24, null, s9, v8, vcc_lo
	global_store_b32 v[23:24], v25, off
	s_branch .LBB67_3
.LBB67_20:
	s_mov_b32 s2, 0
.LBB67_21:
	s_wait_alu 0xfffe
	s_and_not1_b32 vcc_lo, exec_lo, s2
	s_wait_alu 0xfffe
	s_cbranch_vccnz .LBB67_25
; %bb.22:
	v_cmp_gt_i64_e64 s2, 0x10000, s[10:11]
	v_dual_mov_b32 v2, 0 :: v_dual_lshlrev_b32 v1, 2, v0
	s_mov_b32 s29, 0
	s_and_b32 s2, s2, exec_lo
	s_cselect_b32 s27, s11, 0
	s_cselect_b32 s26, s10, 0x10000
	s_mov_b32 s2, exec_lo
	s_wait_alu 0xfffe
	v_cmpx_gt_i64_e64 s[26:27], v[1:2]
	s_cbranch_execz .LBB67_25
; %bb.23:
	s_load_b32 s0, s[0:1], 0xc5c
	v_lshlrev_b32_e32 v3, 4, v0
	v_mov_b32_e32 v1, v2
	s_mov_b32 s33, 0x3e76c4e1
	s_delay_alu instid0(VALU_DEP_2) | instskip(NEXT) | instid1(VALU_DEP_1)
	v_add_co_u32 v8, s1, s8, v3
	v_add_co_ci_u32_e64 v9, null, s9, 0, s1
	s_wait_kmcnt 0x0
	s_and_b32 s30, s0, 0xffff
	s_delay_alu instid0(SALU_CYCLE_1)
	s_lshl_b32 s31, s30, 4
.LBB67_24:                              ; =>This Inner Loop Header: Depth=1
	v_add_co_u32 v2, vcc_lo, s22, v8
	s_wait_alu 0xfffd
	v_add_co_ci_u32_e64 v3, null, s23, v9, vcc_lo
	v_add_co_u32 v0, vcc_lo, v0, s30
	s_wait_alu 0xfffd
	v_add_co_ci_u32_e64 v1, null, 0, v1, vcc_lo
	global_load_b128 v[2:5], v[2:3], off
	v_add_co_u32 v6, vcc_lo, s24, v8
	v_lshlrev_b64_e32 v[10:11], 2, v[0:1]
	s_wait_alu 0xfffd
	v_add_co_ci_u32_e64 v7, null, s25, v9, vcc_lo
	v_add_co_u32 v8, vcc_lo, v8, s31
	s_wait_alu 0xfffd
	v_add_co_ci_u32_e64 v9, null, 0, v9, vcc_lo
	v_cmp_le_i64_e64 s0, s[26:27], v[10:11]
	s_wait_loadcnt 0x0
	v_cmp_neq_f32_e64 s1, 1.0, v2
	s_wait_alu 0xf1ff
	s_delay_alu instid0(VALU_DEP_1) | instskip(SKIP_1) | instid1(VALU_DEP_2)
	v_cndmask_b32_e64 v10, 1.0, s28, s1
	v_cmp_neq_f32_e64 s1, 1.0, v3
	v_cmp_neq_f32_e64 s15, v10, |v10|
	s_wait_alu 0xf1ff
	s_delay_alu instid0(VALU_DEP_2) | instskip(SKIP_3) | instid1(VALU_DEP_4)
	v_cndmask_b32_e64 v11, 1.0, s28, s1
	v_cmp_neq_f32_e64 s1, 1.0, v4
	v_cmp_gt_f32_e64 s9, 0, v10
	v_trunc_f32_e32 v14, v10
	v_cmp_gt_f32_e64 s10, 0, v11
	s_wait_alu 0xf1ff
	v_cndmask_b32_e64 v12, 1.0, s28, s1
	v_cmp_neq_f32_e64 s1, 1.0, v5
	v_trunc_f32_e32 v16, v11
	v_cmp_eq_f32_e64 s4, v14, v10
	v_cmp_neq_f32_e64 s17, v11, |v11|
	v_trunc_f32_e32 v18, v12
	s_wait_alu 0xf1ff
	v_cndmask_b32_e64 v13, 1.0, s28, s1
	v_cmp_neq_f32_e64 s1, 0, v10
	v_cmp_eq_f32_e64 s6, v16, v11
	v_cmp_gt_f32_e64 s11, 0, v12
	v_cmp_eq_f32_e64 s7, v18, v12
	v_trunc_f32_e32 v20, v13
	s_wait_alu 0xf1ff
	v_cndmask_b32_e64 v2, 1.0, v2, s1
	v_cmp_neq_f32_e64 s1, 0, v11
	v_cmp_neq_f32_e64 s19, v12, |v12|
	v_cmp_gt_f32_e64 s12, 0, v13
	v_cmp_eq_f32_e64 s8, v20, v13
	v_frexp_mant_f32_e64 v22, |v2|
	s_wait_alu 0xf1ff
	v_cndmask_b32_e64 v3, 1.0, v3, s1
	v_cmp_neq_f32_e64 s1, 0, v12
	v_cmp_lt_f32_e64 s16, |v2|, 1.0
	v_cvt_f64_f32_e64 v[26:27], |v2|
	v_cmp_gt_f32_e64 s13, 0x3f2aaaab, v22
	v_cmp_eq_f32_e64 s2, 0, v3
	s_wait_alu 0xf1ff
	v_cndmask_b32_e64 v4, 1.0, v4, s1
	v_cmp_neq_f32_e64 s1, 0, v13
	v_frexp_mant_f32_e64 v23, |v3|
	v_cndmask_b32_e64 v34, 1.0, 2.0, s13
	v_mul_f32_e32 v17, 0.5, v11
	v_frexp_mant_f32_e64 v24, |v4|
	s_xor_b32 s10, s10, s2
	v_cndmask_b32_e64 v5, 1.0, v5, s1
	s_wait_alu 0xfffe
	v_cndmask_b32_e64 v36, 0x7f800000, 0, s10
	v_mul_f32_e32 v34, v22, v34
	v_trunc_f32_e32 v16, v17
	v_cmp_gt_f32_e64 s10, 0x3f2aaaab, v24
	v_cmp_eq_f32_e64 s1, 0, v2
	s_xor_b32 s15, s15, s16
	v_dual_mul_f32 v19, 0.5, v12 :: v_dual_add_f32 v44, 1.0, v34
	v_cmp_neq_f32_e64 s16, v16, v17
	v_cndmask_b32_e64 v17, 1.0, 2.0, s10
	v_mul_f32_e32 v15, 0.5, v10
	s_xor_b32 s9, s9, s1
	v_cvt_f64_f32_e64 v[28:29], |v3|
	s_wait_alu 0xfffe
	v_cndmask_b32_e64 v35, 0x7f800000, 0, s9
	v_cmp_gt_f32_e64 s9, 0x3f2aaaab, v23
	v_mul_f32_e32 v40, v24, v17
	v_trunc_f32_e32 v14, v15
	v_cvt_f64_f32_e64 v[32:33], |v5|
	v_cmp_eq_f32_e64 s3, 0, v4
	v_cmp_lt_f32_e64 s18, |v3|, 1.0
	v_add_f32_e32 v48, 1.0, v40
	v_cmp_neq_f32_e64 s14, v14, v15
	s_wait_alu 0xf1ff
	v_cndmask_b32_e64 v15, 1.0, 2.0, s9
	v_trunc_f32_e32 v18, v19
	v_frexp_mant_f32_e64 v25, |v5|
	v_cmp_lt_f32_e64 s20, |v4|, 1.0
	s_xor_b32 s11, s11, s3
	v_mul_f32_e32 v39, v23, v15
	v_mul_f32_e32 v21, 0.5, v13
	s_xor_b32 s17, s17, s18
	v_cmp_neq_f32_e64 s18, v18, v19
	s_wait_alu 0xfffe
	v_cndmask_b32_e64 v19, 0x7f800000, 0, s11
	v_add_f32_e32 v46, 1.0, v39
	v_trunc_f32_e32 v20, v21
	v_cmp_gt_f32_e64 s11, 0x3f2aaaab, v25
	v_cmp_eq_f32_e64 s5, 0, v5
	v_cvt_f64_f32_e64 v[30:31], |v4|
	v_cmp_neq_f32_e64 s21, v13, |v13|
	v_cmp_lt_f32_e64 s38, |v5|, 1.0
	v_cndmask_b32_e64 v14, 0x7f800000, 0, s15
	v_cmp_neq_f32_e64 s15, |v2|, 1.0
	s_xor_b32 s19, s19, s20
	v_cmp_neq_f32_e64 s20, v20, v21
	v_cndmask_b32_e64 v16, 0x7f800000, 0, s17
	v_cmp_neq_f32_e64 s17, |v3|, 1.0
	s_wait_alu 0xfffe
	v_cndmask_b32_e64 v18, 0x7f800000, 0, s19
	v_cmp_neq_f32_e64 s19, |v4|, 1.0
	v_cndmask_b32_e64 v37, 1.0, 2.0, s11
	s_xor_b32 s12, s12, s5
	s_xor_b32 s21, s21, s38
	s_wait_alu 0xfffe
	v_cndmask_b32_e64 v38, 0x7f800000, 0, s12
	s_and_b32 s12, s4, s14
	v_cndmask_b32_e64 v14, 1.0, v14, s15
	s_and_b32 s14, s6, s16
	s_and_b32 s15, s7, s18
	;; [unrolled: 1-line block ×3, first 2 shown]
	v_cndmask_b32_e64 v20, 0x7f800000, 0, s21
	v_cmp_neq_f32_e64 s21, |v5|, 1.0
	v_cndmask_b32_e64 v15, 1.0, v16, s17
	v_cndmask_b32_e64 v16, 1.0, v18, s19
	v_mul_f32_e32 v37, v25, v37
	s_wait_alu 0xfffe
	v_cndmask_b32_e64 v18, 0, v2, s12
	v_cndmask_b32_e64 v41, 0, v4, s15
	;; [unrolled: 1-line block ×3, first 2 shown]
	v_rcp_f32_e32 v51, v48
	s_wait_alu 0xf1ff
	v_cndmask_b32_e64 v17, 1.0, v20, s21
	v_cndmask_b32_e64 v21, 0, v3, s14
	v_add_f32_e32 v45, -1.0, v39
	v_bfi_b32 v20, 0x7fffffff, v35, v18
	v_bfi_b32 v19, 0x7fffffff, v19, v41
	;; [unrolled: 1-line block ×3, first 2 shown]
	v_add_f32_e32 v38, -1.0, v46
	v_dual_add_f32 v43, -1.0, v34 :: v_dual_add_f32 v50, 1.0, v37
	v_rcp_f32_e32 v41, v46
	v_add_f32_e32 v42, -1.0, v48
	v_add_f32_e32 v35, -1.0, v44
	;; [unrolled: 1-line block ×4, first 2 shown]
	v_bfi_b32 v21, 0x7fffffff, v36, v21
	v_rcp_f32_e32 v36, v44
	v_dual_sub_f32 v34, v34, v35 :: v_dual_add_f32 v53, -1.0, v50
	v_sub_f32_e32 v35, v39, v38
	v_sub_f32_e32 v38, v40, v42
	v_mul_f32_e32 v42, v47, v51
	v_frexp_exp_i32_f64_e32 v26, v[26:27]
	v_sub_f32_e32 v37, v37, v53
	v_frexp_exp_i32_f64_e32 v27, v[28:29]
	v_frexp_exp_i32_f64_e32 v29, v[32:33]
	v_mul_f32_e32 v56, v48, v42
	v_rcp_f32_e32 v52, v50
	v_frexp_exp_i32_f64_e32 v28, v[30:31]
	v_mul_f32_e32 v40, v45, v41
	v_cndmask_b32_e64 v22, 1.0, v2, s12
	v_fma_f32 v32, v42, v48, -v56
	v_mul_f32_e32 v39, v43, v36
	v_cndmask_b32_e64 v23, 1.0, v3, s14
	v_cndmask_b32_e64 v24, 1.0, v4, s15
	;; [unrolled: 1-line block ×3, first 2 shown]
	v_fmac_f32_e32 v32, v42, v38
	v_mul_f32_e32 v54, v44, v39
	v_cmp_class_f32_e64 s34, v2, 0x204
	v_cmp_class_f32_e64 s35, v3, 0x204
	;; [unrolled: 1-line block ×4, first 2 shown]
	v_fma_f32 v30, v39, v44, -v54
	v_mul_f32_e32 v53, v49, v52
	s_or_b32 s2, s2, s35
	s_or_b32 s3, s3, s36
	;; [unrolled: 1-line block ×3, first 2 shown]
	v_fmac_f32_e32 v30, v39, v34
	s_delay_alu instid0(VALU_DEP_1) | instskip(SKIP_1) | instid1(VALU_DEP_2)
	v_add_f32_e32 v34, v54, v30
	v_mul_f32_e32 v57, v50, v53
	v_sub_f32_e32 v44, v34, v54
	s_delay_alu instid0(VALU_DEP_2) | instskip(SKIP_2) | instid1(VALU_DEP_3)
	v_fma_f32 v33, v53, v50, -v57
	v_subrev_co_ci_u32_e64 v26, null, 0, v26, s13
	v_subrev_co_ci_u32_e64 v27, null, 0, v27, s9
	v_fmac_f32_e32 v33, v53, v37
	v_mul_f32_e32 v55, v46, v40
	v_subrev_co_ci_u32_e64 v28, null, 0, v28, s10
	v_subrev_co_ci_u32_e64 v29, null, 0, v29, s11
	s_delay_alu instid0(VALU_DEP_4) | instskip(NEXT) | instid1(VALU_DEP_4)
	v_add_f32_e32 v38, v57, v33
	v_fma_f32 v31, v40, v46, -v55
	v_cvt_f32_i32_e32 v26, v26
	v_cvt_f32_i32_e32 v27, v27
	;; [unrolled: 1-line block ×4, first 2 shown]
	v_fmac_f32_e32 v31, v40, v35
	s_delay_alu instid0(VALU_DEP_1) | instskip(SKIP_1) | instid1(VALU_DEP_2)
	v_add_f32_e32 v35, v55, v31
	v_dual_add_f32 v37, v56, v32 :: v_dual_sub_f32 v46, v43, v34
	v_sub_f32_e32 v48, v35, v55
	v_sub_f32_e32 v50, v45, v35
	s_delay_alu instid0(VALU_DEP_3) | instskip(SKIP_1) | instid1(VALU_DEP_2)
	v_dual_sub_f32 v54, v37, v56 :: v_dual_sub_f32 v55, v47, v37
	v_dual_sub_f32 v56, v38, v57 :: v_dual_sub_f32 v57, v49, v38
	;; [unrolled: 1-line block ×3, first 2 shown]
	v_sub_f32_e32 v30, v44, v30
	v_dual_sub_f32 v44, v45, v50 :: v_dual_sub_f32 v31, v48, v31
	v_sub_f32_e32 v45, v47, v55
	s_delay_alu instid0(VALU_DEP_4) | instskip(NEXT) | instid1(VALU_DEP_3)
	v_dual_sub_f32 v47, v49, v57 :: v_dual_sub_f32 v34, v43, v34
	v_sub_f32_e32 v35, v44, v35
	v_sub_f32_e32 v33, v56, v33
	v_mul_f32_e32 v44, 0x3f317218, v29
	s_delay_alu instid0(VALU_DEP_4) | instskip(SKIP_1) | instid1(VALU_DEP_1)
	v_sub_f32_e32 v38, v47, v38
	v_dual_add_f32 v30, v30, v34 :: v_dual_sub_f32 v37, v45, v37
	v_dual_add_f32 v30, v46, v30 :: v_dual_add_f32 v31, v31, v35
	s_delay_alu instid0(VALU_DEP_2) | instskip(SKIP_1) | instid1(VALU_DEP_3)
	v_dual_add_f32 v32, v32, v37 :: v_dual_add_f32 v33, v33, v38
	v_mul_f32_e32 v38, 0x3f317218, v26
	v_dual_mul_f32 v30, v36, v30 :: v_dual_add_f32 v31, v50, v31
	s_delay_alu instid0(VALU_DEP_3) | instskip(NEXT) | instid1(VALU_DEP_3)
	v_dual_add_f32 v32, v55, v32 :: v_dual_add_f32 v33, v57, v33
	v_fma_f32 v54, 0x3f317218, v26, -v38
	s_delay_alu instid0(VALU_DEP_3) | instskip(NEXT) | instid1(VALU_DEP_3)
	v_dual_add_f32 v34, v39, v30 :: v_dual_mul_f32 v31, v41, v31
	v_dual_mul_f32 v32, v51, v32 :: v_dual_mul_f32 v33, v52, v33
	v_mul_f32_e32 v41, 0x3f317218, v27
	v_fma_f32 v57, 0x3f317218, v29, -v44
	s_delay_alu instid0(VALU_DEP_3) | instskip(NEXT) | instid1(VALU_DEP_4)
	v_dual_add_f32 v35, v40, v31 :: v_dual_add_f32 v36, v42, v32
	v_add_f32_e32 v37, v53, v33
	v_mul_f32_e32 v43, 0x3f317218, v28
	v_fma_f32 v55, 0x3f317218, v27, -v41
	s_delay_alu instid0(VALU_DEP_4) | instskip(NEXT) | instid1(VALU_DEP_4)
	v_dual_sub_f32 v40, v35, v40 :: v_dual_sub_f32 v39, v34, v39
	v_mul_f32_e32 v52, v37, v37
	v_dual_sub_f32 v42, v36, v42 :: v_dual_mul_f32 v47, v35, v35
	s_delay_alu instid0(VALU_DEP_3) | instskip(SKIP_4) | instid1(VALU_DEP_4)
	v_dual_mul_f32 v49, v36, v36 :: v_dual_sub_f32 v30, v30, v39
	v_dual_sub_f32 v51, v37, v53 :: v_dual_fmac_f32 v54, 0xb102e308, v26
	v_fma_f32 v56, 0x3f317218, v28, -v43
	v_mul_f32_e32 v45, v34, v34
	v_dual_sub_f32 v32, v32, v42 :: v_dual_sub_f32 v31, v31, v40
	v_dual_add_f32 v26, v30, v30 :: v_dual_sub_f32 v33, v33, v51
	s_delay_alu instid0(VALU_DEP_4) | instskip(NEXT) | instid1(VALU_DEP_4)
	v_fmac_f32_e32 v56, 0xb102e308, v28
	v_fma_f32 v39, v34, v34, -v45
	s_delay_alu instid0(VALU_DEP_4)
	v_dual_fmac_f32 v57, 0xb102e308, v29 :: v_dual_add_f32 v28, v31, v31
	v_dual_add_f32 v58, v32, v32 :: v_dual_fmac_f32 v55, 0xb102e308, v27
	v_add_f32_e32 v60, v33, v33
	v_fma_f32 v40, v35, v35, -v47
	v_fma_f32 v42, v36, v36, -v49
	;; [unrolled: 1-line block ×3, first 2 shown]
	v_dual_add_f32 v62, v38, v54 :: v_dual_add_f32 v63, v41, v55
	v_dual_add_f32 v64, v43, v56 :: v_dual_add_f32 v65, v44, v57
	v_dual_fmac_f32 v39, v34, v26 :: v_dual_fmac_f32 v40, v35, v28
	s_delay_alu instid0(VALU_DEP_4) | instskip(NEXT) | instid1(VALU_DEP_4)
	v_dual_fmac_f32 v42, v36, v58 :: v_dual_fmac_f32 v51, v37, v60
	v_sub_f32_e32 v26, v62, v38
	s_delay_alu instid0(VALU_DEP_4) | instskip(SKIP_3) | instid1(VALU_DEP_4)
	v_dual_sub_f32 v28, v63, v41 :: v_dual_sub_f32 v41, v65, v44
	v_sub_f32_e32 v38, v64, v43
	v_dual_add_f32 v43, v45, v39 :: v_dual_add_f32 v44, v47, v40
	v_add_f32_e32 v58, v49, v42
	v_sub_f32_e32 v41, v57, v41
	v_ldexp_f32 v27, v30, 1
	s_delay_alu instid0(VALU_DEP_4) | instskip(NEXT) | instid1(VALU_DEP_4)
	v_sub_f32_e32 v45, v43, v45
	v_dual_sub_f32 v28, v55, v28 :: v_dual_sub_f32 v49, v58, v49
	v_mul_f32_e32 v55, v34, v43
	v_dual_add_f32 v60, v52, v51 :: v_dual_mul_f32 v57, v35, v44
	v_dual_sub_f32 v26, v54, v26 :: v_dual_sub_f32 v47, v44, v47
	s_delay_alu instid0(VALU_DEP_2)
	v_dual_sub_f32 v38, v56, v38 :: v_dual_mul_f32 v69, v37, v60
	v_dual_fmaak_f32 v54, s33, v43, 0x3e91f4c4 :: v_dual_mul_f32 v67, v36, v58
	v_dual_fmaak_f32 v56, s33, v44, 0x3e91f4c4 :: v_dual_sub_f32 v39, v39, v45
	v_fma_f32 v45, v43, v34, -v55
	v_fmaak_f32 v68, s33, v60, 0x3e91f4c4
	v_ldexp_f32 v46, v34, 1
	v_ldexp_f32 v29, v31, 1
	v_ldexp_f32 v48, v35, 1
	s_delay_alu instid0(VALU_DEP_4)
	v_dual_fmac_f32 v45, v43, v30 :: v_dual_fmaak_f32 v68, v60, v68, 0x3ecccdef
	v_sub_f32_e32 v42, v42, v49
	v_fma_f32 v49, v58, v36, -v67
	v_sub_f32_e32 v40, v40, v47
	v_fma_f32 v47, v44, v35, -v57
	v_fmaak_f32 v54, v43, v54, 0x3ecccdef
	v_dual_sub_f32 v52, v60, v52 :: v_dual_fmac_f32 v45, v39, v34
	v_fmaak_f32 v66, s33, v58, 0x3e91f4c4
	v_fmaak_f32 v56, v44, v56, 0x3ecccdef
	v_fmac_f32_e32 v47, v44, v31
	v_dual_fmac_f32 v49, v58, v32 :: v_dual_mul_f32 v30, v43, v54
	v_sub_f32_e32 v51, v51, v52
	v_ldexp_f32 v59, v32, 1
	s_delay_alu instid0(VALU_DEP_4)
	v_fmac_f32_e32 v47, v40, v35
	v_fma_f32 v52, v60, v37, -v69
	v_fma_f32 v34, v43, v54, -v30
	v_dual_add_f32 v43, v55, v45 :: v_dual_fmaak_f32 v66, v58, v66, 0x3ecccdef
	v_mul_f32_e32 v31, v44, v56
	v_ldexp_f32 v50, v36, 1
	v_ldexp_f32 v61, v33, 1
	v_fmac_f32_e32 v52, v60, v33
	v_ldexp_f32 v53, v37, 1
	v_fma_f32 v35, v44, v56, -v31
	s_delay_alu instid0(VALU_DEP_1) | instskip(SKIP_3) | instid1(VALU_DEP_4)
	v_dual_mul_f32 v32, v58, v66 :: v_dual_fmac_f32 v35, v40, v56
	v_dual_fmac_f32 v34, v39, v54 :: v_dual_add_f32 v39, v57, v47
	v_mul_f32_e32 v33, v60, v68
	v_fmac_f32_e32 v49, v42, v36
	v_fma_f32 v36, v58, v66, -v32
	v_sub_f32_e32 v44, v43, v55
	v_sub_f32_e32 v54, v39, v57
	s_delay_alu instid0(VALU_DEP_3) | instskip(NEXT) | instid1(VALU_DEP_1)
	v_dual_add_f32 v55, v31, v35 :: v_dual_fmac_f32 v36, v42, v66
	v_sub_f32_e32 v31, v55, v31
	s_delay_alu instid0(VALU_DEP_2) | instskip(SKIP_1) | instid1(VALU_DEP_3)
	v_dual_add_f32 v57, v32, v36 :: v_dual_fmac_f32 v52, v51, v37
	v_fma_f32 v37, v60, v68, -v33
	v_sub_f32_e32 v31, v35, v31
	s_delay_alu instid0(VALU_DEP_2) | instskip(NEXT) | instid1(VALU_DEP_4)
	v_fmac_f32_e32 v37, v51, v68
	v_dual_add_f32 v51, v30, v34 :: v_dual_add_f32 v42, v69, v52
	s_delay_alu instid0(VALU_DEP_3) | instskip(NEXT) | instid1(VALU_DEP_3)
	v_dual_add_f32 v40, v67, v49 :: v_dual_add_f32 v31, 0x31739010, v31
	v_add_f32_e32 v60, v33, v37
	v_sub_f32_e32 v44, v45, v44
	s_delay_alu instid0(VALU_DEP_4) | instskip(NEXT) | instid1(VALU_DEP_3)
	v_dual_sub_f32 v58, v42, v69 :: v_dual_add_f32 v45, 0x3f2aaaaa, v51
	v_dual_sub_f32 v33, v60, v33 :: v_dual_sub_f32 v30, v51, v30
	s_delay_alu instid0(VALU_DEP_2) | instskip(NEXT) | instid1(VALU_DEP_2)
	v_sub_f32_e32 v52, v52, v58
	v_dual_add_f32 v58, 0x3f2aaaaa, v60 :: v_dual_sub_f32 v33, v37, v33
	s_delay_alu instid0(VALU_DEP_3) | instskip(NEXT) | instid1(VALU_DEP_2)
	v_sub_f32_e32 v30, v34, v30
	v_dual_add_f32 v37, 0xbf2aaaaa, v58 :: v_dual_sub_f32 v56, v40, v67
	v_dual_sub_f32 v47, v47, v54 :: v_dual_add_f32 v54, 0x3f2aaaaa, v55
	s_delay_alu instid0(VALU_DEP_4) | instskip(NEXT) | instid1(VALU_DEP_3)
	v_add_f32_e32 v33, 0x31739010, v33
	v_dual_sub_f32 v37, v60, v37 :: v_dual_sub_f32 v32, v57, v32
	s_delay_alu instid0(VALU_DEP_4) | instskip(NEXT) | instid1(VALU_DEP_4)
	v_sub_f32_e32 v49, v49, v56
	v_add_f32_e32 v35, 0xbf2aaaaa, v54
	v_add_f32_e32 v56, 0x3f2aaaaa, v57
	s_delay_alu instid0(VALU_DEP_4) | instskip(NEXT) | instid1(VALU_DEP_1)
	v_dual_add_f32 v33, v33, v37 :: v_dual_sub_f32 v32, v36, v32
	v_dual_sub_f32 v35, v55, v35 :: v_dual_add_f32 v32, 0x31739010, v32
	s_delay_alu instid0(VALU_DEP_1) | instskip(NEXT) | instid1(VALU_DEP_3)
	v_dual_add_f32 v31, v31, v35 :: v_dual_add_f32 v34, 0xbf2aaaaa, v45
	v_dual_add_f32 v36, 0xbf2aaaaa, v56 :: v_dual_add_f32 v37, v58, v33
	s_delay_alu instid0(VALU_DEP_2) | instskip(NEXT) | instid1(VALU_DEP_2)
	v_dual_add_f32 v35, v54, v31 :: v_dual_add_f32 v30, 0x31739010, v30
	v_sub_f32_e32 v36, v57, v36
	s_delay_alu instid0(VALU_DEP_3) | instskip(SKIP_1) | instid1(VALU_DEP_4)
	v_sub_f32_e32 v58, v58, v37
	v_mul_f32_e32 v60, v42, v37
	v_sub_f32_e32 v54, v54, v35
	s_delay_alu instid0(VALU_DEP_4) | instskip(NEXT) | instid1(VALU_DEP_4)
	v_dual_mul_f32 v55, v39, v35 :: v_dual_add_f32 v32, v32, v36
	v_add_f32_e32 v33, v33, v58
	s_delay_alu instid0(VALU_DEP_4) | instskip(NEXT) | instid1(VALU_DEP_4)
	v_fma_f32 v58, v42, v37, -v60
	v_add_f32_e32 v31, v31, v54
	s_delay_alu instid0(VALU_DEP_4) | instskip(SKIP_2) | instid1(VALU_DEP_2)
	v_fma_f32 v54, v39, v35, -v55
	v_add_f32_e32 v36, v56, v32
	v_sub_f32_e32 v34, v51, v34
	v_dual_fmac_f32 v54, v39, v31 :: v_dual_mul_f32 v57, v40, v36
	s_delay_alu instid0(VALU_DEP_1) | instskip(NEXT) | instid1(VALU_DEP_1)
	v_fmac_f32_e32 v54, v47, v35
	v_dual_sub_f32 v56, v56, v36 :: v_dual_add_f32 v31, v55, v54
	s_delay_alu instid0(VALU_DEP_1) | instskip(NEXT) | instid1(VALU_DEP_4)
	v_add_f32_e32 v32, v32, v56
	v_fma_f32 v56, v40, v36, -v57
	v_add_f32_e32 v30, v30, v34
	s_delay_alu instid0(VALU_DEP_2) | instskip(NEXT) | instid1(VALU_DEP_1)
	v_fmac_f32_e32 v56, v40, v32
	v_fmac_f32_e32 v56, v49, v36
	;; [unrolled: 1-line block ×3, first 2 shown]
	s_delay_alu instid0(VALU_DEP_2) | instskip(NEXT) | instid1(VALU_DEP_2)
	v_add_f32_e32 v32, v57, v56
	v_fmac_f32_e32 v58, v52, v37
	v_dual_add_f32 v37, v48, v31 :: v_dual_add_f32 v34, v45, v30
	s_delay_alu instid0(VALU_DEP_3) | instskip(NEXT) | instid1(VALU_DEP_2)
	v_dual_sub_f32 v36, v31, v55 :: v_dual_sub_f32 v39, v32, v57
	v_sub_f32_e32 v45, v45, v34
	s_delay_alu instid0(VALU_DEP_2) | instskip(NEXT) | instid1(VALU_DEP_2)
	v_dual_mul_f32 v51, v43, v34 :: v_dual_sub_f32 v36, v54, v36
	v_add_f32_e32 v30, v30, v45
	s_delay_alu instid0(VALU_DEP_2) | instskip(NEXT) | instid1(VALU_DEP_3)
	v_fma_f32 v45, v43, v34, -v51
	v_add_f32_e32 v29, v29, v36
	s_delay_alu instid0(VALU_DEP_2) | instskip(NEXT) | instid1(VALU_DEP_1)
	v_fmac_f32_e32 v45, v43, v30
	v_fmac_f32_e32 v45, v44, v34
	s_delay_alu instid0(VALU_DEP_1) | instskip(NEXT) | instid1(VALU_DEP_1)
	v_add_f32_e32 v30, v51, v45
	v_sub_f32_e32 v34, v30, v51
	s_delay_alu instid0(VALU_DEP_1) | instskip(SKIP_2) | instid1(VALU_DEP_3)
	v_sub_f32_e32 v34, v45, v34
	v_sub_f32_e32 v45, v37, v48
	v_add_f32_e32 v33, v60, v58
	v_add_f32_e32 v27, v27, v34
	s_delay_alu instid0(VALU_DEP_3) | instskip(NEXT) | instid1(VALU_DEP_3)
	v_sub_f32_e32 v31, v31, v45
	v_add_f32_e32 v43, v53, v33
	v_sub_f32_e32 v39, v56, v39
	s_delay_alu instid0(VALU_DEP_3) | instskip(SKIP_1) | instid1(VALU_DEP_4)
	v_add_f32_e32 v29, v29, v31
	v_dual_add_f32 v35, v46, v30 :: v_dual_sub_f32 v42, v33, v60
	v_sub_f32_e32 v47, v43, v53
	s_delay_alu instid0(VALU_DEP_1) | instskip(NEXT) | instid1(VALU_DEP_1)
	v_dual_sub_f32 v33, v33, v47 :: v_dual_sub_f32 v42, v58, v42
	v_add_f32_e32 v36, v61, v42
	s_delay_alu instid0(VALU_DEP_1) | instskip(SKIP_1) | instid1(VALU_DEP_2)
	v_dual_add_f32 v40, v50, v32 :: v_dual_add_f32 v31, v36, v33
	v_dual_add_f32 v33, v37, v29 :: v_dual_sub_f32 v44, v35, v46
	v_add_f32_e32 v36, v43, v31
	s_delay_alu instid0(VALU_DEP_2) | instskip(NEXT) | instid1(VALU_DEP_2)
	v_dual_sub_f32 v46, v40, v50 :: v_dual_sub_f32 v37, v33, v37
	v_dual_sub_f32 v30, v30, v44 :: v_dual_sub_f32 v43, v36, v43
	s_delay_alu instid0(VALU_DEP_2) | instskip(NEXT) | instid1(VALU_DEP_3)
	v_dual_add_f32 v45, v65, v36 :: v_dual_sub_f32 v32, v32, v46
	v_dual_sub_f32 v29, v29, v37 :: v_dual_add_f32 v34, v59, v39
	s_delay_alu instid0(VALU_DEP_3) | instskip(NEXT) | instid1(VALU_DEP_4)
	v_add_f32_e32 v27, v27, v30
	v_sub_f32_e32 v31, v31, v43
	s_delay_alu instid0(VALU_DEP_4) | instskip(NEXT) | instid1(VALU_DEP_1)
	v_sub_f32_e32 v43, v45, v65
	v_dual_add_f32 v42, v63, v33 :: v_dual_sub_f32 v49, v45, v43
	s_delay_alu instid0(VALU_DEP_1) | instskip(SKIP_1) | instid1(VALU_DEP_3)
	v_sub_f32_e32 v37, v42, v63
	v_add_f32_e32 v30, v34, v32
	v_dual_add_f32 v32, v35, v27 :: v_dual_sub_f32 v49, v65, v49
	s_delay_alu instid0(VALU_DEP_3) | instskip(SKIP_1) | instid1(VALU_DEP_3)
	v_sub_f32_e32 v47, v42, v37
	v_sub_f32_e32 v33, v33, v37
	v_sub_f32_e32 v35, v32, v35
	v_add_f32_e32 v39, v62, v32
	v_add_f32_e32 v37, v28, v29
	v_sub_f32_e32 v36, v36, v43
	v_add_f32_e32 v43, v41, v31
	v_dual_sub_f32 v27, v27, v35 :: v_dual_add_f32 v34, v40, v30
	v_sub_f32_e32 v35, v39, v62
	v_sub_f32_e32 v47, v63, v47
	s_delay_alu instid0(VALU_DEP_4) | instskip(SKIP_1) | instid1(VALU_DEP_4)
	v_sub_f32_e32 v53, v43, v41
	v_dual_sub_f32 v51, v37, v28 :: v_dual_add_f32 v36, v36, v49
	v_sub_f32_e32 v46, v39, v35
	v_sub_f32_e32 v32, v32, v35
	v_add_f32_e32 v35, v26, v27
	v_sub_f32_e32 v40, v34, v40
	v_add_f32_e32 v44, v64, v34
	v_dual_sub_f32 v46, v62, v46 :: v_dual_sub_f32 v29, v29, v51
	s_delay_alu instid0(VALU_DEP_3) | instskip(NEXT) | instid1(VALU_DEP_3)
	v_dual_add_f32 v33, v33, v47 :: v_dual_sub_f32 v30, v30, v40
	v_sub_f32_e32 v40, v44, v64
	v_sub_f32_e32 v50, v35, v26
	;; [unrolled: 1-line block ×4, first 2 shown]
	s_delay_alu instid0(VALU_DEP_4)
	v_dual_add_f32 v33, v37, v33 :: v_dual_sub_f32 v48, v44, v40
	v_sub_f32_e32 v34, v34, v40
	v_add_f32_e32 v40, v38, v30
	v_sub_f32_e32 v27, v27, v50
	v_dual_add_f32 v32, v32, v46 :: v_dual_sub_f32 v37, v41, v49
	v_dual_sub_f32 v48, v64, v48 :: v_dual_sub_f32 v31, v31, v53
	v_sub_f32_e32 v46, v35, v50
	v_sub_f32_e32 v52, v40, v38
	s_delay_alu instid0(VALU_DEP_4) | instskip(NEXT) | instid1(VALU_DEP_4)
	v_add_f32_e32 v32, v35, v32
	v_dual_add_f32 v34, v34, v48 :: v_dual_add_f32 v31, v31, v37
	v_sub_f32_e32 v28, v28, v47
	s_delay_alu instid0(VALU_DEP_1) | instskip(SKIP_2) | instid1(VALU_DEP_2)
	v_dual_add_f32 v28, v29, v28 :: v_dual_add_f32 v29, v42, v33
	v_sub_f32_e32 v26, v26, v46
	v_sub_f32_e32 v48, v40, v52
	v_add_f32_e32 v26, v27, v26
	v_add_f32_e32 v27, v39, v32
	;; [unrolled: 1-line block ×3, first 2 shown]
	s_delay_alu instid0(VALU_DEP_4) | instskip(NEXT) | instid1(VALU_DEP_2)
	v_sub_f32_e32 v35, v38, v48
	v_dual_add_f32 v37, v45, v36 :: v_dual_sub_f32 v38, v27, v39
	v_sub_f32_e32 v39, v29, v42
	s_delay_alu instid0(VALU_DEP_2) | instskip(NEXT) | instid1(VALU_DEP_2)
	v_dual_add_f32 v34, v40, v34 :: v_dual_sub_f32 v41, v37, v45
	v_dual_sub_f32 v32, v32, v38 :: v_dual_sub_f32 v33, v33, v39
	v_sub_f32_e32 v30, v30, v52
	s_delay_alu instid0(VALU_DEP_2) | instskip(NEXT) | instid1(VALU_DEP_1)
	v_add_f32_e32 v28, v28, v33
	v_add_f32_e32 v33, v29, v28
	s_delay_alu instid0(VALU_DEP_4) | instskip(NEXT) | instid1(VALU_DEP_4)
	v_add_f32_e32 v26, v26, v32
	v_dual_add_f32 v30, v30, v35 :: v_dual_add_f32 v35, v44, v34
	s_delay_alu instid0(VALU_DEP_2) | instskip(SKIP_1) | instid1(VALU_DEP_2)
	v_dual_sub_f32 v29, v33, v29 :: v_dual_add_f32 v32, v27, v26
	v_mul_f32_e32 v39, v11, v33
	v_dual_sub_f32 v40, v35, v44 :: v_dual_sub_f32 v27, v32, v27
	v_mul_f32_e32 v38, v10, v32
	s_delay_alu instid0(VALU_DEP_3) | instskip(NEXT) | instid1(VALU_DEP_3)
	v_cmp_class_f32_e64 s10, v39, 0x204
	v_sub_f32_e32 v26, v26, v27
	s_delay_alu instid0(VALU_DEP_3) | instskip(NEXT) | instid1(VALU_DEP_1)
	v_fma_f32 v27, v10, v32, -v38
	v_dual_sub_f32 v36, v36, v41 :: v_dual_fmac_f32 v27, v10, v26
	s_delay_alu instid0(VALU_DEP_1) | instskip(NEXT) | instid1(VALU_DEP_1)
	v_dual_add_f32 v31, v31, v36 :: v_dual_add_f32 v26, v38, v27
	v_add_f32_e32 v36, v37, v31
	s_delay_alu instid0(VALU_DEP_1) | instskip(SKIP_1) | instid1(VALU_DEP_2)
	v_dual_sub_f32 v37, v36, v37 :: v_dual_sub_f32 v34, v34, v40
	v_mul_f32_e32 v41, v13, v36
	v_dual_sub_f32 v31, v31, v37 :: v_dual_add_f32 v30, v30, v34
	s_delay_alu instid0(VALU_DEP_2) | instskip(NEXT) | instid1(VALU_DEP_2)
	v_cmp_class_f32_e64 s12, v41, 0x204
	v_add_f32_e32 v34, v35, v30
	s_delay_alu instid0(VALU_DEP_1) | instskip(NEXT) | instid1(VALU_DEP_1)
	v_dual_mul_f32 v40, v12, v34 :: v_dual_sub_f32 v35, v34, v35
	v_fma_f32 v32, v12, v34, -v40
	v_sub_f32_e32 v34, v26, v38
	s_delay_alu instid0(VALU_DEP_1) | instskip(SKIP_2) | instid1(VALU_DEP_2)
	v_dual_sub_f32 v27, v27, v34 :: v_dual_sub_f32 v28, v28, v29
	v_fma_f32 v29, v11, v33, -v39
	v_fma_f32 v33, v13, v36, -v41
	v_dual_fmac_f32 v29, v11, v28 :: v_dual_sub_f32 v30, v30, v35
	s_delay_alu instid0(VALU_DEP_1) | instskip(NEXT) | instid1(VALU_DEP_1)
	v_dual_fmac_f32 v33, v13, v31 :: v_dual_add_f32 v28, v39, v29
	v_add_f32_e32 v31, v41, v33
	s_delay_alu instid0(VALU_DEP_2) | instskip(SKIP_2) | instid1(VALU_DEP_3)
	v_sub_f32_e32 v35, v28, v39
	s_wait_alu 0xf1ff
	v_cndmask_b32_e64 v28, v28, v39, s10
	v_sub_f32_e32 v37, v31, v41
	v_cndmask_b32_e64 v31, v31, v41, s12
	v_sub_f32_e32 v29, v29, v35
	v_cmp_class_f32_e64 s9, v38, 0x204
	v_cmp_eq_f32_e64 s10, 0x42b17218, v28
	v_sub_f32_e32 v33, v33, v37
	v_cmp_class_f32_e64 s11, v40, 0x204
	v_cmp_eq_f32_e64 s12, 0x42b17218, v31
	s_wait_alu 0xf1ff
	v_cndmask_b32_e64 v26, v26, v38, s9
	v_cndmask_b32_e64 v35, 0, 0x37000000, s10
	s_delay_alu instid0(VALU_DEP_3) | instskip(NEXT) | instid1(VALU_DEP_3)
	v_cndmask_b32_e64 v37, 0, 0x37000000, s12
	v_cmp_eq_f32_e64 s9, 0x42b17218, v26
	v_cmp_neq_f32_e64 s12, 0x7f800000, |v26|
	s_wait_alu 0xf1ff
	s_delay_alu instid0(VALU_DEP_2) | instskip(SKIP_4) | instid1(VALU_DEP_3)
	v_cndmask_b32_e64 v34, 0, 0x37000000, s9
	v_cmp_neq_f32_e64 s9, 0x7f800000, |v28|
	v_sub_f32_e32 v28, v28, v35
	v_cndmask_b32_e64 v27, 0, v27, s12
	s_wait_alu 0xf1ff
	v_cndmask_b32_e64 v29, 0, v29, s9
	s_delay_alu instid0(VALU_DEP_2) | instskip(NEXT) | instid1(VALU_DEP_2)
	v_add_f32_e32 v27, v34, v27
	v_dual_add_f32 v29, v35, v29 :: v_dual_fmac_f32 v32, v12, v30
	v_mul_f32_e32 v35, 0x3fb8aa3b, v28
	s_delay_alu instid0(VALU_DEP_1) | instskip(NEXT) | instid1(VALU_DEP_3)
	v_rndne_f32_e32 v41, v35
	v_add_f32_e32 v30, v40, v32
	s_delay_alu instid0(VALU_DEP_1) | instskip(SKIP_1) | instid1(VALU_DEP_2)
	v_sub_f32_e32 v36, v30, v40
	v_cndmask_b32_e64 v30, v30, v40, s11
	v_sub_f32_e32 v32, v32, v36
	s_delay_alu instid0(VALU_DEP_2) | instskip(SKIP_2) | instid1(VALU_DEP_2)
	v_cmp_eq_f32_e64 s11, 0x42b17218, v30
	v_cmp_neq_f32_e64 s10, 0x7f800000, |v30|
	s_wait_alu 0xf1ff
	v_cndmask_b32_e64 v36, 0, 0x37000000, s11
	v_cmp_neq_f32_e64 s11, 0x7f800000, |v31|
	v_sub_f32_e32 v31, v31, v37
	v_cndmask_b32_e64 v32, 0, v32, s10
	s_delay_alu instid0(VALU_DEP_4) | instskip(SKIP_4) | instid1(VALU_DEP_3)
	v_sub_f32_e32 v30, v30, v36
	s_wait_alu 0xf1ff
	v_cndmask_b32_e64 v33, 0, v33, s11
	v_cmp_ngt_f32_e64 s11, 0xc2ce8ed0, v31
	v_add_f32_e32 v32, v36, v32
	v_dual_mul_f32 v36, 0x3fb8aa3b, v30 :: v_dual_add_f32 v33, v37, v33
	v_mul_f32_e32 v37, 0x3fb8aa3b, v31
	v_cmp_ngt_f32_e64 s10, 0xc2ce8ed0, v30
	s_delay_alu instid0(VALU_DEP_3) | instskip(SKIP_1) | instid1(VALU_DEP_4)
	v_fma_f32 v42, 0x3fb8aa3b, v30, -v36
	v_rndne_f32_e32 v43, v36
	v_fma_f32 v44, 0x3fb8aa3b, v31, -v37
	v_rndne_f32_e32 v45, v37
	s_delay_alu instid0(VALU_DEP_4) | instskip(NEXT) | instid1(VALU_DEP_4)
	v_fmac_f32_e32 v42, 0x32a5705f, v30
	v_sub_f32_e32 v36, v36, v43
	s_delay_alu instid0(VALU_DEP_3) | instskip(SKIP_2) | instid1(VALU_DEP_3)
	v_dual_fmac_f32 v44, 0x32a5705f, v31 :: v_dual_sub_f32 v37, v37, v45
	v_cvt_i32_f32_e32 v43, v43
	v_cvt_i32_f32_e32 v45, v45
	v_dual_add_f32 v36, v36, v42 :: v_dual_add_f32 v37, v37, v44
	v_fma_f32 v40, 0x3fb8aa3b, v28, -v35
	v_sub_f32_e32 v35, v35, v41
	s_delay_alu instid0(VALU_DEP_3)
	v_exp_f32_e32 v36, v36
	v_cvt_i32_f32_e32 v41, v41
	v_exp_f32_e32 v37, v37
	v_fmac_f32_e32 v40, 0x32a5705f, v28
	v_sub_f32_e32 v26, v26, v34
	v_cmp_ngt_f32_e64 s9, 0xc2ce8ed0, v28
	s_delay_alu instid0(VALU_DEP_2) | instskip(NEXT) | instid1(TRANS32_DEP_2)
	v_dual_add_f32 v35, v35, v40 :: v_dual_mul_f32 v34, 0x3fb8aa3b, v26
	v_ldexp_f32 v36, v36, v43
	v_cmp_ngt_f32_e64 s12, 0xc2ce8ed0, v26
	s_delay_alu instid0(TRANS32_DEP_1) | instskip(NEXT) | instid1(VALU_DEP_4)
	v_ldexp_f32 v37, v37, v45
	v_exp_f32_e32 v35, v35
	v_fma_f32 v38, 0x3fb8aa3b, v26, -v34
	v_rndne_f32_e32 v39, v34
	s_delay_alu instid0(VALU_DEP_2) | instskip(NEXT) | instid1(VALU_DEP_2)
	v_fmac_f32_e32 v38, 0x32a5705f, v26
	v_sub_f32_e32 v34, v34, v39
	v_cvt_i32_f32_e32 v39, v39
	s_delay_alu instid0(TRANS32_DEP_1) | instskip(NEXT) | instid1(VALU_DEP_3)
	v_ldexp_f32 v35, v35, v41
	v_add_f32_e32 v34, v34, v38
	s_wait_alu 0xf1ff
	s_delay_alu instid0(VALU_DEP_2) | instskip(SKIP_1) | instid1(VALU_DEP_3)
	v_cndmask_b32_e64 v35, 0, v35, s9
	v_cmp_nlt_f32_e64 s9, 0x42b17218, v28
	v_exp_f32_e32 v34, v34
	v_cndmask_b32_e64 v28, 0, v36, s10
	v_cmp_nlt_f32_e64 s10, 0x42b17218, v30
	v_cndmask_b32_e64 v30, 0, v37, s11
	v_cmp_nlt_f32_e64 s11, 0x42b17218, v31
	s_wait_alu 0xf1ff
	v_cndmask_b32_e64 v31, 0x7f800000, v35, s9
	v_cndmask_b32_e64 v28, 0x7f800000, v28, s10
	s_delay_alu instid0(VALU_DEP_3) | instskip(NEXT) | instid1(TRANS32_DEP_1)
	v_cndmask_b32_e64 v30, 0x7f800000, v30, s11
	v_ldexp_f32 v34, v34, v39
	s_delay_alu instid0(VALU_DEP_4)
	v_fma_f32 v29, v31, v29, v31
	v_cmp_class_f32_e64 s9, v31, 0x204
	v_fma_f32 v32, v28, v32, v28
	v_cmp_class_f32_e64 s10, v28, 0x204
	v_cndmask_b32_e64 v34, 0, v34, s12
	v_cmp_nlt_f32_e64 s12, 0x42b17218, v26
	v_fma_f32 v33, v30, v33, v30
	v_cmp_class_f32_e64 s11, v30, 0x204
	s_wait_alu 0xf1ff
	v_cndmask_b32_e64 v28, v32, v28, s10
	v_cndmask_b32_e64 v26, 0x7f800000, v34, s12
	s_delay_alu instid0(VALU_DEP_2) | instskip(NEXT) | instid1(VALU_DEP_2)
	v_bfi_b32 v24, 0x7fffffff, v28, v24
	v_fma_f32 v27, v26, v27, v26
	v_cmp_class_f32_e64 s12, v26, 0x204
	s_delay_alu instid0(VALU_DEP_3) | instskip(SKIP_2) | instid1(VALU_DEP_3)
	v_cndmask_b32_e64 v28, 0x7fc00000, v24, s7
	v_cmp_gt_f32_e64 s7, 0, v5
	s_wait_alu 0xf1ff
	v_cndmask_b32_e64 v26, v27, v26, s12
	v_cndmask_b32_e64 v27, v29, v31, s9
	;; [unrolled: 1-line block ×3, first 2 shown]
	s_delay_alu instid0(VALU_DEP_3) | instskip(NEXT) | instid1(VALU_DEP_3)
	v_bfi_b32 v22, 0x7fffffff, v26, v22
	v_bfi_b32 v23, 0x7fffffff, v27, v23
	s_delay_alu instid0(VALU_DEP_3) | instskip(NEXT) | instid1(VALU_DEP_3)
	v_bfi_b32 v25, 0x7fffffff, v29, v25
	v_cndmask_b32_e64 v26, 0x7fc00000, v22, s4
	s_delay_alu instid0(VALU_DEP_3)
	v_cndmask_b32_e64 v27, 0x7fc00000, v23, s6
	v_cmp_gt_f32_e64 s4, 0, v3
	v_cmp_gt_f32_e64 s6, 0, v4
	v_cndmask_b32_e64 v29, 0x7fc00000, v25, s8
	v_cmp_gt_f32_e64 s8, 0, v2
	s_wait_alu 0xf1ff
	v_cndmask_b32_e64 v23, v23, v27, s4
	v_cmp_class_f32_e64 s4, v11, 0x204
	v_cndmask_b32_e64 v24, v24, v28, s6
	v_cndmask_b32_e64 v22, v22, v26, s8
	v_cmp_class_f32_e64 s6, v12, 0x204
	v_cndmask_b32_e64 v25, v25, v29, s7
	v_cmp_class_f32_e64 s7, v13, 0x204
	v_cmp_class_f32_e64 s8, v10, 0x204
	s_wait_alu 0xf1ff
	v_cndmask_b32_e64 v15, v23, v15, s4
	v_cndmask_b32_e64 v16, v24, v16, s6
	s_or_b32 s4, s5, s37
	v_cndmask_b32_e64 v17, v25, v17, s7
	v_cndmask_b32_e64 v14, v22, v14, s8
	s_wait_alu 0xfffe
	v_cndmask_b32_e64 v15, v15, v21, s2
	v_cmp_o_f32_e64 s2, v4, v12
	s_or_b32 s29, s0, s29
	v_cndmask_b32_e64 v12, v17, v18, s4
	v_cndmask_b32_e64 v14, v14, v20, s1
	v_cmp_o_f32_e64 s1, v3, v11
	v_cndmask_b32_e64 v11, v16, v19, s3
	v_cmp_o_f32_e64 s3, v5, v13
	v_cmp_o_f32_e64 s4, v2, v10
	s_wait_alu 0xf1ff
	v_cndmask_b32_e64 v3, 0x7fc00000, v15, s1
	v_cndmask_b32_e64 v4, 0x7fc00000, v11, s2
	;; [unrolled: 1-line block ×4, first 2 shown]
	global_store_b128 v[6:7], v[2:5], off
	s_wait_alu 0xfffe
	s_and_not1_b32 exec_lo, exec_lo, s29
	s_cbranch_execnz .LBB67_24
.LBB67_25:
	s_endpgm
	.section	.rodata,"a",@progbits
	.p2align	6, 0x0
	.amdhsa_kernel _ZN2at6native12_GLOBAL__N_125multi_tensor_apply_kernelINS1_18TensorListMetadataILi2EEENS1_21BinaryOpScalarFunctorIfLi2ELi1ELi1EEEJNS1_13power_functorIfEEfEEEvT_T0_DpT1_
		.amdhsa_group_segment_fixed_size 0
		.amdhsa_private_segment_fixed_size 0
		.amdhsa_kernarg_size 3408
		.amdhsa_user_sgpr_count 2
		.amdhsa_user_sgpr_dispatch_ptr 0
		.amdhsa_user_sgpr_queue_ptr 0
		.amdhsa_user_sgpr_kernarg_segment_ptr 1
		.amdhsa_user_sgpr_dispatch_id 0
		.amdhsa_user_sgpr_private_segment_size 0
		.amdhsa_wavefront_size32 1
		.amdhsa_uses_dynamic_stack 0
		.amdhsa_enable_private_segment 0
		.amdhsa_system_sgpr_workgroup_id_x 1
		.amdhsa_system_sgpr_workgroup_id_y 0
		.amdhsa_system_sgpr_workgroup_id_z 0
		.amdhsa_system_sgpr_workgroup_info 0
		.amdhsa_system_vgpr_workitem_id 0
		.amdhsa_next_free_vgpr 70
		.amdhsa_next_free_sgpr 39
		.amdhsa_reserve_vcc 1
		.amdhsa_float_round_mode_32 0
		.amdhsa_float_round_mode_16_64 0
		.amdhsa_float_denorm_mode_32 3
		.amdhsa_float_denorm_mode_16_64 3
		.amdhsa_fp16_overflow 0
		.amdhsa_workgroup_processor_mode 1
		.amdhsa_memory_ordered 1
		.amdhsa_forward_progress 1
		.amdhsa_inst_pref_size 87
		.amdhsa_round_robin_scheduling 0
		.amdhsa_exception_fp_ieee_invalid_op 0
		.amdhsa_exception_fp_denorm_src 0
		.amdhsa_exception_fp_ieee_div_zero 0
		.amdhsa_exception_fp_ieee_overflow 0
		.amdhsa_exception_fp_ieee_underflow 0
		.amdhsa_exception_fp_ieee_inexact 0
		.amdhsa_exception_int_div_zero 0
	.end_amdhsa_kernel
	.section	.text._ZN2at6native12_GLOBAL__N_125multi_tensor_apply_kernelINS1_18TensorListMetadataILi2EEENS1_21BinaryOpScalarFunctorIfLi2ELi1ELi1EEEJNS1_13power_functorIfEEfEEEvT_T0_DpT1_,"axG",@progbits,_ZN2at6native12_GLOBAL__N_125multi_tensor_apply_kernelINS1_18TensorListMetadataILi2EEENS1_21BinaryOpScalarFunctorIfLi2ELi1ELi1EEEJNS1_13power_functorIfEEfEEEvT_T0_DpT1_,comdat
.Lfunc_end67:
	.size	_ZN2at6native12_GLOBAL__N_125multi_tensor_apply_kernelINS1_18TensorListMetadataILi2EEENS1_21BinaryOpScalarFunctorIfLi2ELi1ELi1EEEJNS1_13power_functorIfEEfEEEvT_T0_DpT1_, .Lfunc_end67-_ZN2at6native12_GLOBAL__N_125multi_tensor_apply_kernelINS1_18TensorListMetadataILi2EEENS1_21BinaryOpScalarFunctorIfLi2ELi1ELi1EEEJNS1_13power_functorIfEEfEEEvT_T0_DpT1_
                                        ; -- End function
	.set _ZN2at6native12_GLOBAL__N_125multi_tensor_apply_kernelINS1_18TensorListMetadataILi2EEENS1_21BinaryOpScalarFunctorIfLi2ELi1ELi1EEEJNS1_13power_functorIfEEfEEEvT_T0_DpT1_.num_vgpr, 70
	.set _ZN2at6native12_GLOBAL__N_125multi_tensor_apply_kernelINS1_18TensorListMetadataILi2EEENS1_21BinaryOpScalarFunctorIfLi2ELi1ELi1EEEJNS1_13power_functorIfEEfEEEvT_T0_DpT1_.num_agpr, 0
	.set _ZN2at6native12_GLOBAL__N_125multi_tensor_apply_kernelINS1_18TensorListMetadataILi2EEENS1_21BinaryOpScalarFunctorIfLi2ELi1ELi1EEEJNS1_13power_functorIfEEfEEEvT_T0_DpT1_.numbered_sgpr, 39
	.set _ZN2at6native12_GLOBAL__N_125multi_tensor_apply_kernelINS1_18TensorListMetadataILi2EEENS1_21BinaryOpScalarFunctorIfLi2ELi1ELi1EEEJNS1_13power_functorIfEEfEEEvT_T0_DpT1_.num_named_barrier, 0
	.set _ZN2at6native12_GLOBAL__N_125multi_tensor_apply_kernelINS1_18TensorListMetadataILi2EEENS1_21BinaryOpScalarFunctorIfLi2ELi1ELi1EEEJNS1_13power_functorIfEEfEEEvT_T0_DpT1_.private_seg_size, 0
	.set _ZN2at6native12_GLOBAL__N_125multi_tensor_apply_kernelINS1_18TensorListMetadataILi2EEENS1_21BinaryOpScalarFunctorIfLi2ELi1ELi1EEEJNS1_13power_functorIfEEfEEEvT_T0_DpT1_.uses_vcc, 1
	.set _ZN2at6native12_GLOBAL__N_125multi_tensor_apply_kernelINS1_18TensorListMetadataILi2EEENS1_21BinaryOpScalarFunctorIfLi2ELi1ELi1EEEJNS1_13power_functorIfEEfEEEvT_T0_DpT1_.uses_flat_scratch, 0
	.set _ZN2at6native12_GLOBAL__N_125multi_tensor_apply_kernelINS1_18TensorListMetadataILi2EEENS1_21BinaryOpScalarFunctorIfLi2ELi1ELi1EEEJNS1_13power_functorIfEEfEEEvT_T0_DpT1_.has_dyn_sized_stack, 0
	.set _ZN2at6native12_GLOBAL__N_125multi_tensor_apply_kernelINS1_18TensorListMetadataILi2EEENS1_21BinaryOpScalarFunctorIfLi2ELi1ELi1EEEJNS1_13power_functorIfEEfEEEvT_T0_DpT1_.has_recursion, 0
	.set _ZN2at6native12_GLOBAL__N_125multi_tensor_apply_kernelINS1_18TensorListMetadataILi2EEENS1_21BinaryOpScalarFunctorIfLi2ELi1ELi1EEEJNS1_13power_functorIfEEfEEEvT_T0_DpT1_.has_indirect_call, 0
	.section	.AMDGPU.csdata,"",@progbits
; Kernel info:
; codeLenInByte = 11132
; TotalNumSgprs: 41
; NumVgprs: 70
; ScratchSize: 0
; MemoryBound: 0
; FloatMode: 240
; IeeeMode: 1
; LDSByteSize: 0 bytes/workgroup (compile time only)
; SGPRBlocks: 0
; VGPRBlocks: 8
; NumSGPRsForWavesPerEU: 41
; NumVGPRsForWavesPerEU: 70
; Occupancy: 16
; WaveLimiterHint : 0
; COMPUTE_PGM_RSRC2:SCRATCH_EN: 0
; COMPUTE_PGM_RSRC2:USER_SGPR: 2
; COMPUTE_PGM_RSRC2:TRAP_HANDLER: 0
; COMPUTE_PGM_RSRC2:TGID_X_EN: 1
; COMPUTE_PGM_RSRC2:TGID_Y_EN: 0
; COMPUTE_PGM_RSRC2:TGID_Z_EN: 0
; COMPUTE_PGM_RSRC2:TIDIG_COMP_CNT: 0
	.section	.text._ZN2at6native12_GLOBAL__N_125multi_tensor_apply_kernelINS1_18TensorListMetadataILi2EEENS1_21BinaryOpScalarFunctorIN3c107complexIdEELi2ELi1ELi1EEEJNS1_13power_functorIS8_EES8_EEEvT_T0_DpT1_,"axG",@progbits,_ZN2at6native12_GLOBAL__N_125multi_tensor_apply_kernelINS1_18TensorListMetadataILi2EEENS1_21BinaryOpScalarFunctorIN3c107complexIdEELi2ELi1ELi1EEEJNS1_13power_functorIS8_EES8_EEEvT_T0_DpT1_,comdat
	.globl	_ZN2at6native12_GLOBAL__N_125multi_tensor_apply_kernelINS1_18TensorListMetadataILi2EEENS1_21BinaryOpScalarFunctorIN3c107complexIdEELi2ELi1ELi1EEEJNS1_13power_functorIS8_EES8_EEEvT_T0_DpT1_ ; -- Begin function _ZN2at6native12_GLOBAL__N_125multi_tensor_apply_kernelINS1_18TensorListMetadataILi2EEENS1_21BinaryOpScalarFunctorIN3c107complexIdEELi2ELi1ELi1EEEJNS1_13power_functorIS8_EES8_EEEvT_T0_DpT1_
	.p2align	8
	.type	_ZN2at6native12_GLOBAL__N_125multi_tensor_apply_kernelINS1_18TensorListMetadataILi2EEENS1_21BinaryOpScalarFunctorIN3c107complexIdEELi2ELi1ELi1EEEJNS1_13power_functorIS8_EES8_EEEvT_T0_DpT1_,@function
_ZN2at6native12_GLOBAL__N_125multi_tensor_apply_kernelINS1_18TensorListMetadataILi2EEENS1_21BinaryOpScalarFunctorIN3c107complexIdEELi2ELi1ELi1EEEJNS1_13power_functorIS8_EES8_EEEvT_T0_DpT1_: ; @_ZN2at6native12_GLOBAL__N_125multi_tensor_apply_kernelINS1_18TensorListMetadataILi2EEENS1_21BinaryOpScalarFunctorIN3c107complexIdEELi2ELi1ELi1EEEJNS1_13power_functorIS8_EES8_EEEvT_T0_DpT1_
; %bb.0:
	s_mov_b64 s[18:19], s[0:1]
	s_mov_b32 s0, ttmp9
	s_mov_b32 s1, 0
	v_mov_b32_e32 v60, v0
	s_mul_u64 s[2:3], s[0:1], 3
	s_add_nc_u64 s[4:5], s[18:19], s[0:1]
	s_mov_b32 s13, s1
	s_add_nc_u64 s[2:3], s[4:5], s[2:3]
	s_clause 0x1
	s_load_b32 s2, s[2:3], 0x740
	s_load_u8 s0, s[18:19], ttmp9 offset:0x600
	s_mov_b32 s32, 0
	s_wait_kmcnt 0x0
	s_ashr_i32 s3, s2, 31
	s_lshl_b32 s0, s0, 3
	s_clause 0x3
	s_load_b64 s[4:5], s[18:19], s0 offset:0x0
	s_load_b64 s[6:7], s[18:19], s0 offset:0x200
	;; [unrolled: 1-line block ×3, first 2 shown]
	s_load_b128 s[24:27], s[18:19], 0xc50
	s_lshl_b64 s[10:11], s[2:3], 20
	s_lshl_b64 s[2:3], s[2:3], 16
	s_wait_kmcnt 0x0
	s_add_nc_u64 s[28:29], s[4:5], s[10:11]
	s_add_nc_u64 s[34:35], s[6:7], s[10:11]
	s_and_b32 s4, s8, 3
	s_and_b32 s12, s34, 63
	s_mov_b32 s5, s1
	s_and_b32 s0, s28, 63
	s_or_b64 s[4:5], s[12:13], s[4:5]
	s_sub_nc_u64 s[36:37], s[8:9], s[2:3]
	s_or_b64 s[0:1], s[4:5], s[0:1]
	s_delay_alu instid0(SALU_CYCLE_1)
	s_cmp_eq_u64 s[0:1], 0
	s_mov_b32 s0, -1
	s_cbranch_scc1 .LBB68_21
; %bb.1:
	v_cmp_lt_i64_e64 s0, s[36:37], 1
	s_and_b32 vcc_lo, exec_lo, s0
	s_cbranch_vccnz .LBB68_20
; %bb.2:
	s_load_b32 s0, s[18:19], 0xc6c
	v_cmp_gt_i64_e64 s1, 0x10000, s[36:37]
	v_cmp_gt_u64_e64 s2, 0x10000, s[36:37]
	s_mov_b32 s39, 0
	s_mov_b64 s[44:45], 0
	s_and_b32 s1, s1, exec_lo
	s_cselect_b32 s41, s37, 0
	s_cselect_b32 s40, s36, 0x10000
	s_wait_kmcnt 0x0
	s_and_b32 s23, s0, 0xffff
	s_and_b32 s0, s2, exec_lo
	s_cselect_b32 s43, s37, 0
	s_cselect_b32 s42, s36, 0x10000
	s_lshl_b32 s33, s23, 1
	s_mul_i32 s46, s23, 3
	s_lshl_b32 s38, s23, 2
	s_branch .LBB68_4
.LBB68_3:                               ;   in Loop: Header=BB68_4 Depth=1
	s_wait_alu 0xfffe
	s_or_b32 exec_lo, exec_lo, s21
	s_add_nc_u64 s[44:45], s[44:45], s[38:39]
	s_wait_alu 0xfffe
	v_cmp_lt_i64_e64 s0, s[44:45], s[40:41]
	s_and_b32 vcc_lo, exec_lo, s0
	s_wait_alu 0xfffe
	s_cbranch_vccz .LBB68_20
.LBB68_4:                               ; =>This Inner Loop Header: Depth=1
	v_add_co_u32 v72, s0, s44, v60
	s_wait_alu 0xf1ff
	v_add_co_ci_u32_e64 v73, null, s45, 0, s0
	s_wait_loadcnt 0x0
	v_mov_b32_e32 v46, 0
	v_dual_mov_b32 v47, 0 :: v_dual_mov_b32 v2, 0
	s_delay_alu instid0(VALU_DEP_3)
	v_cmp_gt_u64_e32 vcc_lo, s[42:43], v[72:73]
	v_dual_mov_b32 v0, 0 :: v_dual_mov_b32 v3, 0
	v_mov_b32_e32 v1, 0
	s_and_saveexec_b32 s1, vcc_lo
	s_cbranch_execz .LBB68_6
; %bb.5:                                ;   in Loop: Header=BB68_4 Depth=1
	v_lshlrev_b64_e32 v[0:1], 4, v[72:73]
	s_delay_alu instid0(VALU_DEP_1) | instskip(SKIP_1) | instid1(VALU_DEP_2)
	v_add_co_u32 v0, s0, s28, v0
	s_wait_alu 0xf1ff
	v_add_co_ci_u32_e64 v1, null, s29, v1, s0
	global_load_b128 v[0:3], v[0:1], off
.LBB68_6:                               ;   in Loop: Header=BB68_4 Depth=1
	s_wait_alu 0xfffe
	s_or_b32 exec_lo, exec_lo, s1
	v_add_co_u32 v70, s0, v72, s23
	s_wait_alu 0xf1ff
	v_add_co_ci_u32_e64 v71, null, 0, v73, s0
	v_mov_b32_e32 v44, 0
	v_mov_b32_e32 v45, 0
	s_delay_alu instid0(VALU_DEP_3)
	v_cmp_gt_u64_e64 s22, s[42:43], v[70:71]
	s_and_saveexec_b32 s1, s22
	s_cbranch_execz .LBB68_8
; %bb.7:                                ;   in Loop: Header=BB68_4 Depth=1
	v_lshlrev_b64_e32 v[4:5], 4, v[70:71]
	s_delay_alu instid0(VALU_DEP_1) | instskip(SKIP_1) | instid1(VALU_DEP_2)
	v_add_co_u32 v4, s0, s28, v4
	s_wait_alu 0xf1ff
	v_add_co_ci_u32_e64 v5, null, s29, v5, s0
	global_load_b128 v[44:47], v[4:5], off
.LBB68_8:                               ;   in Loop: Header=BB68_4 Depth=1
	s_wait_alu 0xfffe
	s_or_b32 exec_lo, exec_lo, s1
	v_add_co_u32 v68, s0, v72, s33
	s_wait_alu 0xf1ff
	v_add_co_ci_u32_e64 v69, null, 0, v73, s0
	v_mov_b32_e32 v42, 0
	v_dual_mov_b32 v43, 0 :: v_dual_mov_b32 v58, 0
	s_delay_alu instid0(VALU_DEP_3)
	v_cmp_gt_u64_e64 s21, s[42:43], v[68:69]
	v_dual_mov_b32 v56, 0 :: v_dual_mov_b32 v59, 0
	v_mov_b32_e32 v57, 0
	s_and_saveexec_b32 s1, s21
	s_cbranch_execz .LBB68_10
; %bb.9:                                ;   in Loop: Header=BB68_4 Depth=1
	v_lshlrev_b64_e32 v[4:5], 4, v[68:69]
	s_delay_alu instid0(VALU_DEP_1) | instskip(SKIP_1) | instid1(VALU_DEP_2)
	v_add_co_u32 v4, s0, s28, v4
	s_wait_alu 0xf1ff
	v_add_co_ci_u32_e64 v5, null, s29, v5, s0
	global_load_b128 v[56:59], v[4:5], off
.LBB68_10:                              ;   in Loop: Header=BB68_4 Depth=1
	s_wait_alu 0xfffe
	s_or_b32 exec_lo, exec_lo, s1
	v_add_co_u32 v61, s0, v72, s46
	s_wait_alu 0xf1ff
	v_add_co_ci_u32_e64 v62, null, 0, v73, s0
	v_mov_b32_e32 v40, 0
	v_mov_b32_e32 v41, 0
	s_delay_alu instid0(VALU_DEP_3)
	v_cmp_gt_u64_e64 s20, s[42:43], v[61:62]
	s_and_saveexec_b32 s1, s20
	s_cbranch_execnz .LBB68_15
; %bb.11:                               ;   in Loop: Header=BB68_4 Depth=1
	s_wait_alu 0xfffe
	s_or_b32 exec_lo, exec_lo, s1
	s_and_saveexec_b32 s47, vcc_lo
	s_cbranch_execnz .LBB68_16
.LBB68_12:                              ;   in Loop: Header=BB68_4 Depth=1
	s_wait_alu 0xfffe
	s_or_b32 exec_lo, exec_lo, s47
	s_and_saveexec_b32 s47, s22
	s_cbranch_execnz .LBB68_17
.LBB68_13:                              ;   in Loop: Header=BB68_4 Depth=1
	s_wait_alu 0xfffe
	s_or_b32 exec_lo, exec_lo, s47
	s_and_saveexec_b32 s22, s21
	s_cbranch_execnz .LBB68_18
.LBB68_14:                              ;   in Loop: Header=BB68_4 Depth=1
	s_wait_alu 0xfffe
	s_or_b32 exec_lo, exec_lo, s22
	s_and_saveexec_b32 s21, s20
	s_cbranch_execz .LBB68_3
	s_branch .LBB68_19
.LBB68_15:                              ;   in Loop: Header=BB68_4 Depth=1
	v_lshlrev_b64_e32 v[4:5], 4, v[61:62]
	s_delay_alu instid0(VALU_DEP_1) | instskip(SKIP_1) | instid1(VALU_DEP_2)
	v_add_co_u32 v4, s0, s28, v4
	s_wait_alu 0xf1ff
	v_add_co_ci_u32_e64 v5, null, s29, v5, s0
	global_load_b128 v[40:43], v[4:5], off
	s_wait_alu 0xfffe
	s_or_b32 exec_lo, exec_lo, s1
	s_and_saveexec_b32 s47, vcc_lo
	s_cbranch_execz .LBB68_12
.LBB68_16:                              ;   in Loop: Header=BB68_4 Depth=1
	v_dual_mov_b32 v4, s24 :: v_dual_mov_b32 v5, s25
	v_dual_mov_b32 v6, s26 :: v_dual_mov_b32 v7, s27
	s_getpc_b64 s[0:1]
	s_wait_alu 0xfffe
	s_sext_i32_i16 s1, s1
	s_add_co_u32 s0, s0, _ZN2at6native12_GLOBAL__N_14pow_IdEEN3c107complexIT_EES6_S6_@rel32@lo+12
	s_wait_alu 0xfffe
	s_add_co_ci_u32 s1, s1, _ZN2at6native12_GLOBAL__N_14pow_IdEEN3c107complexIT_EES6_S6_@rel32@hi+24
	s_wait_alu 0xfffe
	s_swappc_b64 s[30:31], s[0:1]
	v_lshlrev_b64_e32 v[4:5], 4, v[72:73]
	s_delay_alu instid0(VALU_DEP_1) | instskip(SKIP_1) | instid1(VALU_DEP_2)
	v_add_co_u32 v4, vcc_lo, s34, v4
	s_wait_alu 0xfffd
	v_add_co_ci_u32_e64 v5, null, s35, v5, vcc_lo
	global_store_b128 v[4:5], v[0:3], off
	s_or_b32 exec_lo, exec_lo, s47
	s_and_saveexec_b32 s47, s22
	s_cbranch_execz .LBB68_13
.LBB68_17:                              ;   in Loop: Header=BB68_4 Depth=1
	s_wait_loadcnt 0x0
	v_dual_mov_b32 v0, v44 :: v_dual_mov_b32 v1, v45
	v_dual_mov_b32 v2, v46 :: v_dual_mov_b32 v3, v47
	;; [unrolled: 1-line block ×4, first 2 shown]
	s_getpc_b64 s[0:1]
	s_wait_alu 0xfffe
	s_sext_i32_i16 s1, s1
	s_add_co_u32 s0, s0, _ZN2at6native12_GLOBAL__N_14pow_IdEEN3c107complexIT_EES6_S6_@rel32@lo+12
	s_wait_alu 0xfffe
	s_add_co_ci_u32 s1, s1, _ZN2at6native12_GLOBAL__N_14pow_IdEEN3c107complexIT_EES6_S6_@rel32@hi+24
	s_wait_alu 0xfffe
	s_swappc_b64 s[30:31], s[0:1]
	v_lshlrev_b64_e32 v[4:5], 4, v[70:71]
	s_delay_alu instid0(VALU_DEP_1) | instskip(SKIP_1) | instid1(VALU_DEP_2)
	v_add_co_u32 v4, vcc_lo, s34, v4
	s_wait_alu 0xfffd
	v_add_co_ci_u32_e64 v5, null, s35, v5, vcc_lo
	global_store_b128 v[4:5], v[0:3], off
	s_or_b32 exec_lo, exec_lo, s47
	s_and_saveexec_b32 s22, s21
	s_cbranch_execz .LBB68_14
.LBB68_18:                              ;   in Loop: Header=BB68_4 Depth=1
	s_wait_loadcnt 0x0
	v_dual_mov_b32 v0, v56 :: v_dual_mov_b32 v1, v57
	v_dual_mov_b32 v2, v58 :: v_dual_mov_b32 v3, v59
	;; [unrolled: 1-line block ×4, first 2 shown]
	s_getpc_b64 s[0:1]
	s_wait_alu 0xfffe
	s_sext_i32_i16 s1, s1
	s_add_co_u32 s0, s0, _ZN2at6native12_GLOBAL__N_14pow_IdEEN3c107complexIT_EES6_S6_@rel32@lo+12
	s_wait_alu 0xfffe
	s_add_co_ci_u32 s1, s1, _ZN2at6native12_GLOBAL__N_14pow_IdEEN3c107complexIT_EES6_S6_@rel32@hi+24
	s_wait_alu 0xfffe
	s_swappc_b64 s[30:31], s[0:1]
	v_lshlrev_b64_e32 v[4:5], 4, v[68:69]
	s_delay_alu instid0(VALU_DEP_1) | instskip(SKIP_1) | instid1(VALU_DEP_2)
	v_add_co_u32 v4, vcc_lo, s34, v4
	s_wait_alu 0xfffd
	v_add_co_ci_u32_e64 v5, null, s35, v5, vcc_lo
	global_store_b128 v[4:5], v[0:3], off
	s_or_b32 exec_lo, exec_lo, s22
	s_and_saveexec_b32 s21, s20
	s_cbranch_execz .LBB68_3
.LBB68_19:                              ;   in Loop: Header=BB68_4 Depth=1
	s_wait_loadcnt 0x0
	v_dual_mov_b32 v0, v40 :: v_dual_mov_b32 v1, v41
	v_dual_mov_b32 v2, v42 :: v_dual_mov_b32 v3, v43
	;; [unrolled: 1-line block ×4, first 2 shown]
	s_getpc_b64 s[0:1]
	s_wait_alu 0xfffe
	s_sext_i32_i16 s1, s1
	s_add_co_u32 s0, s0, _ZN2at6native12_GLOBAL__N_14pow_IdEEN3c107complexIT_EES6_S6_@rel32@lo+12
	s_wait_alu 0xfffe
	s_add_co_ci_u32 s1, s1, _ZN2at6native12_GLOBAL__N_14pow_IdEEN3c107complexIT_EES6_S6_@rel32@hi+24
	s_wait_alu 0xfffe
	s_swappc_b64 s[30:31], s[0:1]
	v_lshlrev_b64_e32 v[4:5], 4, v[61:62]
	s_delay_alu instid0(VALU_DEP_1) | instskip(SKIP_1) | instid1(VALU_DEP_2)
	v_add_co_u32 v4, vcc_lo, s34, v4
	s_wait_alu 0xfffd
	v_add_co_ci_u32_e64 v5, null, s35, v5, vcc_lo
	global_store_b128 v[4:5], v[0:3], off
	s_branch .LBB68_3
.LBB68_20:
	s_mov_b32 s0, 0
.LBB68_21:
	s_wait_alu 0xfffe
	s_and_not1_b32 vcc_lo, exec_lo, s0
	s_wait_alu 0xfffe
	s_cbranch_vccnz .LBB68_25
; %bb.22:
	v_cmp_gt_i64_e64 s0, 0x10000, s[36:37]
	s_wait_loadcnt 0x0
	v_dual_mov_b32 v1, 0 :: v_dual_lshlrev_b32 v0, 2, v60
	s_mov_b32 s23, 0
	s_and_b32 s0, s0, exec_lo
	s_cselect_b32 s21, s37, 0
	s_cselect_b32 s20, s36, 0x10000
	s_mov_b32 s0, exec_lo
	s_wait_alu 0xfffe
	v_cmpx_gt_i64_e64 s[20:21], v[0:1]
	s_cbranch_execz .LBB68_25
; %bb.23:
	s_load_b32 s0, s[18:19], 0xc6c
	v_dual_mov_b32 v61, v1 :: v_dual_lshlrev_b32 v62, 6, v60
	s_mov_b32 s19, s23
	s_wait_kmcnt 0x0
	s_and_b32 s18, s0, 0xffff
	s_wait_alu 0xfffe
	s_lshl_b32 s22, s18, 6
.LBB68_24:                              ; =>This Inner Loop Header: Depth=1
	v_add_co_u32 v4, s0, s28, v62
	s_wait_alu 0xf1ff
	v_add_co_ci_u32_e64 v5, null, s29, 0, s0
	v_dual_mov_b32 v6, s26 :: v_dual_mov_b32 v7, s27
	s_getpc_b64 s[36:37]
	s_wait_alu 0xfffe
	s_sext_i32_i16 s37, s37
	s_add_co_u32 s36, s36, _ZN2at6native12_GLOBAL__N_14pow_IdEEN3c107complexIT_EES6_S6_@rel32@lo+12
	s_wait_alu 0xfffe
	s_add_co_ci_u32 s37, s37, _ZN2at6native12_GLOBAL__N_14pow_IdEEN3c107complexIT_EES6_S6_@rel32@hi+24
	s_clause 0x3
	global_load_b128 v[0:3], v[4:5], off
	global_load_b128 v[40:43], v[4:5], off offset:16
	global_load_b128 v[44:47], v[4:5], off offset:48
	;; [unrolled: 1-line block ×3, first 2 shown]
	v_dual_mov_b32 v4, s24 :: v_dual_mov_b32 v5, s25
	s_wait_alu 0xfffe
	s_swappc_b64 s[30:31], s[36:37]
	v_dual_mov_b32 v68, v0 :: v_dual_mov_b32 v69, v1
	v_dual_mov_b32 v70, v2 :: v_dual_mov_b32 v71, v3
	v_dual_mov_b32 v0, v40 :: v_dual_mov_b32 v1, v41
	v_dual_mov_b32 v2, v42 :: v_dual_mov_b32 v3, v43
	v_dual_mov_b32 v4, s24 :: v_dual_mov_b32 v5, s25
	v_dual_mov_b32 v6, s26 :: v_dual_mov_b32 v7, s27
	s_wait_alu 0xfffe
	s_swappc_b64 s[30:31], s[36:37]
	v_dual_mov_b32 v40, v0 :: v_dual_mov_b32 v41, v1
	v_dual_mov_b32 v42, v2 :: v_dual_mov_b32 v43, v3
	v_dual_mov_b32 v0, v56 :: v_dual_mov_b32 v1, v57
	v_dual_mov_b32 v2, v58 :: v_dual_mov_b32 v3, v59
	v_dual_mov_b32 v4, s24 :: v_dual_mov_b32 v5, s25
	;; [unrolled: 8-line block ×3, first 2 shown]
	v_dual_mov_b32 v6, s26 :: v_dual_mov_b32 v7, s27
	s_wait_alu 0xfffe
	s_swappc_b64 s[30:31], s[36:37]
	v_add_co_u32 v60, vcc_lo, v60, s18
	s_wait_alu 0xfffd
	v_add_co_ci_u32_e64 v61, null, 0, v61, vcc_lo
	v_add_co_u32 v6, s0, s34, v62
	s_wait_alu 0xf1ff
	v_add_co_ci_u32_e64 v7, null, s35, 0, s0
	s_delay_alu instid0(VALU_DEP_3)
	v_lshlrev_b64_e32 v[4:5], 2, v[60:61]
	s_add_nc_u64 s[34:35], s[34:35], s[22:23]
	s_add_nc_u64 s[28:29], s[28:29], s[22:23]
	s_clause 0x3
	global_store_b128 v[6:7], v[68:71], off
	global_store_b128 v[6:7], v[40:43], off offset:16
	global_store_b128 v[6:7], v[56:59], off offset:32
	;; [unrolled: 1-line block ×3, first 2 shown]
	v_cmp_le_i64_e32 vcc_lo, s[20:21], v[4:5]
	s_or_b32 s19, vcc_lo, s19
	s_wait_alu 0xfffe
	s_and_not1_b32 exec_lo, exec_lo, s19
	s_cbranch_execnz .LBB68_24
.LBB68_25:
	s_endpgm
	.section	.rodata,"a",@progbits
	.p2align	6, 0x0
	.amdhsa_kernel _ZN2at6native12_GLOBAL__N_125multi_tensor_apply_kernelINS1_18TensorListMetadataILi2EEENS1_21BinaryOpScalarFunctorIN3c107complexIdEELi2ELi1ELi1EEEJNS1_13power_functorIS8_EES8_EEEvT_T0_DpT1_
		.amdhsa_group_segment_fixed_size 0
		.amdhsa_private_segment_fixed_size 0
		.amdhsa_kernarg_size 3424
		.amdhsa_user_sgpr_count 2
		.amdhsa_user_sgpr_dispatch_ptr 0
		.amdhsa_user_sgpr_queue_ptr 0
		.amdhsa_user_sgpr_kernarg_segment_ptr 1
		.amdhsa_user_sgpr_dispatch_id 0
		.amdhsa_user_sgpr_private_segment_size 0
		.amdhsa_wavefront_size32 1
		.amdhsa_uses_dynamic_stack 0
		.amdhsa_enable_private_segment 0
		.amdhsa_system_sgpr_workgroup_id_x 1
		.amdhsa_system_sgpr_workgroup_id_y 0
		.amdhsa_system_sgpr_workgroup_id_z 0
		.amdhsa_system_sgpr_workgroup_info 0
		.amdhsa_system_vgpr_workitem_id 0
		.amdhsa_next_free_vgpr 74
		.amdhsa_next_free_sgpr 48
		.amdhsa_reserve_vcc 1
		.amdhsa_float_round_mode_32 0
		.amdhsa_float_round_mode_16_64 0
		.amdhsa_float_denorm_mode_32 3
		.amdhsa_float_denorm_mode_16_64 3
		.amdhsa_fp16_overflow 0
		.amdhsa_workgroup_processor_mode 1
		.amdhsa_memory_ordered 1
		.amdhsa_forward_progress 1
		.amdhsa_inst_pref_size 15
		.amdhsa_round_robin_scheduling 0
		.amdhsa_exception_fp_ieee_invalid_op 0
		.amdhsa_exception_fp_denorm_src 0
		.amdhsa_exception_fp_ieee_div_zero 0
		.amdhsa_exception_fp_ieee_overflow 0
		.amdhsa_exception_fp_ieee_underflow 0
		.amdhsa_exception_fp_ieee_inexact 0
		.amdhsa_exception_int_div_zero 0
	.end_amdhsa_kernel
	.section	.text._ZN2at6native12_GLOBAL__N_125multi_tensor_apply_kernelINS1_18TensorListMetadataILi2EEENS1_21BinaryOpScalarFunctorIN3c107complexIdEELi2ELi1ELi1EEEJNS1_13power_functorIS8_EES8_EEEvT_T0_DpT1_,"axG",@progbits,_ZN2at6native12_GLOBAL__N_125multi_tensor_apply_kernelINS1_18TensorListMetadataILi2EEENS1_21BinaryOpScalarFunctorIN3c107complexIdEELi2ELi1ELi1EEEJNS1_13power_functorIS8_EES8_EEEvT_T0_DpT1_,comdat
.Lfunc_end68:
	.size	_ZN2at6native12_GLOBAL__N_125multi_tensor_apply_kernelINS1_18TensorListMetadataILi2EEENS1_21BinaryOpScalarFunctorIN3c107complexIdEELi2ELi1ELi1EEEJNS1_13power_functorIS8_EES8_EEEvT_T0_DpT1_, .Lfunc_end68-_ZN2at6native12_GLOBAL__N_125multi_tensor_apply_kernelINS1_18TensorListMetadataILi2EEENS1_21BinaryOpScalarFunctorIN3c107complexIdEELi2ELi1ELi1EEEJNS1_13power_functorIS8_EES8_EEEvT_T0_DpT1_
                                        ; -- End function
	.set _ZN2at6native12_GLOBAL__N_125multi_tensor_apply_kernelINS1_18TensorListMetadataILi2EEENS1_21BinaryOpScalarFunctorIN3c107complexIdEELi2ELi1ELi1EEEJNS1_13power_functorIS8_EES8_EEEvT_T0_DpT1_.num_vgpr, max(74, .L_ZN2at6native12_GLOBAL__N_14pow_IdEEN3c107complexIT_EES6_S6_.num_vgpr)
	.set _ZN2at6native12_GLOBAL__N_125multi_tensor_apply_kernelINS1_18TensorListMetadataILi2EEENS1_21BinaryOpScalarFunctorIN3c107complexIdEELi2ELi1ELi1EEEJNS1_13power_functorIS8_EES8_EEEvT_T0_DpT1_.num_agpr, max(0, .L_ZN2at6native12_GLOBAL__N_14pow_IdEEN3c107complexIT_EES6_S6_.num_agpr)
	.set _ZN2at6native12_GLOBAL__N_125multi_tensor_apply_kernelINS1_18TensorListMetadataILi2EEENS1_21BinaryOpScalarFunctorIN3c107complexIdEELi2ELi1ELi1EEEJNS1_13power_functorIS8_EES8_EEEvT_T0_DpT1_.numbered_sgpr, max(48, .L_ZN2at6native12_GLOBAL__N_14pow_IdEEN3c107complexIT_EES6_S6_.numbered_sgpr)
	.set _ZN2at6native12_GLOBAL__N_125multi_tensor_apply_kernelINS1_18TensorListMetadataILi2EEENS1_21BinaryOpScalarFunctorIN3c107complexIdEELi2ELi1ELi1EEEJNS1_13power_functorIS8_EES8_EEEvT_T0_DpT1_.num_named_barrier, max(0, .L_ZN2at6native12_GLOBAL__N_14pow_IdEEN3c107complexIT_EES6_S6_.num_named_barrier)
	.set _ZN2at6native12_GLOBAL__N_125multi_tensor_apply_kernelINS1_18TensorListMetadataILi2EEENS1_21BinaryOpScalarFunctorIN3c107complexIdEELi2ELi1ELi1EEEJNS1_13power_functorIS8_EES8_EEEvT_T0_DpT1_.private_seg_size, 0+max(.L_ZN2at6native12_GLOBAL__N_14pow_IdEEN3c107complexIT_EES6_S6_.private_seg_size)
	.set _ZN2at6native12_GLOBAL__N_125multi_tensor_apply_kernelINS1_18TensorListMetadataILi2EEENS1_21BinaryOpScalarFunctorIN3c107complexIdEELi2ELi1ELi1EEEJNS1_13power_functorIS8_EES8_EEEvT_T0_DpT1_.uses_vcc, or(1, .L_ZN2at6native12_GLOBAL__N_14pow_IdEEN3c107complexIT_EES6_S6_.uses_vcc)
	.set _ZN2at6native12_GLOBAL__N_125multi_tensor_apply_kernelINS1_18TensorListMetadataILi2EEENS1_21BinaryOpScalarFunctorIN3c107complexIdEELi2ELi1ELi1EEEJNS1_13power_functorIS8_EES8_EEEvT_T0_DpT1_.uses_flat_scratch, or(0, .L_ZN2at6native12_GLOBAL__N_14pow_IdEEN3c107complexIT_EES6_S6_.uses_flat_scratch)
	.set _ZN2at6native12_GLOBAL__N_125multi_tensor_apply_kernelINS1_18TensorListMetadataILi2EEENS1_21BinaryOpScalarFunctorIN3c107complexIdEELi2ELi1ELi1EEEJNS1_13power_functorIS8_EES8_EEEvT_T0_DpT1_.has_dyn_sized_stack, or(0, .L_ZN2at6native12_GLOBAL__N_14pow_IdEEN3c107complexIT_EES6_S6_.has_dyn_sized_stack)
	.set _ZN2at6native12_GLOBAL__N_125multi_tensor_apply_kernelINS1_18TensorListMetadataILi2EEENS1_21BinaryOpScalarFunctorIN3c107complexIdEELi2ELi1ELi1EEEJNS1_13power_functorIS8_EES8_EEEvT_T0_DpT1_.has_recursion, or(0, .L_ZN2at6native12_GLOBAL__N_14pow_IdEEN3c107complexIT_EES6_S6_.has_recursion)
	.set _ZN2at6native12_GLOBAL__N_125multi_tensor_apply_kernelINS1_18TensorListMetadataILi2EEENS1_21BinaryOpScalarFunctorIN3c107complexIdEELi2ELi1ELi1EEEJNS1_13power_functorIS8_EES8_EEEvT_T0_DpT1_.has_indirect_call, or(0, .L_ZN2at6native12_GLOBAL__N_14pow_IdEEN3c107complexIT_EES6_S6_.has_indirect_call)
	.section	.AMDGPU.csdata,"",@progbits
; Kernel info:
; codeLenInByte = 1848
; TotalNumSgprs: 50
; NumVgprs: 74
; ScratchSize: 0
; MemoryBound: 1
; FloatMode: 240
; IeeeMode: 1
; LDSByteSize: 0 bytes/workgroup (compile time only)
; SGPRBlocks: 0
; VGPRBlocks: 9
; NumSGPRsForWavesPerEU: 50
; NumVGPRsForWavesPerEU: 74
; Occupancy: 16
; WaveLimiterHint : 0
; COMPUTE_PGM_RSRC2:SCRATCH_EN: 0
; COMPUTE_PGM_RSRC2:USER_SGPR: 2
; COMPUTE_PGM_RSRC2:TRAP_HANDLER: 0
; COMPUTE_PGM_RSRC2:TGID_X_EN: 1
; COMPUTE_PGM_RSRC2:TGID_Y_EN: 0
; COMPUTE_PGM_RSRC2:TGID_Z_EN: 0
; COMPUTE_PGM_RSRC2:TIDIG_COMP_CNT: 0
	.section	.text._ZN2at6native12_GLOBAL__N_125multi_tensor_apply_kernelINS1_18TensorListMetadataILi2EEENS1_21BinaryOpScalarFunctorIN3c107complexIfEELi2ELi1ELi1EEEJNS1_13power_functorIS8_EES8_EEEvT_T0_DpT1_,"axG",@progbits,_ZN2at6native12_GLOBAL__N_125multi_tensor_apply_kernelINS1_18TensorListMetadataILi2EEENS1_21BinaryOpScalarFunctorIN3c107complexIfEELi2ELi1ELi1EEEJNS1_13power_functorIS8_EES8_EEEvT_T0_DpT1_,comdat
	.globl	_ZN2at6native12_GLOBAL__N_125multi_tensor_apply_kernelINS1_18TensorListMetadataILi2EEENS1_21BinaryOpScalarFunctorIN3c107complexIfEELi2ELi1ELi1EEEJNS1_13power_functorIS8_EES8_EEEvT_T0_DpT1_ ; -- Begin function _ZN2at6native12_GLOBAL__N_125multi_tensor_apply_kernelINS1_18TensorListMetadataILi2EEENS1_21BinaryOpScalarFunctorIN3c107complexIfEELi2ELi1ELi1EEEJNS1_13power_functorIS8_EES8_EEEvT_T0_DpT1_
	.p2align	8
	.type	_ZN2at6native12_GLOBAL__N_125multi_tensor_apply_kernelINS1_18TensorListMetadataILi2EEENS1_21BinaryOpScalarFunctorIN3c107complexIfEELi2ELi1ELi1EEEJNS1_13power_functorIS8_EES8_EEEvT_T0_DpT1_,@function
_ZN2at6native12_GLOBAL__N_125multi_tensor_apply_kernelINS1_18TensorListMetadataILi2EEENS1_21BinaryOpScalarFunctorIN3c107complexIfEELi2ELi1ELi1EEEJNS1_13power_functorIS8_EES8_EEEvT_T0_DpT1_: ; @_ZN2at6native12_GLOBAL__N_125multi_tensor_apply_kernelINS1_18TensorListMetadataILi2EEENS1_21BinaryOpScalarFunctorIN3c107complexIfEELi2ELi1ELi1EEEJNS1_13power_functorIS8_EES8_EEEvT_T0_DpT1_
; %bb.0:
	s_mov_b64 s[16:17], s[0:1]
	s_mov_b32 s0, ttmp9
	s_load_u8 s6, s[16:17], ttmp9 offset:0x600
	s_mov_b32 s1, 0
	v_mov_b32_e32 v23, v0
	s_mul_u64 s[2:3], s[0:1], 3
	s_add_nc_u64 s[4:5], s[16:17], s[0:1]
	s_mov_b32 s13, s1
	s_add_nc_u64 s[2:3], s[4:5], s[2:3]
	s_mov_b32 s32, 16
	s_load_b32 s2, s[2:3], 0x740
	s_wait_kmcnt 0x0
	s_lshl_b32 s0, s6, 3
	s_clause 0x3
	s_load_b64 s[4:5], s[16:17], s0 offset:0x0
	s_load_b64 s[6:7], s[16:17], s0 offset:0x200
	;; [unrolled: 1-line block ×3, first 2 shown]
	s_load_b64 s[22:23], s[16:17], 0xc50
	s_ashr_i32 s3, s2, 31
	s_delay_alu instid0(SALU_CYCLE_1)
	s_lshl_b64 s[10:11], s[2:3], 19
	s_lshl_b64 s[2:3], s[2:3], 16
	s_wait_kmcnt 0x0
	s_add_nc_u64 s[24:25], s[4:5], s[10:11]
	s_add_nc_u64 s[26:27], s[6:7], s[10:11]
	s_and_b32 s4, s8, 3
	s_and_b32 s12, s26, 31
	s_mov_b32 s5, s1
	s_and_b32 s0, s24, 31
	s_or_b64 s[4:5], s[12:13], s[4:5]
	s_sub_nc_u64 s[28:29], s[8:9], s[2:3]
	s_or_b64 s[0:1], s[4:5], s[0:1]
	s_delay_alu instid0(SALU_CYCLE_1)
	s_cmp_eq_u64 s[0:1], 0
	s_mov_b32 s0, -1
	s_cbranch_scc1 .LBB69_19
; %bb.1:
	v_cmp_lt_i64_e64 s0, s[28:29], 1
	s_and_b32 vcc_lo, exec_lo, s0
	s_cbranch_vccnz .LBB69_18
; %bb.2:
	s_load_b32 s0, s[16:17], 0xc64
	v_cmp_gt_i64_e64 s1, 0x10000, s[28:29]
	v_mov_b32_e32 v30, 0
	v_cmp_gt_u64_e64 s2, 0x10000, s[28:29]
	s_mov_b64 s[34:35], src_private_base
	s_mov_b32 s37, 0
	s_mov_b64 s[42:43], 0
	v_mov_b32_e32 v31, v30
	s_and_b32 s1, s1, exec_lo
	s_cselect_b32 s39, s29, 0
	s_cselect_b32 s38, s28, 0x10000
	s_wait_kmcnt 0x0
	s_and_b32 s33, s0, 0xffff
	s_and_b32 s0, s2, exec_lo
	s_cselect_b32 s41, s29, 0
	s_cselect_b32 s40, s28, 0x10000
	s_lshl_b32 s34, s33, 1
	s_mul_i32 s46, s33, 3
	s_lshl_b32 s36, s33, 2
	s_branch .LBB69_4
.LBB69_3:                               ;   in Loop: Header=BB69_4 Depth=1
	s_wait_alu 0xfffe
	s_or_b32 exec_lo, exec_lo, s0
	s_add_nc_u64 s[42:43], s[42:43], s[36:37]
	s_wait_alu 0xfffe
	v_cmp_lt_i64_e64 s0, s[42:43], s[38:39]
	s_and_b32 vcc_lo, exec_lo, s0
	s_wait_alu 0xfffe
	s_cbranch_vccz .LBB69_18
.LBB69_4:                               ; =>This Inner Loop Header: Depth=1
	v_add_co_u32 v36, s0, s42, v23
	s_wait_alu 0xf1ff
	v_add_co_ci_u32_e64 v37, null, s43, 0, s0
	v_dual_mov_b32 v29, 0 :: v_dual_mov_b32 v28, 0
	s_delay_alu instid0(VALU_DEP_2)
	v_cmp_gt_u64_e64 s21, s[40:41], v[36:37]
	s_and_saveexec_b32 s0, s21
	s_cbranch_execz .LBB69_6
; %bb.5:                                ;   in Loop: Header=BB69_4 Depth=1
	v_lshlrev_b64_e32 v[0:1], 3, v[36:37]
	s_delay_alu instid0(VALU_DEP_1) | instskip(SKIP_1) | instid1(VALU_DEP_2)
	v_add_co_u32 v0, vcc_lo, s24, v0
	s_wait_alu 0xfffd
	v_add_co_ci_u32_e64 v1, null, s25, v1, vcc_lo
	global_load_b64 v[28:29], v[0:1], off
.LBB69_6:                               ;   in Loop: Header=BB69_4 Depth=1
	s_wait_alu 0xfffe
	s_or_b32 exec_lo, exec_lo, s0
	v_add_co_u32 v34, vcc_lo, v36, s33
	s_wait_alu 0xfffd
	v_add_co_ci_u32_e64 v35, null, 0, v37, vcc_lo
	v_dual_mov_b32 v27, 0 :: v_dual_mov_b32 v26, 0
	s_delay_alu instid0(VALU_DEP_2)
	v_cmp_gt_u64_e64 s20, s[40:41], v[34:35]
	s_and_saveexec_b32 s0, s20
	s_cbranch_execz .LBB69_8
; %bb.7:                                ;   in Loop: Header=BB69_4 Depth=1
	v_lshlrev_b64_e32 v[0:1], 3, v[34:35]
	s_delay_alu instid0(VALU_DEP_1) | instskip(SKIP_1) | instid1(VALU_DEP_2)
	v_add_co_u32 v0, vcc_lo, s24, v0
	s_wait_alu 0xfffd
	v_add_co_ci_u32_e64 v1, null, s25, v1, vcc_lo
	global_load_b64 v[26:27], v[0:1], off
.LBB69_8:                               ;   in Loop: Header=BB69_4 Depth=1
	s_wait_alu 0xfffe
	s_or_b32 exec_lo, exec_lo, s0
	v_add_co_u32 v32, vcc_lo, v36, s34
	s_wait_alu 0xfffd
	v_add_co_ci_u32_e64 v33, null, 0, v37, vcc_lo
	v_mov_b32_e32 v24, 0
	v_mov_b32_e32 v25, 0
	s_delay_alu instid0(VALU_DEP_3)
	v_cmp_gt_u64_e64 s19, s[40:41], v[32:33]
	s_and_saveexec_b32 s0, s19
	s_cbranch_execz .LBB69_10
; %bb.9:                                ;   in Loop: Header=BB69_4 Depth=1
	v_lshlrev_b64_e32 v[0:1], 3, v[32:33]
	s_delay_alu instid0(VALU_DEP_1) | instskip(SKIP_1) | instid1(VALU_DEP_2)
	v_add_co_u32 v0, vcc_lo, s24, v0
	s_wait_alu 0xfffd
	v_add_co_ci_u32_e64 v1, null, s25, v1, vcc_lo
	global_load_b64 v[24:25], v[0:1], off
.LBB69_10:                              ;   in Loop: Header=BB69_4 Depth=1
	s_wait_alu 0xfffe
	s_or_b32 exec_lo, exec_lo, s0
	v_add_co_u32 v0, vcc_lo, v36, s46
	s_wait_alu 0xfffd
	v_add_co_ci_u32_e64 v1, null, 0, v37, vcc_lo
	scratch_store_b64 off, v[30:31], off
	s_getpc_b64 s[44:45]
	s_wait_alu 0xfffe
	s_sext_i32_i16 s45, s45
	s_add_co_u32 s44, s44, _ZN2at6native12_GLOBAL__N_14pow_IfEEN3c107complexIT_EES6_S6_@rel32@lo+12
	s_wait_alu 0xfffe
	s_add_co_ci_u32 s45, s45, _ZN2at6native12_GLOBAL__N_14pow_IfEEN3c107complexIT_EES6_S6_@rel32@hi+24
	v_lshlrev_b64_e32 v[38:39], 3, v[0:1]
	v_cmp_gt_u64_e64 s18, s[40:41], v[0:1]
	s_delay_alu instid0(VALU_DEP_2) | instskip(SKIP_1) | instid1(VALU_DEP_3)
	v_add_co_u32 v2, vcc_lo, s24, v38
	s_wait_alu 0xfffd
	v_add_co_ci_u32_e64 v3, null, s25, v39, vcc_lo
	s_wait_alu 0xf1ff
	s_delay_alu instid0(VALU_DEP_2) | instskip(SKIP_1) | instid1(VALU_DEP_3)
	v_cndmask_b32_e64 v0, 0, v2, s18
	v_mov_b32_e32 v2, s22
	v_cndmask_b32_e64 v1, s35, v3, s18
	v_mov_b32_e32 v3, s23
	flat_load_b64 v[0:1], v[0:1]
	s_wait_alu 0xfffe
	s_swappc_b64 s[30:31], s[44:45]
	scratch_store_b64 off, v[0:1], off
	s_and_saveexec_b32 s47, s21
	s_cbranch_execnz .LBB69_14
; %bb.11:                               ;   in Loop: Header=BB69_4 Depth=1
	s_wait_alu 0xfffe
	s_or_b32 exec_lo, exec_lo, s47
	s_and_saveexec_b32 s21, s20
	s_cbranch_execnz .LBB69_15
.LBB69_12:                              ;   in Loop: Header=BB69_4 Depth=1
	s_wait_alu 0xfffe
	s_or_b32 exec_lo, exec_lo, s21
	s_and_saveexec_b32 s20, s19
	s_cbranch_execnz .LBB69_16
.LBB69_13:                              ;   in Loop: Header=BB69_4 Depth=1
	s_wait_alu 0xfffe
	s_or_b32 exec_lo, exec_lo, s20
	s_and_saveexec_b32 s0, s18
	s_cbranch_execz .LBB69_3
	s_branch .LBB69_17
.LBB69_14:                              ;   in Loop: Header=BB69_4 Depth=1
	v_dual_mov_b32 v0, v28 :: v_dual_mov_b32 v1, v29
	v_dual_mov_b32 v2, s22 :: v_dual_mov_b32 v3, s23
	s_wait_alu 0xfffe
	s_swappc_b64 s[30:31], s[44:45]
	v_lshlrev_b64_e32 v[2:3], 3, v[36:37]
	s_delay_alu instid0(VALU_DEP_1) | instskip(SKIP_1) | instid1(VALU_DEP_2)
	v_add_co_u32 v2, vcc_lo, s26, v2
	s_wait_alu 0xfffd
	v_add_co_ci_u32_e64 v3, null, s27, v3, vcc_lo
	global_store_b64 v[2:3], v[0:1], off
	s_or_b32 exec_lo, exec_lo, s47
	s_and_saveexec_b32 s21, s20
	s_cbranch_execz .LBB69_12
.LBB69_15:                              ;   in Loop: Header=BB69_4 Depth=1
	v_dual_mov_b32 v0, v26 :: v_dual_mov_b32 v1, v27
	v_dual_mov_b32 v2, s22 :: v_dual_mov_b32 v3, s23
	s_getpc_b64 s[0:1]
	s_wait_alu 0xfffe
	s_sext_i32_i16 s1, s1
	s_add_co_u32 s0, s0, _ZN2at6native12_GLOBAL__N_14pow_IfEEN3c107complexIT_EES6_S6_@rel32@lo+12
	s_wait_alu 0xfffe
	s_add_co_ci_u32 s1, s1, _ZN2at6native12_GLOBAL__N_14pow_IfEEN3c107complexIT_EES6_S6_@rel32@hi+24
	s_wait_alu 0xfffe
	s_swappc_b64 s[30:31], s[0:1]
	v_lshlrev_b64_e32 v[2:3], 3, v[34:35]
	s_delay_alu instid0(VALU_DEP_1) | instskip(SKIP_1) | instid1(VALU_DEP_2)
	v_add_co_u32 v2, vcc_lo, s26, v2
	s_wait_alu 0xfffd
	v_add_co_ci_u32_e64 v3, null, s27, v3, vcc_lo
	global_store_b64 v[2:3], v[0:1], off
	s_or_b32 exec_lo, exec_lo, s21
	s_and_saveexec_b32 s20, s19
	s_cbranch_execz .LBB69_13
.LBB69_16:                              ;   in Loop: Header=BB69_4 Depth=1
	v_dual_mov_b32 v0, v24 :: v_dual_mov_b32 v1, v25
	v_dual_mov_b32 v2, s22 :: v_dual_mov_b32 v3, s23
	s_getpc_b64 s[0:1]
	s_wait_alu 0xfffe
	s_sext_i32_i16 s1, s1
	s_add_co_u32 s0, s0, _ZN2at6native12_GLOBAL__N_14pow_IfEEN3c107complexIT_EES6_S6_@rel32@lo+12
	s_wait_alu 0xfffe
	s_add_co_ci_u32 s1, s1, _ZN2at6native12_GLOBAL__N_14pow_IfEEN3c107complexIT_EES6_S6_@rel32@hi+24
	s_wait_alu 0xfffe
	s_swappc_b64 s[30:31], s[0:1]
	v_lshlrev_b64_e32 v[2:3], 3, v[32:33]
	s_delay_alu instid0(VALU_DEP_1) | instskip(SKIP_1) | instid1(VALU_DEP_2)
	v_add_co_u32 v2, vcc_lo, s26, v2
	s_wait_alu 0xfffd
	v_add_co_ci_u32_e64 v3, null, s27, v3, vcc_lo
	global_store_b64 v[2:3], v[0:1], off
	s_or_b32 exec_lo, exec_lo, s20
	s_and_saveexec_b32 s0, s18
	s_cbranch_execz .LBB69_3
.LBB69_17:                              ;   in Loop: Header=BB69_4 Depth=1
	scratch_load_b64 v[0:1], off, off
	v_add_co_u32 v2, vcc_lo, s26, v38
	s_wait_alu 0xfffd
	v_add_co_ci_u32_e64 v3, null, s27, v39, vcc_lo
	s_wait_loadcnt 0x0
	global_store_b64 v[2:3], v[0:1], off
	s_branch .LBB69_3
.LBB69_18:
	s_mov_b32 s0, 0
.LBB69_19:
	s_wait_alu 0xfffe
	s_and_not1_b32 vcc_lo, exec_lo, s0
	s_wait_alu 0xfffe
	s_cbranch_vccnz .LBB69_23
; %bb.20:
	v_cmp_gt_i64_e64 s0, 0x10000, s[28:29]
	v_dual_mov_b32 v1, 0 :: v_dual_lshlrev_b32 v0, 2, v23
	s_mov_b32 s21, 0
	s_and_b32 s0, s0, exec_lo
	s_cselect_b32 s19, s29, 0
	s_cselect_b32 s18, s28, 0x10000
	s_mov_b32 s0, exec_lo
	s_wait_alu 0xfffe
	v_cmpx_gt_i64_e64 s[18:19], v[0:1]
	s_cbranch_execz .LBB69_23
; %bb.21:
	s_load_b32 s0, s[16:17], 0xc64
	v_dual_mov_b32 v24, v1 :: v_dual_lshlrev_b32 v33, 5, v23
	s_mov_b32 s17, s21
	s_wait_kmcnt 0x0
	s_and_b32 s16, s0, 0xffff
	s_wait_alu 0xfffe
	s_lshl_b32 s20, s16, 5
.LBB69_22:                              ; =>This Inner Loop Header: Depth=1
	v_add_co_u32 v0, s0, s24, v33
	s_wait_alu 0xf1ff
	v_add_co_ci_u32_e64 v1, null, s25, 0, s0
	s_getpc_b64 s[28:29]
	s_wait_alu 0xfffe
	s_sext_i32_i16 s29, s29
	s_add_co_u32 s28, s28, _ZN2at6native12_GLOBAL__N_14pow_IfEEN3c107complexIT_EES6_S6_@rel32@lo+12
	s_wait_alu 0xfffe
	s_add_co_ci_u32 s29, s29, _ZN2at6native12_GLOBAL__N_14pow_IfEEN3c107complexIT_EES6_S6_@rel32@hi+24
	s_clause 0x1
	global_load_b128 v[25:28], v[0:1], off
	global_load_b128 v[29:32], v[0:1], off offset:16
	v_dual_mov_b32 v2, s22 :: v_dual_mov_b32 v3, s23
	s_wait_loadcnt 0x1
	v_dual_mov_b32 v0, v25 :: v_dual_mov_b32 v1, v26
	s_wait_alu 0xfffe
	s_swappc_b64 s[30:31], s[28:29]
	s_delay_alu instid0(VALU_DEP_1) | instskip(SKIP_4) | instid1(VALU_DEP_2)
	v_dual_mov_b32 v25, v0 :: v_dual_mov_b32 v26, v1
	v_dual_mov_b32 v0, v27 :: v_dual_mov_b32 v1, v28
	;; [unrolled: 1-line block ×3, first 2 shown]
	s_wait_alu 0xfffe
	s_swappc_b64 s[30:31], s[28:29]
	v_dual_mov_b32 v27, v0 :: v_dual_mov_b32 v28, v1
	v_dual_mov_b32 v0, v29 :: v_dual_mov_b32 v1, v30
	;; [unrolled: 1-line block ×3, first 2 shown]
	s_wait_alu 0xfffe
	s_swappc_b64 s[30:31], s[28:29]
	s_delay_alu instid0(VALU_DEP_2)
	v_dual_mov_b32 v29, v0 :: v_dual_mov_b32 v30, v1
	v_dual_mov_b32 v0, v31 :: v_dual_mov_b32 v1, v32
	;; [unrolled: 1-line block ×3, first 2 shown]
	s_wait_alu 0xfffe
	s_swappc_b64 s[30:31], s[28:29]
	v_add_co_u32 v23, vcc_lo, v23, s16
	s_wait_alu 0xfffd
	v_add_co_ci_u32_e64 v24, null, 0, v24, vcc_lo
	v_dual_mov_b32 v31, v0 :: v_dual_mov_b32 v32, v1
	v_add_co_u32 v2, s0, s26, v33
	s_delay_alu instid0(VALU_DEP_3)
	v_lshlrev_b64_e32 v[0:1], 2, v[23:24]
	s_wait_alu 0xf1ff
	v_add_co_ci_u32_e64 v3, null, s27, 0, s0
	s_add_nc_u64 s[26:27], s[26:27], s[20:21]
	s_add_nc_u64 s[24:25], s[24:25], s[20:21]
	scratch_store_b64 off, v[31:32], off
	v_cmp_le_i64_e32 vcc_lo, s[18:19], v[0:1]
	s_clause 0x1
	global_store_b128 v[2:3], v[25:28], off
	global_store_b128 v[2:3], v[29:32], off offset:16
	s_or_b32 s17, vcc_lo, s17
	s_wait_alu 0xfffe
	s_and_not1_b32 exec_lo, exec_lo, s17
	s_cbranch_execnz .LBB69_22
.LBB69_23:
	s_endpgm
	.section	.rodata,"a",@progbits
	.p2align	6, 0x0
	.amdhsa_kernel _ZN2at6native12_GLOBAL__N_125multi_tensor_apply_kernelINS1_18TensorListMetadataILi2EEENS1_21BinaryOpScalarFunctorIN3c107complexIfEELi2ELi1ELi1EEEJNS1_13power_functorIS8_EES8_EEEvT_T0_DpT1_
		.amdhsa_group_segment_fixed_size 0
		.amdhsa_private_segment_fixed_size 16
		.amdhsa_kernarg_size 3416
		.amdhsa_user_sgpr_count 2
		.amdhsa_user_sgpr_dispatch_ptr 0
		.amdhsa_user_sgpr_queue_ptr 0
		.amdhsa_user_sgpr_kernarg_segment_ptr 1
		.amdhsa_user_sgpr_dispatch_id 0
		.amdhsa_user_sgpr_private_segment_size 0
		.amdhsa_wavefront_size32 1
		.amdhsa_uses_dynamic_stack 0
		.amdhsa_enable_private_segment 1
		.amdhsa_system_sgpr_workgroup_id_x 1
		.amdhsa_system_sgpr_workgroup_id_y 0
		.amdhsa_system_sgpr_workgroup_id_z 0
		.amdhsa_system_sgpr_workgroup_info 0
		.amdhsa_system_vgpr_workitem_id 0
		.amdhsa_next_free_vgpr 40
		.amdhsa_next_free_sgpr 48
		.amdhsa_reserve_vcc 1
		.amdhsa_float_round_mode_32 0
		.amdhsa_float_round_mode_16_64 0
		.amdhsa_float_denorm_mode_32 3
		.amdhsa_float_denorm_mode_16_64 3
		.amdhsa_fp16_overflow 0
		.amdhsa_workgroup_processor_mode 1
		.amdhsa_memory_ordered 1
		.amdhsa_forward_progress 1
		.amdhsa_inst_pref_size 13
		.amdhsa_round_robin_scheduling 0
		.amdhsa_exception_fp_ieee_invalid_op 0
		.amdhsa_exception_fp_denorm_src 0
		.amdhsa_exception_fp_ieee_div_zero 0
		.amdhsa_exception_fp_ieee_overflow 0
		.amdhsa_exception_fp_ieee_underflow 0
		.amdhsa_exception_fp_ieee_inexact 0
		.amdhsa_exception_int_div_zero 0
	.end_amdhsa_kernel
	.section	.text._ZN2at6native12_GLOBAL__N_125multi_tensor_apply_kernelINS1_18TensorListMetadataILi2EEENS1_21BinaryOpScalarFunctorIN3c107complexIfEELi2ELi1ELi1EEEJNS1_13power_functorIS8_EES8_EEEvT_T0_DpT1_,"axG",@progbits,_ZN2at6native12_GLOBAL__N_125multi_tensor_apply_kernelINS1_18TensorListMetadataILi2EEENS1_21BinaryOpScalarFunctorIN3c107complexIfEELi2ELi1ELi1EEEJNS1_13power_functorIS8_EES8_EEEvT_T0_DpT1_,comdat
.Lfunc_end69:
	.size	_ZN2at6native12_GLOBAL__N_125multi_tensor_apply_kernelINS1_18TensorListMetadataILi2EEENS1_21BinaryOpScalarFunctorIN3c107complexIfEELi2ELi1ELi1EEEJNS1_13power_functorIS8_EES8_EEEvT_T0_DpT1_, .Lfunc_end69-_ZN2at6native12_GLOBAL__N_125multi_tensor_apply_kernelINS1_18TensorListMetadataILi2EEENS1_21BinaryOpScalarFunctorIN3c107complexIfEELi2ELi1ELi1EEEJNS1_13power_functorIS8_EES8_EEEvT_T0_DpT1_
                                        ; -- End function
	.set _ZN2at6native12_GLOBAL__N_125multi_tensor_apply_kernelINS1_18TensorListMetadataILi2EEENS1_21BinaryOpScalarFunctorIN3c107complexIfEELi2ELi1ELi1EEEJNS1_13power_functorIS8_EES8_EEEvT_T0_DpT1_.num_vgpr, max(40, .L_ZN2at6native12_GLOBAL__N_14pow_IfEEN3c107complexIT_EES6_S6_.num_vgpr)
	.set _ZN2at6native12_GLOBAL__N_125multi_tensor_apply_kernelINS1_18TensorListMetadataILi2EEENS1_21BinaryOpScalarFunctorIN3c107complexIfEELi2ELi1ELi1EEEJNS1_13power_functorIS8_EES8_EEEvT_T0_DpT1_.num_agpr, max(0, .L_ZN2at6native12_GLOBAL__N_14pow_IfEEN3c107complexIT_EES6_S6_.num_agpr)
	.set _ZN2at6native12_GLOBAL__N_125multi_tensor_apply_kernelINS1_18TensorListMetadataILi2EEENS1_21BinaryOpScalarFunctorIN3c107complexIfEELi2ELi1ELi1EEEJNS1_13power_functorIS8_EES8_EEEvT_T0_DpT1_.numbered_sgpr, max(48, .L_ZN2at6native12_GLOBAL__N_14pow_IfEEN3c107complexIT_EES6_S6_.numbered_sgpr)
	.set _ZN2at6native12_GLOBAL__N_125multi_tensor_apply_kernelINS1_18TensorListMetadataILi2EEENS1_21BinaryOpScalarFunctorIN3c107complexIfEELi2ELi1ELi1EEEJNS1_13power_functorIS8_EES8_EEEvT_T0_DpT1_.num_named_barrier, max(0, .L_ZN2at6native12_GLOBAL__N_14pow_IfEEN3c107complexIT_EES6_S6_.num_named_barrier)
	.set _ZN2at6native12_GLOBAL__N_125multi_tensor_apply_kernelINS1_18TensorListMetadataILi2EEENS1_21BinaryOpScalarFunctorIN3c107complexIfEELi2ELi1ELi1EEEJNS1_13power_functorIS8_EES8_EEEvT_T0_DpT1_.private_seg_size, 16+max(.L_ZN2at6native12_GLOBAL__N_14pow_IfEEN3c107complexIT_EES6_S6_.private_seg_size)
	.set _ZN2at6native12_GLOBAL__N_125multi_tensor_apply_kernelINS1_18TensorListMetadataILi2EEENS1_21BinaryOpScalarFunctorIN3c107complexIfEELi2ELi1ELi1EEEJNS1_13power_functorIS8_EES8_EEEvT_T0_DpT1_.uses_vcc, or(1, .L_ZN2at6native12_GLOBAL__N_14pow_IfEEN3c107complexIT_EES6_S6_.uses_vcc)
	.set _ZN2at6native12_GLOBAL__N_125multi_tensor_apply_kernelINS1_18TensorListMetadataILi2EEENS1_21BinaryOpScalarFunctorIN3c107complexIfEELi2ELi1ELi1EEEJNS1_13power_functorIS8_EES8_EEEvT_T0_DpT1_.uses_flat_scratch, or(0, .L_ZN2at6native12_GLOBAL__N_14pow_IfEEN3c107complexIT_EES6_S6_.uses_flat_scratch)
	.set _ZN2at6native12_GLOBAL__N_125multi_tensor_apply_kernelINS1_18TensorListMetadataILi2EEENS1_21BinaryOpScalarFunctorIN3c107complexIfEELi2ELi1ELi1EEEJNS1_13power_functorIS8_EES8_EEEvT_T0_DpT1_.has_dyn_sized_stack, or(0, .L_ZN2at6native12_GLOBAL__N_14pow_IfEEN3c107complexIT_EES6_S6_.has_dyn_sized_stack)
	.set _ZN2at6native12_GLOBAL__N_125multi_tensor_apply_kernelINS1_18TensorListMetadataILi2EEENS1_21BinaryOpScalarFunctorIN3c107complexIfEELi2ELi1ELi1EEEJNS1_13power_functorIS8_EES8_EEEvT_T0_DpT1_.has_recursion, or(0, .L_ZN2at6native12_GLOBAL__N_14pow_IfEEN3c107complexIT_EES6_S6_.has_recursion)
	.set _ZN2at6native12_GLOBAL__N_125multi_tensor_apply_kernelINS1_18TensorListMetadataILi2EEENS1_21BinaryOpScalarFunctorIN3c107complexIfEELi2ELi1ELi1EEEJNS1_13power_functorIS8_EES8_EEEvT_T0_DpT1_.has_indirect_call, or(0, .L_ZN2at6native12_GLOBAL__N_14pow_IfEEN3c107complexIT_EES6_S6_.has_indirect_call)
	.section	.AMDGPU.csdata,"",@progbits
; Kernel info:
; codeLenInByte = 1648
; TotalNumSgprs: 50
; NumVgprs: 40
; ScratchSize: 16
; MemoryBound: 0
; FloatMode: 240
; IeeeMode: 1
; LDSByteSize: 0 bytes/workgroup (compile time only)
; SGPRBlocks: 0
; VGPRBlocks: 4
; NumSGPRsForWavesPerEU: 50
; NumVGPRsForWavesPerEU: 40
; Occupancy: 16
; WaveLimiterHint : 0
; COMPUTE_PGM_RSRC2:SCRATCH_EN: 1
; COMPUTE_PGM_RSRC2:USER_SGPR: 2
; COMPUTE_PGM_RSRC2:TRAP_HANDLER: 0
; COMPUTE_PGM_RSRC2:TGID_X_EN: 1
; COMPUTE_PGM_RSRC2:TGID_Y_EN: 0
; COMPUTE_PGM_RSRC2:TGID_Z_EN: 0
; COMPUTE_PGM_RSRC2:TIDIG_COMP_CNT: 0
	.section	.text._ZN2at6native12_GLOBAL__N_125multi_tensor_apply_kernelINS1_18TensorListMetadataILi2EEENS1_21BinaryOpScalarFunctorIN3c104HalfELi2ELi1ELi1EEEJNS1_13power_functorIfEEfEEEvT_T0_DpT1_,"axG",@progbits,_ZN2at6native12_GLOBAL__N_125multi_tensor_apply_kernelINS1_18TensorListMetadataILi2EEENS1_21BinaryOpScalarFunctorIN3c104HalfELi2ELi1ELi1EEEJNS1_13power_functorIfEEfEEEvT_T0_DpT1_,comdat
	.globl	_ZN2at6native12_GLOBAL__N_125multi_tensor_apply_kernelINS1_18TensorListMetadataILi2EEENS1_21BinaryOpScalarFunctorIN3c104HalfELi2ELi1ELi1EEEJNS1_13power_functorIfEEfEEEvT_T0_DpT1_ ; -- Begin function _ZN2at6native12_GLOBAL__N_125multi_tensor_apply_kernelINS1_18TensorListMetadataILi2EEENS1_21BinaryOpScalarFunctorIN3c104HalfELi2ELi1ELi1EEEJNS1_13power_functorIfEEfEEEvT_T0_DpT1_
	.p2align	8
	.type	_ZN2at6native12_GLOBAL__N_125multi_tensor_apply_kernelINS1_18TensorListMetadataILi2EEENS1_21BinaryOpScalarFunctorIN3c104HalfELi2ELi1ELi1EEEJNS1_13power_functorIfEEfEEEvT_T0_DpT1_,@function
_ZN2at6native12_GLOBAL__N_125multi_tensor_apply_kernelINS1_18TensorListMetadataILi2EEENS1_21BinaryOpScalarFunctorIN3c104HalfELi2ELi1ELi1EEEJNS1_13power_functorIfEEfEEEvT_T0_DpT1_: ; @_ZN2at6native12_GLOBAL__N_125multi_tensor_apply_kernelINS1_18TensorListMetadataILi2EEENS1_21BinaryOpScalarFunctorIN3c104HalfELi2ELi1ELi1EEEJNS1_13power_functorIfEEfEEEvT_T0_DpT1_
; %bb.0:
	s_load_u8 s9, s[0:1], ttmp9 offset:0x600
	s_mov_b32 s6, ttmp9
	s_mov_b32 s7, 0
	s_delay_alu instid0(SALU_CYCLE_1)
	s_mul_u64 s[2:3], s[6:7], 3
	s_add_nc_u64 s[4:5], s[0:1], s[6:7]
	s_mov_b32 s15, s7
	s_add_nc_u64 s[2:3], s[4:5], s[2:3]
	s_mov_b32 s17, s7
	s_load_b32 s8, s[2:3], 0x740
	s_wait_kmcnt 0x0
	s_lshl_b32 s6, s9, 3
	s_clause 0x3
	s_load_b64 s[2:3], s[0:1], s6 offset:0x0
	s_load_b64 s[4:5], s[0:1], s6 offset:0x200
	;; [unrolled: 1-line block ×3, first 2 shown]
	s_load_b32 s26, s[0:1], 0xc4c
	s_ashr_i32 s9, s8, 31
	s_delay_alu instid0(SALU_CYCLE_1)
	s_lshl_b64 s[10:11], s[8:9], 17
	s_lshl_b64 s[8:9], s[8:9], 16
	s_wait_kmcnt 0x0
	s_add_nc_u64 s[18:19], s[2:3], s[10:11]
	s_add_nc_u64 s[20:21], s[4:5], s[10:11]
	s_and_b32 s16, s12, 3
	s_and_b32 s14, s20, 7
	;; [unrolled: 1-line block ×3, first 2 shown]
	s_or_b64 s[14:15], s[14:15], s[16:17]
	s_sub_nc_u64 s[8:9], s[12:13], s[8:9]
	s_or_b64 s[6:7], s[14:15], s[6:7]
	s_delay_alu instid0(SALU_CYCLE_1)
	s_cmp_eq_u64 s[6:7], 0
	s_mov_b32 s6, -1
	s_cbranch_scc1 .LBB70_21
; %bb.1:
	v_cmp_lt_i64_e64 s6, s[8:9], 1
	s_and_b32 vcc_lo, exec_lo, s6
	s_cbranch_vccnz .LBB70_20
; %bb.2:
	s_load_b32 s6, s[0:1], 0xc5c
	v_dual_mov_b32 v10, 0 :: v_dual_lshlrev_b32 v9, 1, v0
	v_cmp_gt_i64_e64 s7, 0x10000, s[8:9]
	v_cmp_gt_u64_e64 s12, 0x10000, s[8:9]
	s_mov_b32 s13, 0
	v_add_co_u32 v1, s14, s2, v9
	s_delay_alu instid0(VALU_DEP_1)
	v_add_co_ci_u32_e64 v2, null, s3, 0, s14
	v_add_co_u32 v3, s14, s4, v9
	s_and_b32 s7, s7, exec_lo
	s_wait_alu 0xf1ff
	v_add_co_ci_u32_e64 v4, null, s5, 0, s14
	s_cselect_b32 s15, s9, 0
	s_cselect_b32 s14, s8, 0x10000
	s_mov_b32 s24, 0x3e76c4e1
	s_wait_kmcnt 0x0
	s_and_b32 s6, s6, 0xffff
	s_and_b32 s7, s12, exec_lo
	s_cselect_b32 s17, s9, 0
	s_cselect_b32 s16, s8, 0x10000
	s_mul_i32 s22, s6, 3
	s_lshl_b32 s12, s6, 2
	v_mad_co_u64_u32 v[7:8], null, s6, 6, v[9:10]
	v_add_co_u32 v14, s23, s12, v9
	v_add_co_u32 v9, s22, s22, v0
	s_wait_alu 0xf1ff
	v_add_co_ci_u32_e64 v10, null, 0, 0, s22
	v_add_co_u32 v13, s22, v0, s6
	v_add_co_u32 v5, vcc_lo, s2, v7
	v_add_co_ci_u32_e64 v15, null, 0, 0, s23
	s_delay_alu instid0(VALU_DEP_3)
	v_lshlrev_b32_e32 v21, 1, v13
	v_add_co_ci_u32_e64 v6, null, s3, v8, vcc_lo
	v_add_co_u32 v7, vcc_lo, s4, v7
	s_lshl_b32 s7, s6, 1
	s_wait_alu 0xfffd
	v_add_co_ci_u32_e64 v8, null, s5, v8, vcc_lo
	v_add_co_u32 v11, vcc_lo, s2, v14
	v_add_co_u32 v19, s2, s2, v21
	s_wait_alu 0xfffd
	v_add_co_ci_u32_e64 v12, null, s3, v15, vcc_lo
	v_add_co_u32 v14, vcc_lo, s4, v14
	s_wait_alu 0xfffe
	v_add_co_u32 v17, s7, s7, v0
	s_wait_alu 0xf1ff
	v_add_co_ci_u32_e64 v20, null, s3, 0, s2
	v_add_co_u32 v21, s2, s4, v21
	s_wait_alu 0xfffd
	v_add_co_ci_u32_e64 v15, null, s5, v15, vcc_lo
	v_add_co_ci_u32_e64 v16, null, 0, 0, s22
	v_add_co_ci_u32_e64 v18, null, 0, 0, s7
	s_wait_alu 0xf1ff
	v_add_co_ci_u32_e64 v22, null, s5, 0, s2
	s_lshl_b32 s7, s6, 3
	s_mov_b64 s[22:23], 0
	s_branch .LBB70_4
.LBB70_3:                               ;   in Loop: Header=BB70_4 Depth=1
	s_wait_alu 0xfffe
	s_or_b32 exec_lo, exec_lo, s5
	v_add_co_u32 v1, vcc_lo, v1, s7
	s_wait_alu 0xfffd
	v_add_co_ci_u32_e64 v2, null, 0, v2, vcc_lo
	v_add_co_u32 v3, vcc_lo, v3, s7
	s_wait_alu 0xfffd
	v_add_co_ci_u32_e64 v4, null, 0, v4, vcc_lo
	v_add_co_u32 v5, vcc_lo, v5, s7
	s_wait_alu 0xfffd
	v_add_co_ci_u32_e64 v6, null, 0, v6, vcc_lo
	v_add_co_u32 v7, vcc_lo, v7, s7
	s_wait_alu 0xfffd
	v_add_co_ci_u32_e64 v8, null, 0, v8, vcc_lo
	v_add_co_u32 v11, vcc_lo, v11, s7
	s_wait_alu 0xfffd
	v_add_co_ci_u32_e64 v12, null, 0, v12, vcc_lo
	v_add_co_u32 v14, vcc_lo, v14, s7
	s_add_nc_u64 s[22:23], s[22:23], s[12:13]
	s_wait_alu 0xfffd
	v_add_co_ci_u32_e64 v15, null, 0, v15, vcc_lo
	v_add_co_u32 v19, vcc_lo, v19, s7
	s_wait_alu 0xfffe
	v_cmp_lt_i64_e64 s2, s[22:23], s[14:15]
	s_wait_alu 0xfffd
	v_add_co_ci_u32_e64 v20, null, 0, v20, vcc_lo
	v_add_co_u32 v21, vcc_lo, v21, s7
	s_wait_alu 0xfffd
	v_add_co_ci_u32_e64 v22, null, 0, v22, vcc_lo
	s_and_b32 vcc_lo, exec_lo, s2
	s_wait_alu 0xfffe
	s_cbranch_vccz .LBB70_20
.LBB70_4:                               ; =>This Inner Loop Header: Depth=1
	s_wait_loadcnt 0x0
	s_wait_alu 0xfffe
	v_add_co_u32 v23, s2, v0, s22
	s_wait_alu 0xf1ff
	v_add_co_ci_u32_e64 v24, null, 0, s23, s2
	v_mov_b32_e32 v26, 0
	s_delay_alu instid0(VALU_DEP_2)
	v_cmp_gt_u64_e64 s4, s[16:17], v[23:24]
	s_and_saveexec_b32 s2, s4
	s_cbranch_execz .LBB70_6
; %bb.5:                                ;   in Loop: Header=BB70_4 Depth=1
	v_add_co_u32 v23, vcc_lo, v1, s10
	s_wait_alu 0xfffd
	v_add_co_ci_u32_e64 v24, null, s11, v2, vcc_lo
	global_load_u16 v26, v[23:24], off
.LBB70_6:                               ;   in Loop: Header=BB70_4 Depth=1
	s_wait_alu 0xfffe
	s_or_b32 exec_lo, exec_lo, s2
	v_add_co_u32 v23, vcc_lo, v13, s22
	s_wait_alu 0xfffd
	v_add_co_ci_u32_e64 v24, null, s23, v16, vcc_lo
	v_mov_b32_e32 v25, 0
	s_delay_alu instid0(VALU_DEP_2)
	v_cmp_gt_u64_e64 s3, s[16:17], v[23:24]
	v_mov_b32_e32 v24, 0
	s_and_saveexec_b32 s2, s3
	s_cbranch_execz .LBB70_8
; %bb.7:                                ;   in Loop: Header=BB70_4 Depth=1
	v_add_co_u32 v27, vcc_lo, v19, s10
	s_wait_alu 0xfffd
	v_add_co_ci_u32_e64 v28, null, s11, v20, vcc_lo
	global_load_u16 v25, v[27:28], off
.LBB70_8:                               ;   in Loop: Header=BB70_4 Depth=1
	s_wait_alu 0xfffe
	s_or_b32 exec_lo, exec_lo, s2
	v_add_co_u32 v27, vcc_lo, v17, s22
	s_wait_alu 0xfffd
	v_add_co_ci_u32_e64 v28, null, s23, v18, vcc_lo
	s_delay_alu instid0(VALU_DEP_1)
	v_cmp_gt_u64_e64 s2, s[16:17], v[27:28]
	s_and_saveexec_b32 s5, s2
	s_cbranch_execz .LBB70_10
; %bb.9:                                ;   in Loop: Header=BB70_4 Depth=1
	v_add_co_u32 v23, vcc_lo, v11, s10
	s_wait_alu 0xfffd
	v_add_co_ci_u32_e64 v24, null, s11, v12, vcc_lo
	global_load_u16 v24, v[23:24], off
.LBB70_10:                              ;   in Loop: Header=BB70_4 Depth=1
	s_wait_alu 0xfffe
	s_or_b32 exec_lo, exec_lo, s5
	v_add_co_u32 v27, vcc_lo, v9, s22
	s_wait_alu 0xfffd
	v_add_co_ci_u32_e64 v28, null, s23, v10, vcc_lo
	v_mov_b32_e32 v23, 0
	s_delay_alu instid0(VALU_DEP_2)
	v_cmp_gt_u64_e32 vcc_lo, s[16:17], v[27:28]
	s_and_saveexec_b32 s6, vcc_lo
	s_cbranch_execnz .LBB70_15
; %bb.11:                               ;   in Loop: Header=BB70_4 Depth=1
	s_wait_alu 0xfffe
	s_or_b32 exec_lo, exec_lo, s6
	s_and_saveexec_b32 s25, s4
	s_cbranch_execnz .LBB70_16
.LBB70_12:                              ;   in Loop: Header=BB70_4 Depth=1
	s_wait_alu 0xfffe
	s_or_b32 exec_lo, exec_lo, s25
	s_and_saveexec_b32 s25, s3
	s_cbranch_execnz .LBB70_17
.LBB70_13:                              ;   in Loop: Header=BB70_4 Depth=1
	s_wait_alu 0xfffe
	s_or_b32 exec_lo, exec_lo, s25
	s_and_saveexec_b32 s6, s2
	s_cbranch_execnz .LBB70_18
.LBB70_14:                              ;   in Loop: Header=BB70_4 Depth=1
	s_wait_alu 0xfffe
	s_or_b32 exec_lo, exec_lo, s6
	s_and_saveexec_b32 s5, vcc_lo
	s_cbranch_execz .LBB70_3
	s_branch .LBB70_19
.LBB70_15:                              ;   in Loop: Header=BB70_4 Depth=1
	v_add_co_u32 v27, s5, v5, s10
	s_wait_alu 0xf1ff
	v_add_co_ci_u32_e64 v28, null, s11, v6, s5
	global_load_u16 v23, v[27:28], off
	s_wait_alu 0xfffe
	s_or_b32 exec_lo, exec_lo, s6
	s_and_saveexec_b32 s25, s4
	s_cbranch_execz .LBB70_12
.LBB70_16:                              ;   in Loop: Header=BB70_4 Depth=1
	s_wait_loadcnt 0x0
	v_cmp_neq_f16_e64 s4, 1.0, v26
	v_cvt_f32_f16_e32 v26, v26
	s_wait_alu 0xf1ff
	s_delay_alu instid0(VALU_DEP_2) | instskip(NEXT) | instid1(VALU_DEP_1)
	v_cndmask_b32_e64 v28, 1.0, s26, s4
	v_cmp_neq_f32_e64 s4, 0, v28
	v_cmp_neq_f32_e64 s27, v28, |v28|
	s_wait_alu 0xf1ff
	s_delay_alu instid0(VALU_DEP_2) | instskip(NEXT) | instid1(VALU_DEP_1)
	v_cndmask_b32_e64 v29, 1.0, v26, s4
	v_cvt_f64_f32_e64 v[26:27], |v29|
	v_cmp_lt_f32_e64 s28, |v29|, 1.0
	v_cmp_eq_f32_e64 s6, 0, v29
	s_xor_b32 s27, s27, s28
	v_frexp_exp_i32_f64_e32 v26, v[26:27]
	v_frexp_mant_f32_e64 v27, |v29|
	s_delay_alu instid0(VALU_DEP_1) | instskip(SKIP_1) | instid1(VALU_DEP_1)
	v_cmp_gt_f32_e64 s4, 0x3f2aaaab, v27
	s_wait_alu 0xf1ff
	v_cndmask_b32_e64 v30, 1.0, 2.0, s4
	s_delay_alu instid0(VALU_DEP_1) | instskip(NEXT) | instid1(VALU_DEP_1)
	v_mul_f32_e32 v27, v27, v30
	v_add_f32_e32 v30, 1.0, v27
	v_add_f32_e32 v32, -1.0, v27
	s_delay_alu instid0(VALU_DEP_2) | instskip(NEXT) | instid1(VALU_DEP_1)
	v_add_f32_e32 v34, -1.0, v30
	v_sub_f32_e32 v27, v27, v34
	v_rcp_f32_e32 v31, v30
	v_subrev_co_ci_u32_e64 v26, null, 0, v26, s4
	s_delay_alu instid0(TRANS32_DEP_1) | instskip(NEXT) | instid1(VALU_DEP_2)
	v_mul_f32_e32 v33, v32, v31
	v_cvt_f32_i32_e32 v26, v26
	s_delay_alu instid0(VALU_DEP_2) | instskip(NEXT) | instid1(VALU_DEP_1)
	v_mul_f32_e32 v35, v30, v33
	v_fma_f32 v30, v33, v30, -v35
	s_delay_alu instid0(VALU_DEP_1) | instskip(NEXT) | instid1(VALU_DEP_1)
	v_fmac_f32_e32 v30, v33, v27
	v_add_f32_e32 v27, v35, v30
	s_delay_alu instid0(VALU_DEP_1) | instskip(NEXT) | instid1(VALU_DEP_1)
	v_sub_f32_e32 v35, v27, v35
	v_sub_f32_e32 v30, v35, v30
	;; [unrolled: 1-line block ×3, first 2 shown]
	s_delay_alu instid0(VALU_DEP_1) | instskip(NEXT) | instid1(VALU_DEP_1)
	v_sub_f32_e32 v32, v32, v34
	v_sub_f32_e32 v27, v32, v27
	s_delay_alu instid0(VALU_DEP_1) | instskip(NEXT) | instid1(VALU_DEP_1)
	v_add_f32_e32 v27, v30, v27
	v_add_f32_e32 v27, v34, v27
	s_delay_alu instid0(VALU_DEP_1) | instskip(NEXT) | instid1(VALU_DEP_1)
	v_mul_f32_e32 v27, v31, v27
	v_add_f32_e32 v30, v33, v27
	s_delay_alu instid0(VALU_DEP_1) | instskip(NEXT) | instid1(VALU_DEP_1)
	v_sub_f32_e32 v31, v30, v33
	v_dual_mul_f32 v32, v30, v30 :: v_dual_sub_f32 v27, v27, v31
	s_delay_alu instid0(VALU_DEP_1) | instskip(NEXT) | instid1(VALU_DEP_2)
	v_fma_f32 v31, v30, v30, -v32
	v_add_f32_e32 v33, v27, v27
	s_delay_alu instid0(VALU_DEP_1) | instskip(NEXT) | instid1(VALU_DEP_1)
	v_fmac_f32_e32 v31, v30, v33
	v_add_f32_e32 v33, v32, v31
	s_delay_alu instid0(VALU_DEP_1) | instskip(SKIP_1) | instid1(VALU_DEP_1)
	v_fmaak_f32 v34, s24, v33, 0x3e91f4c4
	v_sub_f32_e32 v32, v33, v32
	v_dual_fmaak_f32 v34, v33, v34, 0x3ecccdef :: v_dual_sub_f32 v31, v31, v32
	s_delay_alu instid0(VALU_DEP_1) | instskip(NEXT) | instid1(VALU_DEP_1)
	v_mul_f32_e32 v35, v33, v34
	v_fma_f32 v32, v33, v34, -v35
	s_delay_alu instid0(VALU_DEP_1) | instskip(NEXT) | instid1(VALU_DEP_1)
	v_fmac_f32_e32 v32, v31, v34
	v_add_f32_e32 v34, v35, v32
	s_delay_alu instid0(VALU_DEP_1) | instskip(NEXT) | instid1(VALU_DEP_1)
	v_dual_sub_f32 v35, v34, v35 :: v_dual_add_f32 v36, 0x3f2aaaaa, v34
	v_dual_sub_f32 v32, v32, v35 :: v_dual_add_f32 v35, 0xbf2aaaaa, v36
	s_delay_alu instid0(VALU_DEP_1) | instskip(NEXT) | instid1(VALU_DEP_2)
	v_dual_add_f32 v32, 0x31739010, v32 :: v_dual_mul_f32 v37, v30, v33
	v_sub_f32_e32 v34, v34, v35
	s_delay_alu instid0(VALU_DEP_2) | instskip(NEXT) | instid1(VALU_DEP_2)
	v_fma_f32 v38, v33, v30, -v37
	v_add_f32_e32 v32, v32, v34
	s_delay_alu instid0(VALU_DEP_2) | instskip(SKIP_1) | instid1(VALU_DEP_2)
	v_fmac_f32_e32 v38, v33, v27
	v_ldexp_f32 v27, v27, 1
	v_dual_fmac_f32 v38, v31, v30 :: v_dual_add_f32 v31, v36, v32
	v_ldexp_f32 v30, v30, 1
	s_delay_alu instid0(VALU_DEP_2) | instskip(NEXT) | instid1(VALU_DEP_1)
	v_dual_add_f32 v33, v37, v38 :: v_dual_sub_f32 v34, v36, v31
	v_dual_mul_f32 v35, v33, v31 :: v_dual_add_f32 v32, v32, v34
	v_sub_f32_e32 v36, v33, v37
	s_delay_alu instid0(VALU_DEP_2) | instskip(NEXT) | instid1(VALU_DEP_2)
	v_fma_f32 v34, v33, v31, -v35
	v_sub_f32_e32 v36, v38, v36
	s_delay_alu instid0(VALU_DEP_2) | instskip(NEXT) | instid1(VALU_DEP_1)
	v_fmac_f32_e32 v34, v33, v32
	v_fmac_f32_e32 v34, v36, v31
	s_delay_alu instid0(VALU_DEP_1) | instskip(NEXT) | instid1(VALU_DEP_1)
	v_add_f32_e32 v31, v35, v34
	v_add_f32_e32 v33, v30, v31
	v_dual_sub_f32 v32, v31, v35 :: v_dual_mul_f32 v35, 0x3f317218, v26
	s_delay_alu instid0(VALU_DEP_2) | instskip(NEXT) | instid1(VALU_DEP_2)
	v_sub_f32_e32 v30, v33, v30
	v_sub_f32_e32 v32, v34, v32
	s_delay_alu instid0(VALU_DEP_3) | instskip(NEXT) | instid1(VALU_DEP_3)
	v_fma_f32 v34, 0x3f317218, v26, -v35
	v_sub_f32_e32 v30, v31, v30
	s_delay_alu instid0(VALU_DEP_2) | instskip(NEXT) | instid1(VALU_DEP_1)
	v_dual_add_f32 v27, v27, v32 :: v_dual_fmac_f32 v34, 0xb102e308, v26
	v_add_f32_e32 v26, v27, v30
	s_delay_alu instid0(VALU_DEP_2) | instskip(NEXT) | instid1(VALU_DEP_1)
	v_add_f32_e32 v27, v35, v34
	v_dual_add_f32 v30, v33, v26 :: v_dual_sub_f32 v35, v27, v35
	s_delay_alu instid0(VALU_DEP_1) | instskip(NEXT) | instid1(VALU_DEP_1)
	v_add_f32_e32 v31, v27, v30
	v_dual_sub_f32 v33, v30, v33 :: v_dual_sub_f32 v32, v31, v27
	s_delay_alu instid0(VALU_DEP_1) | instskip(SKIP_1) | instid1(VALU_DEP_2)
	v_sub_f32_e32 v36, v31, v32
	v_sub_f32_e32 v30, v30, v32
	v_dual_sub_f32 v27, v27, v36 :: v_dual_sub_f32 v34, v34, v35
	s_delay_alu instid0(VALU_DEP_1) | instskip(SKIP_1) | instid1(VALU_DEP_1)
	v_add_f32_e32 v27, v30, v27
	v_sub_f32_e32 v26, v26, v33
	v_add_f32_e32 v32, v34, v26
	s_delay_alu instid0(VALU_DEP_1) | instskip(NEXT) | instid1(VALU_DEP_1)
	v_add_f32_e32 v27, v32, v27
	v_dual_sub_f32 v30, v32, v34 :: v_dual_add_f32 v33, v31, v27
	s_delay_alu instid0(VALU_DEP_1) | instskip(NEXT) | instid1(VALU_DEP_1)
	v_dual_sub_f32 v32, v32, v30 :: v_dual_sub_f32 v31, v33, v31
	v_dual_sub_f32 v27, v27, v31 :: v_dual_sub_f32 v26, v26, v30
	s_delay_alu instid0(VALU_DEP_2) | instskip(NEXT) | instid1(VALU_DEP_1)
	v_sub_f32_e32 v30, v34, v32
	v_add_f32_e32 v26, v26, v30
	s_delay_alu instid0(VALU_DEP_1) | instskip(NEXT) | instid1(VALU_DEP_1)
	v_add_f32_e32 v26, v26, v27
	v_add_f32_e32 v27, v33, v26
	s_delay_alu instid0(VALU_DEP_1) | instskip(NEXT) | instid1(VALU_DEP_1)
	v_dual_sub_f32 v30, v27, v33 :: v_dual_mul_f32 v31, v28, v27
	v_sub_f32_e32 v26, v26, v30
	s_delay_alu instid0(VALU_DEP_2) | instskip(SKIP_1) | instid1(VALU_DEP_2)
	v_fma_f32 v27, v28, v27, -v31
	v_cmp_class_f32_e64 s4, v31, 0x204
	v_fmac_f32_e32 v27, v28, v26
	s_delay_alu instid0(VALU_DEP_1) | instskip(SKIP_1) | instid1(VALU_DEP_1)
	v_add_f32_e32 v26, v31, v27
	s_wait_alu 0xf1ff
	v_cndmask_b32_e64 v30, v26, v31, s4
	s_delay_alu instid0(VALU_DEP_1) | instskip(SKIP_1) | instid1(VALU_DEP_1)
	v_cmp_eq_f32_e64 s4, 0x42b17218, v30
	s_wait_alu 0xf1ff
	v_cndmask_b32_e64 v32, 0, 0x37000000, s4
	v_cmp_neq_f32_e64 s4, 0x7f800000, |v30|
	s_delay_alu instid0(VALU_DEP_2) | instskip(SKIP_1) | instid1(VALU_DEP_2)
	v_sub_f32_e32 v33, v30, v32
	v_sub_f32_e32 v26, v26, v31
	v_mul_f32_e32 v34, 0x3fb8aa3b, v33
	s_delay_alu instid0(VALU_DEP_2) | instskip(SKIP_2) | instid1(VALU_DEP_4)
	v_sub_f32_e32 v26, v27, v26
	v_trunc_f32_e32 v27, v28
	v_cmp_nlt_f32_e64 s5, 0x42b17218, v33
	v_fma_f32 v35, 0x3fb8aa3b, v33, -v34
	v_rndne_f32_e32 v36, v34
	s_wait_alu 0xf1ff
	v_cndmask_b32_e64 v26, 0, v26, s4
	v_cmp_ngt_f32_e64 s4, 0xc2ce8ed0, v33
	s_delay_alu instid0(VALU_DEP_3) | instskip(SKIP_1) | instid1(VALU_DEP_4)
	v_dual_fmac_f32 v35, 0x32a5705f, v33 :: v_dual_sub_f32 v34, v34, v36
	v_cvt_i32_f32_e32 v31, v36
	v_add_f32_e32 v26, v32, v26
	s_delay_alu instid0(VALU_DEP_3) | instskip(NEXT) | instid1(VALU_DEP_1)
	v_add_f32_e32 v34, v34, v35
	v_exp_f32_e32 v34, v34
	s_delay_alu instid0(TRANS32_DEP_1) | instskip(SKIP_2) | instid1(VALU_DEP_2)
	v_ldexp_f32 v31, v34, v31
	v_mul_f32_e32 v34, 0.5, v28
	s_wait_alu 0xf1ff
	v_cndmask_b32_e64 v30, 0, v31, s4
	s_delay_alu instid0(VALU_DEP_2) | instskip(SKIP_1) | instid1(VALU_DEP_3)
	v_trunc_f32_e32 v31, v34
	v_cmp_eq_f32_e64 s4, v27, v28
	v_cndmask_b32_e64 v27, 0x7f800000, v30, s5
	s_delay_alu instid0(VALU_DEP_3) | instskip(NEXT) | instid1(VALU_DEP_2)
	v_cmp_neq_f32_e64 s5, v31, v34
	v_fma_f32 v26, v27, v26, v27
	s_and_b32 s5, s4, s5
	s_wait_alu 0xfffe
	v_cndmask_b32_e64 v30, 0, v29, s5
	v_cndmask_b32_e64 v31, 1.0, v29, s5
	v_cmp_class_f32_e64 s5, v27, 0x204
	s_wait_alu 0xf1ff
	s_delay_alu instid0(VALU_DEP_1) | instskip(SKIP_2) | instid1(VALU_DEP_3)
	v_cndmask_b32_e64 v26, v26, v27, s5
	v_cmp_gt_f32_e64 s5, 0, v28
	v_cndmask_b32_e64 v27, 0x7f800000, 0, s27
	v_bfi_b32 v26, 0x7fffffff, v26, v31
	s_delay_alu instid0(VALU_DEP_1)
	v_cndmask_b32_e64 v31, 0x7fc00000, v26, s4
	s_xor_b32 s4, s5, s6
	v_cmp_class_f32_e64 s5, v29, 0x204
	s_wait_alu 0xfffe
	v_cndmask_b32_e64 v32, 0x7f800000, 0, s4
	v_cmp_neq_f32_e64 s4, |v29|, 1.0
	s_delay_alu instid0(VALU_DEP_2) | instskip(SKIP_1) | instid1(VALU_DEP_2)
	v_bfi_b32 v30, 0x7fffffff, v32, v30
	s_wait_alu 0xf1ff
	v_cndmask_b32_e64 v27, 1.0, v27, s4
	v_cmp_gt_f32_e64 s4, 0, v29
	s_wait_alu 0xf1ff
	s_delay_alu instid0(VALU_DEP_1) | instskip(SKIP_2) | instid1(VALU_DEP_1)
	v_cndmask_b32_e64 v26, v26, v31, s4
	v_cmp_class_f32_e64 s4, v28, 0x204
	s_wait_alu 0xf1ff
	v_cndmask_b32_e64 v26, v26, v27, s4
	s_or_b32 s4, s6, s5
	s_wait_alu 0xfffe
	s_delay_alu instid0(VALU_DEP_1) | instskip(SKIP_2) | instid1(VALU_DEP_1)
	v_cndmask_b32_e64 v26, v26, v30, s4
	v_cmp_o_f32_e64 s4, v29, v28
	s_wait_alu 0xf1ff
	v_cndmask_b32_e64 v28, 0x7fc00000, v26, s4
	v_add_co_u32 v26, s4, v3, s10
	s_wait_alu 0xf1ff
	v_add_co_ci_u32_e64 v27, null, s11, v4, s4
	s_delay_alu instid0(VALU_DEP_3)
	v_cvt_f16_f32_e32 v28, v28
	global_store_b16 v[26:27], v28, off
	s_or_b32 exec_lo, exec_lo, s25
	s_and_saveexec_b32 s25, s3
	s_cbranch_execz .LBB70_13
.LBB70_17:                              ;   in Loop: Header=BB70_4 Depth=1
	s_wait_loadcnt 0x0
	v_cmp_neq_f16_e64 s3, 1.0, v25
	v_cvt_f32_f16_e32 v25, v25
	s_wait_alu 0xf1ff
	s_delay_alu instid0(VALU_DEP_2) | instskip(NEXT) | instid1(VALU_DEP_1)
	v_cndmask_b32_e64 v27, 1.0, s26, s3
	v_cmp_neq_f32_e64 s3, 0, v27
	v_cmp_neq_f32_e64 s27, v27, |v27|
	s_wait_alu 0xf1ff
	s_delay_alu instid0(VALU_DEP_2) | instskip(NEXT) | instid1(VALU_DEP_1)
	v_cndmask_b32_e64 v28, 1.0, v25, s3
	v_frexp_mant_f32_e64 v25, |v28|
	v_cmp_lt_f32_e64 s28, |v28|, 1.0
	v_cmp_eq_f32_e64 s6, 0, v28
	s_delay_alu instid0(VALU_DEP_3) | instskip(SKIP_2) | instid1(VALU_DEP_1)
	v_cmp_gt_f32_e64 s3, 0x3f2aaaab, v25
	s_xor_b32 s27, s27, s28
	v_cndmask_b32_e64 v26, 1.0, 2.0, s3
	v_mul_f32_e32 v25, v25, v26
	s_delay_alu instid0(VALU_DEP_1) | instskip(SKIP_1) | instid1(VALU_DEP_2)
	v_add_f32_e32 v26, 1.0, v25
	v_add_f32_e32 v30, -1.0, v25
	v_add_f32_e32 v32, -1.0, v26
	s_delay_alu instid0(VALU_DEP_1) | instskip(SKIP_1) | instid1(TRANS32_DEP_1)
	v_sub_f32_e32 v25, v25, v32
	v_rcp_f32_e32 v29, v26
	v_mul_f32_e32 v31, v30, v29
	s_delay_alu instid0(VALU_DEP_1) | instskip(NEXT) | instid1(VALU_DEP_1)
	v_mul_f32_e32 v33, v26, v31
	v_fma_f32 v26, v31, v26, -v33
	s_delay_alu instid0(VALU_DEP_1) | instskip(NEXT) | instid1(VALU_DEP_1)
	v_fmac_f32_e32 v26, v31, v25
	v_add_f32_e32 v25, v33, v26
	s_delay_alu instid0(VALU_DEP_1) | instskip(NEXT) | instid1(VALU_DEP_1)
	v_sub_f32_e32 v32, v30, v25
	v_dual_sub_f32 v33, v25, v33 :: v_dual_sub_f32 v30, v30, v32
	s_delay_alu instid0(VALU_DEP_1) | instskip(NEXT) | instid1(VALU_DEP_1)
	v_dual_sub_f32 v26, v33, v26 :: v_dual_sub_f32 v25, v30, v25
	v_add_f32_e32 v25, v26, v25
	s_delay_alu instid0(VALU_DEP_1) | instskip(NEXT) | instid1(VALU_DEP_1)
	v_add_f32_e32 v25, v32, v25
	v_mul_f32_e32 v25, v29, v25
	s_delay_alu instid0(VALU_DEP_1) | instskip(NEXT) | instid1(VALU_DEP_1)
	v_add_f32_e32 v29, v31, v25
	v_sub_f32_e32 v26, v29, v31
	s_delay_alu instid0(VALU_DEP_1) | instskip(NEXT) | instid1(VALU_DEP_1)
	v_sub_f32_e32 v31, v25, v26
	v_dual_mul_f32 v30, v29, v29 :: v_dual_add_f32 v25, v31, v31
	s_delay_alu instid0(VALU_DEP_1) | instskip(NEXT) | instid1(VALU_DEP_1)
	v_fma_f32 v32, v29, v29, -v30
	v_fmac_f32_e32 v32, v29, v25
	v_cvt_f64_f32_e64 v[25:26], |v28|
	s_delay_alu instid0(VALU_DEP_2) | instskip(NEXT) | instid1(VALU_DEP_1)
	v_add_f32_e32 v33, v30, v32
	v_fmaak_f32 v34, s24, v33, 0x3e91f4c4
	v_sub_f32_e32 v30, v33, v30
	s_delay_alu instid0(VALU_DEP_2) | instskip(NEXT) | instid1(VALU_DEP_2)
	v_fmaak_f32 v34, v33, v34, 0x3ecccdef
	v_sub_f32_e32 v30, v32, v30
	s_delay_alu instid0(VALU_DEP_2) | instskip(NEXT) | instid1(VALU_DEP_1)
	v_mul_f32_e32 v35, v33, v34
	v_fma_f32 v32, v33, v34, -v35
	s_delay_alu instid0(VALU_DEP_1) | instskip(NEXT) | instid1(VALU_DEP_1)
	v_dual_fmac_f32 v32, v30, v34 :: v_dual_mul_f32 v37, v29, v33
	v_add_f32_e32 v34, v35, v32
	v_frexp_exp_i32_f64_e32 v25, v[25:26]
	s_delay_alu instid0(VALU_DEP_2) | instskip(NEXT) | instid1(VALU_DEP_1)
	v_sub_f32_e32 v35, v34, v35
	v_sub_f32_e32 v26, v32, v35
	v_fma_f32 v35, v33, v29, -v37
	s_delay_alu instid0(VALU_DEP_1) | instskip(NEXT) | instid1(VALU_DEP_1)
	v_dual_add_f32 v36, 0x3f2aaaaa, v34 :: v_dual_fmac_f32 v35, v33, v31
	v_add_f32_e32 v32, 0xbf2aaaaa, v36
	v_ldexp_f32 v31, v31, 1
	s_delay_alu instid0(VALU_DEP_3) | instskip(NEXT) | instid1(VALU_DEP_3)
	v_dual_fmac_f32 v35, v30, v29 :: v_dual_add_f32 v26, 0x31739010, v26
	v_sub_f32_e32 v32, v34, v32
	s_delay_alu instid0(VALU_DEP_1) | instskip(NEXT) | instid1(VALU_DEP_1)
	v_add_f32_e32 v26, v26, v32
	v_add_f32_e32 v30, v36, v26
	s_delay_alu instid0(VALU_DEP_1) | instskip(SKIP_1) | instid1(VALU_DEP_2)
	v_sub_f32_e32 v33, v36, v30
	v_subrev_co_ci_u32_e64 v25, null, 0, v25, s3
	v_add_f32_e32 v26, v26, v33
	s_delay_alu instid0(VALU_DEP_2) | instskip(SKIP_1) | instid1(VALU_DEP_1)
	v_cvt_f32_i32_e32 v25, v25
	v_add_f32_e32 v32, v37, v35
	v_mul_f32_e32 v34, v32, v30
	v_sub_f32_e32 v36, v32, v37
	s_delay_alu instid0(VALU_DEP_2) | instskip(NEXT) | instid1(VALU_DEP_2)
	v_fma_f32 v33, v32, v30, -v34
	v_sub_f32_e32 v35, v35, v36
	s_delay_alu instid0(VALU_DEP_2) | instskip(SKIP_1) | instid1(VALU_DEP_2)
	v_fmac_f32_e32 v33, v32, v26
	v_ldexp_f32 v26, v29, 1
	v_fmac_f32_e32 v33, v35, v30
	s_delay_alu instid0(VALU_DEP_1) | instskip(NEXT) | instid1(VALU_DEP_1)
	v_add_f32_e32 v29, v34, v33
	v_add_f32_e32 v30, v26, v29
	v_sub_f32_e32 v32, v29, v34
	v_mul_f32_e32 v34, 0x3f317218, v25
	s_delay_alu instid0(VALU_DEP_3) | instskip(NEXT) | instid1(VALU_DEP_3)
	v_sub_f32_e32 v26, v30, v26
	v_sub_f32_e32 v32, v33, v32
	s_delay_alu instid0(VALU_DEP_3) | instskip(NEXT) | instid1(VALU_DEP_2)
	v_fma_f32 v33, 0x3f317218, v25, -v34
	v_dual_sub_f32 v26, v29, v26 :: v_dual_add_f32 v29, v31, v32
	s_delay_alu instid0(VALU_DEP_2) | instskip(NEXT) | instid1(VALU_DEP_2)
	v_fmac_f32_e32 v33, 0xb102e308, v25
	v_add_f32_e32 v25, v29, v26
	s_delay_alu instid0(VALU_DEP_1) | instskip(NEXT) | instid1(VALU_DEP_1)
	v_add_f32_e32 v29, v30, v25
	v_sub_f32_e32 v30, v29, v30
	s_delay_alu instid0(VALU_DEP_1) | instskip(NEXT) | instid1(VALU_DEP_1)
	v_dual_sub_f32 v25, v25, v30 :: v_dual_add_f32 v26, v34, v33
	v_sub_f32_e32 v34, v26, v34
	s_delay_alu instid0(VALU_DEP_1) | instskip(SKIP_1) | instid1(VALU_DEP_2)
	v_sub_f32_e32 v33, v33, v34
	v_add_f32_e32 v31, v26, v29
	v_add_f32_e32 v30, v33, v25
	s_delay_alu instid0(VALU_DEP_2) | instskip(NEXT) | instid1(VALU_DEP_1)
	v_sub_f32_e32 v32, v31, v26
	v_sub_f32_e32 v35, v31, v32
	s_delay_alu instid0(VALU_DEP_1) | instskip(NEXT) | instid1(VALU_DEP_1)
	v_dual_sub_f32 v29, v29, v32 :: v_dual_sub_f32 v26, v26, v35
	v_dual_add_f32 v26, v29, v26 :: v_dual_sub_f32 v29, v30, v33
	s_delay_alu instid0(VALU_DEP_1) | instskip(NEXT) | instid1(VALU_DEP_2)
	v_add_f32_e32 v26, v30, v26
	v_sub_f32_e32 v30, v30, v29
	s_delay_alu instid0(VALU_DEP_2) | instskip(NEXT) | instid1(VALU_DEP_1)
	v_dual_sub_f32 v25, v25, v29 :: v_dual_add_f32 v32, v31, v26
	v_dual_sub_f32 v29, v33, v30 :: v_dual_sub_f32 v30, v32, v31
	s_delay_alu instid0(VALU_DEP_1) | instskip(NEXT) | instid1(VALU_DEP_1)
	v_dual_add_f32 v25, v25, v29 :: v_dual_sub_f32 v26, v26, v30
	v_add_f32_e32 v25, v25, v26
	s_delay_alu instid0(VALU_DEP_1) | instskip(NEXT) | instid1(VALU_DEP_1)
	v_add_f32_e32 v26, v32, v25
	v_dual_sub_f32 v29, v26, v32 :: v_dual_mul_f32 v30, v27, v26
	s_delay_alu instid0(VALU_DEP_1) | instskip(NEXT) | instid1(VALU_DEP_2)
	v_sub_f32_e32 v25, v25, v29
	v_fma_f32 v26, v27, v26, -v30
	v_cmp_class_f32_e64 s3, v30, 0x204
	s_delay_alu instid0(VALU_DEP_2) | instskip(NEXT) | instid1(VALU_DEP_1)
	v_fmac_f32_e32 v26, v27, v25
	v_add_f32_e32 v25, v30, v26
	s_wait_alu 0xf1ff
	s_delay_alu instid0(VALU_DEP_1) | instskip(NEXT) | instid1(VALU_DEP_1)
	v_cndmask_b32_e64 v29, v25, v30, s3
	v_cmp_eq_f32_e64 s3, 0x42b17218, v29
	s_wait_alu 0xf1ff
	s_delay_alu instid0(VALU_DEP_1) | instskip(SKIP_1) | instid1(VALU_DEP_2)
	v_cndmask_b32_e64 v31, 0, 0x37000000, s3
	v_cmp_neq_f32_e64 s3, 0x7f800000, |v29|
	v_sub_f32_e32 v32, v29, v31
	v_sub_f32_e32 v25, v25, v30
	v_trunc_f32_e32 v29, v27
	s_delay_alu instid0(VALU_DEP_3) | instskip(NEXT) | instid1(VALU_DEP_3)
	v_mul_f32_e32 v33, 0x3fb8aa3b, v32
	v_sub_f32_e32 v25, v26, v25
	s_delay_alu instid0(VALU_DEP_2) | instskip(SKIP_2) | instid1(VALU_DEP_3)
	v_fma_f32 v34, 0x3fb8aa3b, v32, -v33
	v_rndne_f32_e32 v35, v33
	s_wait_alu 0xf1ff
	v_cndmask_b32_e64 v25, 0, v25, s3
	v_cmp_ngt_f32_e64 s3, 0xc2ce8ed0, v32
	s_delay_alu instid0(VALU_DEP_3) | instskip(SKIP_1) | instid1(VALU_DEP_4)
	v_dual_fmac_f32 v34, 0x32a5705f, v32 :: v_dual_sub_f32 v33, v33, v35
	v_cvt_i32_f32_e32 v30, v35
	v_add_f32_e32 v25, v31, v25
	s_delay_alu instid0(VALU_DEP_3) | instskip(NEXT) | instid1(VALU_DEP_1)
	v_add_f32_e32 v33, v33, v34
	v_exp_f32_e32 v33, v33
	s_delay_alu instid0(TRANS32_DEP_1) | instskip(SKIP_2) | instid1(VALU_DEP_2)
	v_ldexp_f32 v26, v33, v30
	v_mul_f32_e32 v30, 0.5, v27
	s_wait_alu 0xf1ff
	v_cndmask_b32_e64 v26, 0, v26, s3
	v_cmp_nlt_f32_e64 s3, 0x42b17218, v32
	s_delay_alu instid0(VALU_DEP_3) | instskip(SKIP_1) | instid1(VALU_DEP_2)
	v_trunc_f32_e32 v33, v30
	s_wait_alu 0xf1ff
	v_cndmask_b32_e64 v26, 0x7f800000, v26, s3
	v_cmp_eq_f32_e64 s3, v29, v27
	s_delay_alu instid0(VALU_DEP_3) | instskip(NEXT) | instid1(VALU_DEP_3)
	v_cmp_neq_f32_e64 s4, v33, v30
	v_fma_f32 v25, v26, v25, v26
	v_cmp_class_f32_e64 s5, v26, 0x204
	s_and_b32 s4, s3, s4
	s_wait_alu 0xfffe
	v_cndmask_b32_e64 v29, 1.0, v28, s4
	v_cndmask_b32_e64 v31, 0, v28, s4
	v_cndmask_b32_e64 v25, v25, v26, s5
	v_cndmask_b32_e64 v26, 0x7f800000, 0, s27
	v_cmp_gt_f32_e64 s5, 0, v27
	v_cmp_class_f32_e64 s4, v28, 0x204
	s_delay_alu instid0(VALU_DEP_4) | instskip(SKIP_3) | instid1(VALU_DEP_2)
	v_bfi_b32 v25, 0x7fffffff, v25, v29
	s_xor_b32 s5, s5, s6
	s_wait_alu 0xfffe
	v_cndmask_b32_e64 v29, 0x7f800000, 0, s5
	v_cndmask_b32_e64 v30, 0x7fc00000, v25, s3
	v_cmp_neq_f32_e64 s3, |v28|, 1.0
	s_delay_alu instid0(VALU_DEP_3) | instskip(SKIP_1) | instid1(VALU_DEP_2)
	v_bfi_b32 v29, 0x7fffffff, v29, v31
	s_wait_alu 0xf1ff
	v_cndmask_b32_e64 v26, 1.0, v26, s3
	v_cmp_gt_f32_e64 s3, 0, v28
	s_wait_alu 0xf1ff
	s_delay_alu instid0(VALU_DEP_1) | instskip(SKIP_2) | instid1(VALU_DEP_1)
	v_cndmask_b32_e64 v25, v25, v30, s3
	v_cmp_class_f32_e64 s3, v27, 0x204
	s_wait_alu 0xf1ff
	v_cndmask_b32_e64 v25, v25, v26, s3
	s_or_b32 s3, s6, s4
	s_wait_alu 0xfffe
	s_delay_alu instid0(VALU_DEP_1) | instskip(SKIP_2) | instid1(VALU_DEP_1)
	v_cndmask_b32_e64 v25, v25, v29, s3
	v_cmp_o_f32_e64 s3, v28, v27
	s_wait_alu 0xf1ff
	v_cndmask_b32_e64 v25, 0x7fc00000, v25, s3
	s_delay_alu instid0(VALU_DEP_1)
	v_cvt_f16_f32_e32 v27, v25
	v_add_co_u32 v25, s3, v21, s10
	s_wait_alu 0xf1ff
	v_add_co_ci_u32_e64 v26, null, s11, v22, s3
	global_store_b16 v[25:26], v27, off
	s_or_b32 exec_lo, exec_lo, s25
	s_and_saveexec_b32 s6, s2
	s_cbranch_execz .LBB70_14
.LBB70_18:                              ;   in Loop: Header=BB70_4 Depth=1
	s_wait_loadcnt 0x0
	v_cmp_neq_f16_e64 s2, 1.0, v24
	v_cvt_f32_f16_e32 v24, v24
	s_wait_alu 0xf1ff
	s_delay_alu instid0(VALU_DEP_2) | instskip(NEXT) | instid1(VALU_DEP_1)
	v_cndmask_b32_e64 v26, 1.0, s26, s2
	v_cmp_neq_f32_e64 s2, 0, v26
	v_cmp_neq_f32_e64 s25, v26, |v26|
	s_wait_alu 0xf1ff
	s_delay_alu instid0(VALU_DEP_2) | instskip(NEXT) | instid1(VALU_DEP_1)
	v_cndmask_b32_e64 v27, 1.0, v24, s2
	v_frexp_mant_f32_e64 v24, |v27|
	v_cmp_lt_f32_e64 s27, |v27|, 1.0
	v_cmp_eq_f32_e64 s5, 0, v27
	s_delay_alu instid0(VALU_DEP_3) | instskip(SKIP_2) | instid1(VALU_DEP_1)
	v_cmp_gt_f32_e64 s2, 0x3f2aaaab, v24
	s_xor_b32 s25, s25, s27
	v_cndmask_b32_e64 v25, 1.0, 2.0, s2
	v_mul_f32_e32 v24, v24, v25
	s_delay_alu instid0(VALU_DEP_1) | instskip(SKIP_1) | instid1(VALU_DEP_2)
	v_add_f32_e32 v25, 1.0, v24
	v_add_f32_e32 v29, -1.0, v24
	v_add_f32_e32 v31, -1.0, v25
	s_delay_alu instid0(VALU_DEP_1) | instskip(SKIP_1) | instid1(TRANS32_DEP_1)
	v_sub_f32_e32 v24, v24, v31
	v_rcp_f32_e32 v28, v25
	v_mul_f32_e32 v30, v29, v28
	s_delay_alu instid0(VALU_DEP_1) | instskip(NEXT) | instid1(VALU_DEP_1)
	v_mul_f32_e32 v32, v25, v30
	v_fma_f32 v25, v30, v25, -v32
	s_delay_alu instid0(VALU_DEP_1) | instskip(NEXT) | instid1(VALU_DEP_1)
	v_fmac_f32_e32 v25, v30, v24
	v_add_f32_e32 v24, v32, v25
	s_delay_alu instid0(VALU_DEP_1) | instskip(NEXT) | instid1(VALU_DEP_1)
	v_sub_f32_e32 v31, v29, v24
	v_dual_sub_f32 v32, v24, v32 :: v_dual_sub_f32 v29, v29, v31
	s_delay_alu instid0(VALU_DEP_1) | instskip(NEXT) | instid1(VALU_DEP_1)
	v_dual_sub_f32 v25, v32, v25 :: v_dual_sub_f32 v24, v29, v24
	v_add_f32_e32 v24, v25, v24
	s_delay_alu instid0(VALU_DEP_1) | instskip(NEXT) | instid1(VALU_DEP_1)
	v_add_f32_e32 v24, v31, v24
	v_mul_f32_e32 v24, v28, v24
	s_delay_alu instid0(VALU_DEP_1) | instskip(NEXT) | instid1(VALU_DEP_1)
	v_add_f32_e32 v28, v30, v24
	v_sub_f32_e32 v25, v28, v30
	s_delay_alu instid0(VALU_DEP_1) | instskip(NEXT) | instid1(VALU_DEP_1)
	v_sub_f32_e32 v30, v24, v25
	v_dual_mul_f32 v29, v28, v28 :: v_dual_add_f32 v24, v30, v30
	s_delay_alu instid0(VALU_DEP_1) | instskip(NEXT) | instid1(VALU_DEP_1)
	v_fma_f32 v31, v28, v28, -v29
	v_fmac_f32_e32 v31, v28, v24
	v_cvt_f64_f32_e64 v[24:25], |v27|
	s_delay_alu instid0(VALU_DEP_2) | instskip(NEXT) | instid1(VALU_DEP_1)
	v_add_f32_e32 v32, v29, v31
	v_fmaak_f32 v33, s24, v32, 0x3e91f4c4
	v_sub_f32_e32 v29, v32, v29
	s_delay_alu instid0(VALU_DEP_2) | instskip(NEXT) | instid1(VALU_DEP_2)
	v_fmaak_f32 v33, v32, v33, 0x3ecccdef
	v_sub_f32_e32 v29, v31, v29
	s_delay_alu instid0(VALU_DEP_2) | instskip(NEXT) | instid1(VALU_DEP_1)
	v_mul_f32_e32 v34, v32, v33
	v_fma_f32 v31, v32, v33, -v34
	s_delay_alu instid0(VALU_DEP_1) | instskip(NEXT) | instid1(VALU_DEP_1)
	v_dual_fmac_f32 v31, v29, v33 :: v_dual_mul_f32 v36, v28, v32
	v_add_f32_e32 v33, v34, v31
	v_frexp_exp_i32_f64_e32 v24, v[24:25]
	s_delay_alu instid0(VALU_DEP_2) | instskip(NEXT) | instid1(VALU_DEP_1)
	v_sub_f32_e32 v34, v33, v34
	v_sub_f32_e32 v25, v31, v34
	v_fma_f32 v34, v32, v28, -v36
	s_delay_alu instid0(VALU_DEP_1) | instskip(NEXT) | instid1(VALU_DEP_1)
	v_dual_add_f32 v35, 0x3f2aaaaa, v33 :: v_dual_fmac_f32 v34, v32, v30
	v_add_f32_e32 v31, 0xbf2aaaaa, v35
	v_ldexp_f32 v30, v30, 1
	s_delay_alu instid0(VALU_DEP_3) | instskip(NEXT) | instid1(VALU_DEP_3)
	v_dual_fmac_f32 v34, v29, v28 :: v_dual_add_f32 v25, 0x31739010, v25
	v_sub_f32_e32 v31, v33, v31
	s_delay_alu instid0(VALU_DEP_1) | instskip(NEXT) | instid1(VALU_DEP_1)
	v_add_f32_e32 v25, v25, v31
	v_add_f32_e32 v29, v35, v25
	s_delay_alu instid0(VALU_DEP_1) | instskip(SKIP_1) | instid1(VALU_DEP_2)
	v_sub_f32_e32 v32, v35, v29
	v_subrev_co_ci_u32_e64 v24, null, 0, v24, s2
	v_add_f32_e32 v25, v25, v32
	s_delay_alu instid0(VALU_DEP_2) | instskip(SKIP_1) | instid1(VALU_DEP_1)
	v_cvt_f32_i32_e32 v24, v24
	v_add_f32_e32 v31, v36, v34
	v_mul_f32_e32 v33, v31, v29
	v_sub_f32_e32 v35, v31, v36
	s_delay_alu instid0(VALU_DEP_2) | instskip(NEXT) | instid1(VALU_DEP_2)
	v_fma_f32 v32, v31, v29, -v33
	v_sub_f32_e32 v34, v34, v35
	s_delay_alu instid0(VALU_DEP_2) | instskip(SKIP_1) | instid1(VALU_DEP_2)
	v_fmac_f32_e32 v32, v31, v25
	v_ldexp_f32 v25, v28, 1
	v_fmac_f32_e32 v32, v34, v29
	s_delay_alu instid0(VALU_DEP_1) | instskip(NEXT) | instid1(VALU_DEP_1)
	v_add_f32_e32 v28, v33, v32
	v_add_f32_e32 v29, v25, v28
	v_sub_f32_e32 v31, v28, v33
	v_mul_f32_e32 v33, 0x3f317218, v24
	s_delay_alu instid0(VALU_DEP_3) | instskip(NEXT) | instid1(VALU_DEP_3)
	v_sub_f32_e32 v25, v29, v25
	v_sub_f32_e32 v31, v32, v31
	s_delay_alu instid0(VALU_DEP_3) | instskip(NEXT) | instid1(VALU_DEP_2)
	v_fma_f32 v32, 0x3f317218, v24, -v33
	v_dual_sub_f32 v25, v28, v25 :: v_dual_add_f32 v28, v30, v31
	s_delay_alu instid0(VALU_DEP_2) | instskip(NEXT) | instid1(VALU_DEP_2)
	v_fmac_f32_e32 v32, 0xb102e308, v24
	v_add_f32_e32 v24, v28, v25
	s_delay_alu instid0(VALU_DEP_1) | instskip(NEXT) | instid1(VALU_DEP_1)
	v_add_f32_e32 v28, v29, v24
	v_sub_f32_e32 v29, v28, v29
	s_delay_alu instid0(VALU_DEP_1) | instskip(NEXT) | instid1(VALU_DEP_1)
	v_dual_sub_f32 v24, v24, v29 :: v_dual_add_f32 v25, v33, v32
	v_sub_f32_e32 v33, v25, v33
	s_delay_alu instid0(VALU_DEP_1) | instskip(SKIP_1) | instid1(VALU_DEP_2)
	v_sub_f32_e32 v32, v32, v33
	v_add_f32_e32 v30, v25, v28
	v_add_f32_e32 v29, v32, v24
	s_delay_alu instid0(VALU_DEP_2) | instskip(NEXT) | instid1(VALU_DEP_1)
	v_sub_f32_e32 v31, v30, v25
	v_sub_f32_e32 v34, v30, v31
	s_delay_alu instid0(VALU_DEP_1) | instskip(NEXT) | instid1(VALU_DEP_1)
	v_dual_sub_f32 v28, v28, v31 :: v_dual_sub_f32 v25, v25, v34
	v_dual_add_f32 v25, v28, v25 :: v_dual_sub_f32 v28, v29, v32
	s_delay_alu instid0(VALU_DEP_1) | instskip(NEXT) | instid1(VALU_DEP_2)
	v_add_f32_e32 v25, v29, v25
	v_sub_f32_e32 v29, v29, v28
	s_delay_alu instid0(VALU_DEP_2) | instskip(NEXT) | instid1(VALU_DEP_1)
	v_dual_sub_f32 v24, v24, v28 :: v_dual_add_f32 v31, v30, v25
	v_dual_sub_f32 v28, v32, v29 :: v_dual_sub_f32 v29, v31, v30
	s_delay_alu instid0(VALU_DEP_1) | instskip(NEXT) | instid1(VALU_DEP_1)
	v_dual_add_f32 v24, v24, v28 :: v_dual_sub_f32 v25, v25, v29
	v_add_f32_e32 v24, v24, v25
	s_delay_alu instid0(VALU_DEP_1) | instskip(NEXT) | instid1(VALU_DEP_1)
	v_add_f32_e32 v25, v31, v24
	v_dual_sub_f32 v28, v25, v31 :: v_dual_mul_f32 v29, v26, v25
	s_delay_alu instid0(VALU_DEP_1) | instskip(NEXT) | instid1(VALU_DEP_2)
	v_sub_f32_e32 v24, v24, v28
	v_fma_f32 v25, v26, v25, -v29
	v_cmp_class_f32_e64 s2, v29, 0x204
	s_delay_alu instid0(VALU_DEP_2) | instskip(NEXT) | instid1(VALU_DEP_1)
	v_fmac_f32_e32 v25, v26, v24
	v_add_f32_e32 v24, v29, v25
	s_wait_alu 0xf1ff
	s_delay_alu instid0(VALU_DEP_1) | instskip(NEXT) | instid1(VALU_DEP_1)
	v_cndmask_b32_e64 v28, v24, v29, s2
	v_cmp_eq_f32_e64 s2, 0x42b17218, v28
	s_wait_alu 0xf1ff
	s_delay_alu instid0(VALU_DEP_1) | instskip(SKIP_1) | instid1(VALU_DEP_2)
	v_cndmask_b32_e64 v30, 0, 0x37000000, s2
	v_cmp_neq_f32_e64 s2, 0x7f800000, |v28|
	v_sub_f32_e32 v31, v28, v30
	v_sub_f32_e32 v24, v24, v29
	v_trunc_f32_e32 v28, v26
	s_delay_alu instid0(VALU_DEP_3) | instskip(NEXT) | instid1(VALU_DEP_3)
	v_mul_f32_e32 v32, 0x3fb8aa3b, v31
	v_sub_f32_e32 v24, v25, v24
	s_delay_alu instid0(VALU_DEP_2) | instskip(SKIP_2) | instid1(VALU_DEP_3)
	v_fma_f32 v33, 0x3fb8aa3b, v31, -v32
	v_rndne_f32_e32 v34, v32
	s_wait_alu 0xf1ff
	v_cndmask_b32_e64 v24, 0, v24, s2
	v_cmp_ngt_f32_e64 s2, 0xc2ce8ed0, v31
	s_delay_alu instid0(VALU_DEP_3) | instskip(SKIP_1) | instid1(VALU_DEP_4)
	v_dual_fmac_f32 v33, 0x32a5705f, v31 :: v_dual_sub_f32 v32, v32, v34
	v_cvt_i32_f32_e32 v29, v34
	v_add_f32_e32 v24, v30, v24
	s_delay_alu instid0(VALU_DEP_3) | instskip(NEXT) | instid1(VALU_DEP_1)
	v_add_f32_e32 v32, v32, v33
	v_exp_f32_e32 v32, v32
	s_delay_alu instid0(TRANS32_DEP_1) | instskip(SKIP_2) | instid1(VALU_DEP_2)
	v_ldexp_f32 v25, v32, v29
	v_mul_f32_e32 v29, 0.5, v26
	s_wait_alu 0xf1ff
	v_cndmask_b32_e64 v25, 0, v25, s2
	v_cmp_nlt_f32_e64 s2, 0x42b17218, v31
	s_delay_alu instid0(VALU_DEP_3) | instskip(SKIP_1) | instid1(VALU_DEP_2)
	v_trunc_f32_e32 v32, v29
	s_wait_alu 0xf1ff
	v_cndmask_b32_e64 v25, 0x7f800000, v25, s2
	v_cmp_eq_f32_e64 s2, v28, v26
	s_delay_alu instid0(VALU_DEP_3) | instskip(NEXT) | instid1(VALU_DEP_3)
	v_cmp_neq_f32_e64 s3, v32, v29
	v_fma_f32 v24, v25, v24, v25
	v_cmp_class_f32_e64 s4, v25, 0x204
	s_and_b32 s3, s2, s3
	s_wait_alu 0xfffe
	v_cndmask_b32_e64 v28, 1.0, v27, s3
	v_cndmask_b32_e64 v30, 0, v27, s3
	v_cndmask_b32_e64 v24, v24, v25, s4
	;; [unrolled: 1-line block ×3, first 2 shown]
	v_cmp_gt_f32_e64 s4, 0, v26
	v_cmp_class_f32_e64 s3, v27, 0x204
	s_delay_alu instid0(VALU_DEP_4) | instskip(SKIP_3) | instid1(VALU_DEP_2)
	v_bfi_b32 v24, 0x7fffffff, v24, v28
	s_xor_b32 s4, s4, s5
	s_wait_alu 0xfffe
	v_cndmask_b32_e64 v28, 0x7f800000, 0, s4
	v_cndmask_b32_e64 v29, 0x7fc00000, v24, s2
	v_cmp_neq_f32_e64 s2, |v27|, 1.0
	s_delay_alu instid0(VALU_DEP_3) | instskip(SKIP_1) | instid1(VALU_DEP_2)
	v_bfi_b32 v28, 0x7fffffff, v28, v30
	s_wait_alu 0xf1ff
	v_cndmask_b32_e64 v25, 1.0, v25, s2
	v_cmp_gt_f32_e64 s2, 0, v27
	s_wait_alu 0xf1ff
	s_delay_alu instid0(VALU_DEP_1) | instskip(SKIP_2) | instid1(VALU_DEP_1)
	v_cndmask_b32_e64 v24, v24, v29, s2
	v_cmp_class_f32_e64 s2, v26, 0x204
	s_wait_alu 0xf1ff
	v_cndmask_b32_e64 v24, v24, v25, s2
	s_or_b32 s2, s5, s3
	s_wait_alu 0xfffe
	s_delay_alu instid0(VALU_DEP_1) | instskip(SKIP_2) | instid1(VALU_DEP_1)
	v_cndmask_b32_e64 v24, v24, v28, s2
	v_cmp_o_f32_e64 s2, v27, v26
	s_wait_alu 0xf1ff
	v_cndmask_b32_e64 v24, 0x7fc00000, v24, s2
	s_delay_alu instid0(VALU_DEP_1)
	v_cvt_f16_f32_e32 v26, v24
	v_add_co_u32 v24, s2, v14, s10
	s_wait_alu 0xf1ff
	v_add_co_ci_u32_e64 v25, null, s11, v15, s2
	global_store_b16 v[24:25], v26, off
	s_or_b32 exec_lo, exec_lo, s6
	s_and_saveexec_b32 s5, vcc_lo
	s_cbranch_execz .LBB70_3
.LBB70_19:                              ;   in Loop: Header=BB70_4 Depth=1
	s_wait_loadcnt 0x0
	v_cmp_neq_f16_e32 vcc_lo, 1.0, v23
	v_cvt_f32_f16_e32 v23, v23
	s_wait_alu 0xfffd
	v_cndmask_b32_e64 v25, 1.0, s26, vcc_lo
	s_delay_alu instid0(VALU_DEP_1) | instskip(SKIP_3) | instid1(VALU_DEP_1)
	v_cmp_neq_f32_e32 vcc_lo, 0, v25
	v_cmp_neq_f32_e64 s6, v25, |v25|
	s_wait_alu 0xfffd
	v_cndmask_b32_e32 v26, 1.0, v23, vcc_lo
	v_frexp_mant_f32_e64 v23, |v26|
	s_delay_alu instid0(VALU_DEP_1) | instskip(SKIP_2) | instid1(VALU_DEP_1)
	v_cmp_gt_f32_e32 vcc_lo, 0x3f2aaaab, v23
	s_wait_alu 0xfffd
	v_cndmask_b32_e64 v24, 1.0, 2.0, vcc_lo
	v_mul_f32_e32 v23, v23, v24
	v_cmp_lt_f32_e64 s25, |v26|, 1.0
	v_cmp_eq_f32_e64 s4, 0, v26
	s_delay_alu instid0(VALU_DEP_3) | instskip(SKIP_2) | instid1(VALU_DEP_2)
	v_add_f32_e32 v24, 1.0, v23
	v_add_f32_e32 v28, -1.0, v23
	s_xor_b32 s6, s6, s25
	v_add_f32_e32 v30, -1.0, v24
	s_delay_alu instid0(VALU_DEP_1) | instskip(SKIP_1) | instid1(TRANS32_DEP_1)
	v_sub_f32_e32 v23, v23, v30
	v_rcp_f32_e32 v27, v24
	v_mul_f32_e32 v29, v28, v27
	s_delay_alu instid0(VALU_DEP_1) | instskip(NEXT) | instid1(VALU_DEP_1)
	v_mul_f32_e32 v31, v24, v29
	v_fma_f32 v24, v29, v24, -v31
	s_delay_alu instid0(VALU_DEP_1) | instskip(NEXT) | instid1(VALU_DEP_1)
	v_fmac_f32_e32 v24, v29, v23
	v_add_f32_e32 v23, v31, v24
	s_delay_alu instid0(VALU_DEP_1) | instskip(NEXT) | instid1(VALU_DEP_1)
	v_sub_f32_e32 v30, v28, v23
	v_dual_sub_f32 v28, v28, v30 :: v_dual_sub_f32 v31, v23, v31
	s_delay_alu instid0(VALU_DEP_1) | instskip(NEXT) | instid1(VALU_DEP_1)
	v_dual_sub_f32 v23, v28, v23 :: v_dual_sub_f32 v24, v31, v24
	v_add_f32_e32 v23, v24, v23
	s_delay_alu instid0(VALU_DEP_1) | instskip(NEXT) | instid1(VALU_DEP_1)
	v_add_f32_e32 v23, v30, v23
	v_mul_f32_e32 v23, v27, v23
	s_delay_alu instid0(VALU_DEP_1) | instskip(NEXT) | instid1(VALU_DEP_1)
	v_add_f32_e32 v27, v29, v23
	v_sub_f32_e32 v24, v27, v29
	s_delay_alu instid0(VALU_DEP_1) | instskip(NEXT) | instid1(VALU_DEP_1)
	v_sub_f32_e32 v29, v23, v24
	v_dual_mul_f32 v28, v27, v27 :: v_dual_add_f32 v23, v29, v29
	s_delay_alu instid0(VALU_DEP_1) | instskip(NEXT) | instid1(VALU_DEP_1)
	v_fma_f32 v30, v27, v27, -v28
	v_fmac_f32_e32 v30, v27, v23
	v_cvt_f64_f32_e64 v[23:24], |v26|
	s_delay_alu instid0(VALU_DEP_2) | instskip(NEXT) | instid1(VALU_DEP_1)
	v_add_f32_e32 v31, v28, v30
	v_fmaak_f32 v32, s24, v31, 0x3e91f4c4
	v_sub_f32_e32 v28, v31, v28
	s_delay_alu instid0(VALU_DEP_2) | instskip(NEXT) | instid1(VALU_DEP_2)
	v_fmaak_f32 v32, v31, v32, 0x3ecccdef
	v_sub_f32_e32 v28, v30, v28
	s_delay_alu instid0(VALU_DEP_2) | instskip(NEXT) | instid1(VALU_DEP_1)
	v_mul_f32_e32 v33, v31, v32
	v_fma_f32 v30, v31, v32, -v33
	s_delay_alu instid0(VALU_DEP_1) | instskip(NEXT) | instid1(VALU_DEP_1)
	v_dual_fmac_f32 v30, v28, v32 :: v_dual_mul_f32 v35, v27, v31
	v_add_f32_e32 v32, v33, v30
	v_frexp_exp_i32_f64_e32 v23, v[23:24]
	s_delay_alu instid0(VALU_DEP_2) | instskip(NEXT) | instid1(VALU_DEP_1)
	v_sub_f32_e32 v33, v32, v33
	v_sub_f32_e32 v24, v30, v33
	v_fma_f32 v33, v31, v27, -v35
	s_delay_alu instid0(VALU_DEP_1) | instskip(SKIP_2) | instid1(VALU_DEP_2)
	v_dual_add_f32 v24, 0x31739010, v24 :: v_dual_fmac_f32 v33, v31, v29
	v_add_f32_e32 v34, 0x3f2aaaaa, v32
	v_ldexp_f32 v29, v29, 1
	v_dual_fmac_f32 v33, v28, v27 :: v_dual_add_f32 v30, 0xbf2aaaaa, v34
	s_delay_alu instid0(VALU_DEP_1) | instskip(NEXT) | instid1(VALU_DEP_1)
	v_sub_f32_e32 v30, v32, v30
	v_add_f32_e32 v24, v24, v30
	s_delay_alu instid0(VALU_DEP_1) | instskip(SKIP_1) | instid1(VALU_DEP_2)
	v_add_f32_e32 v28, v34, v24
	v_subrev_co_ci_u32_e64 v23, null, 0, v23, vcc_lo
	v_sub_f32_e32 v31, v34, v28
	s_delay_alu instid0(VALU_DEP_2) | instskip(SKIP_1) | instid1(VALU_DEP_3)
	v_cvt_f32_i32_e32 v23, v23
	v_add_f32_e32 v30, v35, v33
	v_add_f32_e32 v24, v24, v31
	s_delay_alu instid0(VALU_DEP_2) | instskip(SKIP_1) | instid1(VALU_DEP_2)
	v_mul_f32_e32 v32, v30, v28
	v_sub_f32_e32 v34, v30, v35
	v_fma_f32 v31, v30, v28, -v32
	s_delay_alu instid0(VALU_DEP_2) | instskip(NEXT) | instid1(VALU_DEP_2)
	v_sub_f32_e32 v33, v33, v34
	v_fmac_f32_e32 v31, v30, v24
	v_ldexp_f32 v24, v27, 1
	s_delay_alu instid0(VALU_DEP_2) | instskip(NEXT) | instid1(VALU_DEP_1)
	v_fmac_f32_e32 v31, v33, v28
	v_add_f32_e32 v27, v32, v31
	s_delay_alu instid0(VALU_DEP_1) | instskip(SKIP_2) | instid1(VALU_DEP_3)
	v_add_f32_e32 v28, v24, v27
	v_sub_f32_e32 v30, v27, v32
	v_mul_f32_e32 v32, 0x3f317218, v23
	v_sub_f32_e32 v24, v28, v24
	s_delay_alu instid0(VALU_DEP_3) | instskip(NEXT) | instid1(VALU_DEP_3)
	v_sub_f32_e32 v30, v31, v30
	v_fma_f32 v31, 0x3f317218, v23, -v32
	s_delay_alu instid0(VALU_DEP_2) | instskip(NEXT) | instid1(VALU_DEP_2)
	v_dual_sub_f32 v24, v27, v24 :: v_dual_add_f32 v27, v29, v30
	v_fmac_f32_e32 v31, 0xb102e308, v23
	s_delay_alu instid0(VALU_DEP_2) | instskip(NEXT) | instid1(VALU_DEP_1)
	v_add_f32_e32 v23, v27, v24
	v_add_f32_e32 v27, v28, v23
	s_delay_alu instid0(VALU_DEP_1) | instskip(NEXT) | instid1(VALU_DEP_1)
	v_sub_f32_e32 v28, v27, v28
	v_dual_sub_f32 v23, v23, v28 :: v_dual_add_f32 v24, v32, v31
	s_delay_alu instid0(VALU_DEP_1) | instskip(NEXT) | instid1(VALU_DEP_1)
	v_sub_f32_e32 v32, v24, v32
	v_sub_f32_e32 v31, v31, v32
	v_add_f32_e32 v29, v24, v27
	s_delay_alu instid0(VALU_DEP_2) | instskip(NEXT) | instid1(VALU_DEP_2)
	v_add_f32_e32 v28, v31, v23
	v_sub_f32_e32 v30, v29, v24
	s_delay_alu instid0(VALU_DEP_1) | instskip(NEXT) | instid1(VALU_DEP_1)
	v_sub_f32_e32 v33, v29, v30
	v_dual_sub_f32 v27, v27, v30 :: v_dual_sub_f32 v24, v24, v33
	s_delay_alu instid0(VALU_DEP_1) | instskip(NEXT) | instid1(VALU_DEP_1)
	v_dual_add_f32 v24, v27, v24 :: v_dual_sub_f32 v27, v28, v31
	v_add_f32_e32 v24, v28, v24
	s_delay_alu instid0(VALU_DEP_2) | instskip(NEXT) | instid1(VALU_DEP_2)
	v_sub_f32_e32 v28, v28, v27
	v_dual_sub_f32 v23, v23, v27 :: v_dual_add_f32 v30, v29, v24
	s_delay_alu instid0(VALU_DEP_1) | instskip(NEXT) | instid1(VALU_DEP_1)
	v_dual_sub_f32 v27, v31, v28 :: v_dual_sub_f32 v28, v30, v29
	v_dual_add_f32 v23, v23, v27 :: v_dual_sub_f32 v24, v24, v28
	s_delay_alu instid0(VALU_DEP_1) | instskip(NEXT) | instid1(VALU_DEP_1)
	v_add_f32_e32 v23, v23, v24
	v_add_f32_e32 v24, v30, v23
	s_delay_alu instid0(VALU_DEP_1) | instskip(NEXT) | instid1(VALU_DEP_1)
	v_dual_sub_f32 v27, v24, v30 :: v_dual_mul_f32 v28, v25, v24
	v_sub_f32_e32 v23, v23, v27
	s_delay_alu instid0(VALU_DEP_2) | instskip(SKIP_1) | instid1(VALU_DEP_2)
	v_fma_f32 v24, v25, v24, -v28
	v_cmp_class_f32_e64 vcc_lo, v28, 0x204
	v_fmac_f32_e32 v24, v25, v23
	s_delay_alu instid0(VALU_DEP_1) | instskip(SKIP_1) | instid1(VALU_DEP_1)
	v_add_f32_e32 v23, v28, v24
	s_wait_alu 0xfffd
	v_cndmask_b32_e32 v27, v23, v28, vcc_lo
	s_delay_alu instid0(VALU_DEP_1) | instskip(SKIP_3) | instid1(VALU_DEP_2)
	v_cmp_eq_f32_e32 vcc_lo, 0x42b17218, v27
	s_wait_alu 0xfffd
	v_cndmask_b32_e64 v29, 0, 0x37000000, vcc_lo
	v_cmp_neq_f32_e64 vcc_lo, 0x7f800000, |v27|
	v_sub_f32_e32 v30, v27, v29
	v_sub_f32_e32 v23, v23, v28
	v_trunc_f32_e32 v27, v25
	s_delay_alu instid0(VALU_DEP_3) | instskip(NEXT) | instid1(VALU_DEP_3)
	v_mul_f32_e32 v31, 0x3fb8aa3b, v30
	v_sub_f32_e32 v23, v24, v23
	s_delay_alu instid0(VALU_DEP_2) | instskip(SKIP_2) | instid1(VALU_DEP_3)
	v_fma_f32 v32, 0x3fb8aa3b, v30, -v31
	v_rndne_f32_e32 v33, v31
	s_wait_alu 0xfffd
	v_cndmask_b32_e32 v23, 0, v23, vcc_lo
	v_cmp_ngt_f32_e32 vcc_lo, 0xc2ce8ed0, v30
	s_delay_alu instid0(VALU_DEP_3) | instskip(SKIP_1) | instid1(VALU_DEP_4)
	v_dual_fmac_f32 v32, 0x32a5705f, v30 :: v_dual_sub_f32 v31, v31, v33
	v_cvt_i32_f32_e32 v28, v33
	v_add_f32_e32 v23, v29, v23
	s_delay_alu instid0(VALU_DEP_3) | instskip(NEXT) | instid1(VALU_DEP_1)
	v_add_f32_e32 v31, v31, v32
	v_exp_f32_e32 v31, v31
	s_delay_alu instid0(TRANS32_DEP_1) | instskip(SKIP_2) | instid1(VALU_DEP_2)
	v_ldexp_f32 v24, v31, v28
	v_mul_f32_e32 v28, 0.5, v25
	s_wait_alu 0xfffd
	v_cndmask_b32_e32 v24, 0, v24, vcc_lo
	v_cmp_nlt_f32_e32 vcc_lo, 0x42b17218, v30
	s_delay_alu instid0(VALU_DEP_3) | instskip(SKIP_1) | instid1(VALU_DEP_3)
	v_trunc_f32_e32 v31, v28
	s_wait_alu 0xfffd
	v_cndmask_b32_e32 v24, 0x7f800000, v24, vcc_lo
	v_cmp_eq_f32_e32 vcc_lo, v27, v25
	s_delay_alu instid0(VALU_DEP_3) | instskip(NEXT) | instid1(VALU_DEP_3)
	v_cmp_neq_f32_e64 s2, v31, v28
	v_fma_f32 v23, v24, v23, v24
	v_cmp_class_f32_e64 s3, v24, 0x204
	s_and_b32 s2, vcc_lo, s2
	s_wait_alu 0xfffe
	v_cndmask_b32_e64 v27, 1.0, v26, s2
	v_cndmask_b32_e64 v29, 0, v26, s2
	v_cndmask_b32_e64 v23, v23, v24, s3
	;; [unrolled: 1-line block ×3, first 2 shown]
	v_cmp_gt_f32_e64 s3, 0, v25
	v_cmp_class_f32_e64 s2, v26, 0x204
	s_delay_alu instid0(VALU_DEP_4) | instskip(SKIP_3) | instid1(VALU_DEP_2)
	v_bfi_b32 v23, 0x7fffffff, v23, v27
	s_xor_b32 s3, s3, s4
	s_wait_alu 0xfffe
	v_cndmask_b32_e64 v27, 0x7f800000, 0, s3
	v_cndmask_b32_e32 v28, 0x7fc00000, v23, vcc_lo
	v_cmp_neq_f32_e64 vcc_lo, |v26|, 1.0
	s_delay_alu instid0(VALU_DEP_3)
	v_bfi_b32 v27, 0x7fffffff, v27, v29
	s_wait_alu 0xfffd
	v_cndmask_b32_e32 v24, 1.0, v24, vcc_lo
	v_cmp_gt_f32_e32 vcc_lo, 0, v26
	s_wait_alu 0xfffd
	v_cndmask_b32_e32 v23, v23, v28, vcc_lo
	v_cmp_class_f32_e64 vcc_lo, v25, 0x204
	s_wait_alu 0xfffd
	s_delay_alu instid0(VALU_DEP_2) | instskip(SKIP_2) | instid1(VALU_DEP_1)
	v_cndmask_b32_e32 v23, v23, v24, vcc_lo
	s_or_b32 vcc_lo, s4, s2
	s_wait_alu 0xfffe
	v_cndmask_b32_e32 v23, v23, v27, vcc_lo
	v_cmp_o_f32_e32 vcc_lo, v26, v25
	s_wait_alu 0xfffd
	s_delay_alu instid0(VALU_DEP_2) | instskip(NEXT) | instid1(VALU_DEP_1)
	v_cndmask_b32_e32 v23, 0x7fc00000, v23, vcc_lo
	v_cvt_f16_f32_e32 v25, v23
	v_add_co_u32 v23, vcc_lo, v7, s10
	s_wait_alu 0xfffd
	v_add_co_ci_u32_e64 v24, null, s11, v8, vcc_lo
	global_store_b16 v[23:24], v25, off
	s_branch .LBB70_3
.LBB70_20:
	s_mov_b32 s6, 0
.LBB70_21:
	s_wait_alu 0xfffe
	s_and_not1_b32 vcc_lo, exec_lo, s6
	s_wait_alu 0xfffe
	s_cbranch_vccnz .LBB70_25
; %bb.22:
	v_cmp_gt_i64_e64 s2, 0x10000, s[8:9]
	v_dual_mov_b32 v2, 0 :: v_dual_lshlrev_b32 v1, 2, v0
	s_mov_b32 s25, 0
	s_and_b32 s2, s2, exec_lo
	s_cselect_b32 s23, s9, 0
	s_cselect_b32 s22, s8, 0x10000
	s_mov_b32 s2, exec_lo
	s_wait_alu 0xfffe
	v_cmpx_gt_i64_e64 s[22:23], v[1:2]
	s_cbranch_execz .LBB70_25
; %bb.23:
	s_load_b32 s0, s[0:1], 0xc5c
	v_mov_b32_e32 v1, v2
	v_lshlrev_b32_e32 v5, 3, v0
	s_mov_b32 s28, 0x3e76c4e1
	s_mov_b32 s29, s25
	s_wait_kmcnt 0x0
	s_and_b32 s27, s0, 0xffff
	s_wait_alu 0xfffe
	s_lshl_b32 s24, s27, 3
.LBB70_24:                              ; =>This Inner Loop Header: Depth=1
	v_add_co_u32 v2, s0, s18, v5
	s_wait_alu 0xf1ff
	v_add_co_ci_u32_e64 v3, null, s19, 0, s0
	v_add_co_u32 v0, vcc_lo, v0, s27
	s_wait_alu 0xfffd
	v_add_co_ci_u32_e64 v1, null, 0, v1, vcc_lo
	s_clause 0x2
	global_load_u16 v4, v[2:3], off offset:6
	global_load_b32 v6, v[2:3], off offset:2
	global_load_b64 v[2:3], v[2:3], off
	s_wait_loadcnt 0x0
	v_add_co_u32 v3, s30, s20, v5
	s_wait_alu 0xfffe
	s_add_nc_u64 s[18:19], s[18:19], s[24:25]
	v_cvt_f32_f16_e32 v10, v4
	v_lshrrev_b32_e32 v8, 16, v6
	v_cmp_neq_f16_e32 vcc_lo, 1.0, v2
	v_cvt_f32_f16_e32 v7, v2
	v_cvt_f32_f16_e32 v9, v6
	s_delay_alu instid0(VALU_DEP_4) | instskip(SKIP_3) | instid1(VALU_DEP_2)
	v_cvt_f32_f16_e32 v15, v8
	s_wait_alu 0xfffd
	v_cndmask_b32_e64 v2, 1.0, s26, vcc_lo
	v_cmp_neq_f16_e32 vcc_lo, 1.0, v6
	v_trunc_f32_e32 v11, v2
	s_wait_alu 0xfffd
	v_cndmask_b32_e64 v6, 1.0, s26, vcc_lo
	v_cmp_neq_f16_e32 vcc_lo, 1.0, v4
	v_cmp_neq_f32_e64 s11, v2, |v2|
	v_cmp_gt_f32_e64 s5, 0, v2
	v_cmp_eq_f32_e64 s1, v11, v2
	v_trunc_f32_e32 v13, v6
	s_wait_alu 0xfffd
	v_cndmask_b32_e64 v4, 1.0, s26, vcc_lo
	v_cmp_neq_f32_e32 vcc_lo, 0, v2
	v_mul_f32_e32 v12, 0.5, v2
	v_cmp_neq_f32_e64 s14, v6, |v6|
	v_cmp_gt_f32_e64 s6, 0, v6
	v_cmp_eq_f32_e64 s3, v13, v6
	s_wait_alu 0xfffd
	v_cndmask_b32_e32 v7, 1.0, v7, vcc_lo
	v_cmp_neq_f32_e32 vcc_lo, 0, v6
	v_mul_f32_e32 v14, 0.5, v6
	v_trunc_f32_e32 v19, v12
	v_trunc_f32_e32 v16, v4
	v_frexp_mant_f32_e64 v18, |v7|
	s_wait_alu 0xfffd
	v_cndmask_b32_e32 v9, 1.0, v9, vcc_lo
	v_cmp_neq_f16_e32 vcc_lo, 1.0, v8
	v_cmp_lt_f32_e64 s12, |v7|, 1.0
	v_trunc_f32_e32 v13, v14
	v_cmp_gt_f32_e64 s9, 0x3f2aaaab, v18
	v_mul_f32_e32 v17, 0.5, v4
	s_wait_alu 0xfffd
	v_cndmask_b32_e64 v8, 1.0, s26, vcc_lo
	v_cmp_neq_f32_e32 vcc_lo, 0, v4
	v_frexp_mant_f32_e64 v20, |v9|
	v_cmp_lt_f32_e64 s15, |v9|, 1.0
	s_xor_b32 s11, s11, s12
	v_cmp_neq_f32_e64 s2, 0, v8
	s_wait_alu 0xfffd
	v_cndmask_b32_e32 v10, 1.0, v10, vcc_lo
	v_cmp_eq_f32_e32 vcc_lo, 0, v7
	v_cmp_eq_f32_e64 s0, 0, v9
	v_cndmask_b32_e64 v23, 1.0, 2.0, s9
	s_wait_alu 0xf1ff
	v_cndmask_b32_e64 v11, 1.0, v15, s2
	v_frexp_mant_f32_e64 v22, |v10|
	s_xor_b32 s5, s5, vcc_lo
	v_trunc_f32_e32 v15, v8
	v_cmp_neq_f32_e64 s10, v19, v12
	s_wait_alu 0xfffe
	v_cndmask_b32_e64 v12, 0x7f800000, 0, s11
	v_cmp_neq_f32_e64 s11, |v7|, 1.0
	v_cndmask_b32_e64 v19, 0x7f800000, 0, s5
	v_cmp_gt_f32_e64 s12, 0x3f2aaaab, v20
	s_xor_b32 s5, s14, s15
	v_frexp_mant_f32_e64 v34, |v11|
	v_cmp_gt_f32_e64 s15, 0x3f2aaaab, v22
	v_dual_mul_f32 v21, 0.5, v8 :: v_dual_mul_f32 v36, v18, v23
	v_cndmask_b32_e64 v32, 1.0, 2.0, s12
	v_cmp_neq_f32_e64 s13, v13, v14
	s_wait_alu 0xfffe
	v_cndmask_b32_e64 v13, 0x7f800000, 0, s5
	s_xor_b32 s5, s6, s0
	v_cmp_eq_f32_e64 s6, v15, v8
	v_cndmask_b32_e64 v15, 1.0, 2.0, s15
	v_cndmask_b32_e64 v12, 1.0, v12, s11
	v_cmp_gt_f32_e64 s11, 0x3f2aaaab, v34
	v_cvt_f64_f32_e64 v[24:25], |v7|
	v_cvt_f64_f32_e64 v[26:27], |v9|
	;; [unrolled: 1-line block ×3, first 2 shown]
	v_cmp_neq_f32_e64 s17, v4, |v4|
	v_cmp_eq_f32_e64 s4, v16, v4
	v_trunc_f32_e32 v16, v17
	v_cmp_lt_f32_e64 s37, |v10|, 1.0
	v_dual_mul_f32 v38, v22, v15 :: v_dual_add_f32 v41, -1.0, v36
	v_mul_f32_e32 v32, v20, v32
	s_wait_alu 0xf1ff
	v_cndmask_b32_e64 v20, 1.0, 2.0, s11
	v_cmp_gt_f32_e64 s7, 0, v4
	v_cmp_gt_f32_e64 s8, 0, v8
	v_cmp_eq_f32_e64 s2, 0, v10
	s_wait_alu 0xfffe
	v_cndmask_b32_e64 v33, 0x7f800000, 0, s5
	v_cmp_eq_f32_e64 s5, 0, v11
	v_cmp_neq_f32_e64 s16, v16, v17
	s_xor_b32 s17, s17, s37
	v_trunc_f32_e32 v14, v21
	s_wait_alu 0xfffe
	v_cndmask_b32_e64 v17, 0x7f800000, 0, s17
	v_cmp_neq_f32_e64 s17, |v10|, 1.0
	v_add_f32_e32 v45, -1.0, v38
	v_dual_add_f32 v43, -1.0, v32 :: v_dual_add_f32 v46, 1.0, v38
	v_mul_f32_e32 v34, v34, v20
	s_xor_b32 s7, s7, s2
	s_xor_b32 s8, s8, s5
	v_cmp_neq_f32_e64 s36, v8, |v8|
	v_cmp_neq_f32_e64 s14, |v9|, 1.0
	v_cmp_lt_f32_e64 s38, |v11|, 1.0
	s_wait_alu 0xfffe
	v_cndmask_b32_e64 v35, 0x7f800000, 0, s7
	s_and_b32 s7, s1, s10
	s_and_b32 s10, s3, s13
	v_cndmask_b32_e64 v37, 0x7f800000, 0, s8
	s_and_b32 s8, s4, s16
	v_cmp_neq_f32_e64 s13, v14, v21
	v_cndmask_b32_e64 v14, 1.0, v17, s17
	s_wait_alu 0xfffe
	v_cndmask_b32_e64 v17, 0, v7, s7
	v_cndmask_b32_e64 v39, 0, v9, s10
	;; [unrolled: 1-line block ×3, first 2 shown]
	v_dual_add_f32 v49, -1.0, v46 :: v_dual_add_f32 v42, 1.0, v36
	v_dual_add_f32 v47, -1.0, v34 :: v_dual_add_f32 v44, 1.0, v32
	v_cndmask_b32_e64 v13, 1.0, v13, s14
	s_xor_b32 s14, s36, s38
	v_bfi_b32 v20, 0x7fffffff, v19, v17
	s_wait_alu 0xfffe
	v_cndmask_b32_e64 v21, 0x7f800000, 0, s14
	v_cmp_neq_f32_e64 s14, |v11|, 1.0
	v_bfi_b32 v19, 0x7fffffff, v33, v39
	v_bfi_b32 v17, 0x7fffffff, v35, v40
	v_add_f32_e32 v33, -1.0, v42
	v_rcp_f32_e32 v40, v44
	v_cvt_f64_f32_e64 v[30:31], |v11|
	v_cndmask_b32_e64 v16, 1.0, v7, s7
	s_and_b32 s7, s6, s13
	v_cndmask_b32_e64 v15, 1.0, v21, s14
	s_wait_alu 0xfffe
	v_cndmask_b32_e64 v21, 0, v11, s7
	v_rcp_f32_e32 v35, v42
	v_dual_add_f32 v39, -1.0, v44 :: v_dual_add_f32 v48, 1.0, v34
	v_rcp_f32_e32 v50, v46
	s_delay_alu instid0(VALU_DEP_2) | instskip(SKIP_1) | instid1(VALU_DEP_3)
	v_bfi_b32 v21, 0x7fffffff, v37, v21
	v_sub_f32_e32 v38, v38, v49
	v_dual_sub_f32 v32, v32, v39 :: v_dual_add_f32 v37, -1.0, v48
	v_mul_f32_e32 v49, v43, v40
	v_frexp_exp_i32_f64_e32 v24, v[24:25]
	s_delay_alu instid0(TRANS32_DEP_2) | instskip(SKIP_1) | instid1(TRANS32_DEP_1)
	v_mul_f32_e32 v39, v41, v35
	v_frexp_exp_i32_f64_e32 v25, v[26:27]
	v_dual_sub_f32 v34, v34, v37 :: v_dual_mul_f32 v51, v45, v50
	v_mul_f32_e32 v52, v44, v49
	v_sub_f32_e32 v33, v36, v33
	v_rcp_f32_e32 v36, v48
	v_frexp_exp_i32_f64_e32 v26, v[28:29]
	v_mul_f32_e32 v54, v46, v51
	v_fma_f32 v28, v49, v44, -v52
	v_mul_f32_e32 v37, v42, v39
	v_cmp_class_f32_e64 s31, v7, 0x204
	v_cndmask_b32_e64 v22, 1.0, v10, s8
	v_cndmask_b32_e64 v23, 1.0, v11, s7
	v_fmac_f32_e32 v28, v49, v32
	v_fma_f32 v27, v39, v42, -v37
	v_fma_f32 v42, v51, v46, -v54
	s_or_b32 vcc_lo, vcc_lo, s31
	v_cndmask_b32_e64 v18, 1.0, v9, s10
	v_cmp_class_f32_e64 s33, v9, 0x204
	v_fmac_f32_e32 v27, v39, v33
	v_mul_f32_e32 v53, v47, v36
	v_fmac_f32_e32 v42, v51, v38
	v_frexp_exp_i32_f64_e32 v30, v[30:31]
	v_cmp_class_f32_e64 s34, v10, 0x204
	s_delay_alu instid0(VALU_DEP_4)
	v_dual_add_f32 v32, v37, v27 :: v_dual_mul_f32 v29, v48, v53
	v_cmp_class_f32_e64 s35, v11, 0x204
	s_or_b32 s0, s0, s33
	s_or_b32 s2, s2, s34
	v_dual_sub_f32 v37, v32, v37 :: v_dual_sub_f32 v38, v41, v32
	v_fma_f32 v31, v53, v48, -v29
	s_delay_alu instid0(VALU_DEP_1) | instskip(SKIP_1) | instid1(VALU_DEP_4)
	v_fmac_f32_e32 v31, v53, v34
	v_dual_add_f32 v33, v52, v28 :: v_dual_add_f32 v34, v54, v42
	v_sub_f32_e32 v27, v37, v27
	v_subrev_co_ci_u32_e64 v25, null, 0, v25, s12
	s_delay_alu instid0(VALU_DEP_4) | instskip(NEXT) | instid1(VALU_DEP_4)
	v_add_f32_e32 v48, v29, v31
	v_sub_f32_e32 v46, v43, v33
	v_sub_f32_e32 v44, v33, v52
	v_sub_f32_e32 v52, v34, v54
	s_delay_alu instid0(VALU_DEP_4) | instskip(NEXT) | instid1(VALU_DEP_4)
	v_dual_sub_f32 v54, v45, v34 :: v_dual_sub_f32 v29, v48, v29
	v_sub_f32_e32 v37, v43, v46
	s_delay_alu instid0(VALU_DEP_4) | instskip(NEXT) | instid1(VALU_DEP_3)
	v_dual_sub_f32 v41, v41, v38 :: v_dual_sub_f32 v28, v44, v28
	v_dual_sub_f32 v43, v47, v48 :: v_dual_sub_f32 v44, v45, v54
	s_delay_alu instid0(VALU_DEP_3) | instskip(NEXT) | instid1(VALU_DEP_2)
	v_dual_sub_f32 v42, v52, v42 :: v_dual_sub_f32 v33, v37, v33
	v_dual_sub_f32 v32, v41, v32 :: v_dual_sub_f32 v37, v47, v43
	s_delay_alu instid0(VALU_DEP_3) | instskip(NEXT) | instid1(VALU_DEP_2)
	v_dual_sub_f32 v34, v44, v34 :: v_dual_sub_f32 v29, v29, v31
	v_dual_add_f32 v28, v28, v33 :: v_dual_add_f32 v27, v27, v32
	s_delay_alu instid0(VALU_DEP_2) | instskip(SKIP_1) | instid1(VALU_DEP_3)
	v_dual_sub_f32 v31, v37, v48 :: v_dual_add_f32 v32, v42, v34
	v_cvt_f32_i32_e32 v25, v25
	v_add_f32_e32 v28, v46, v28
	v_subrev_co_ci_u32_e64 v24, null, 0, v24, s9
	s_delay_alu instid0(VALU_DEP_4) | instskip(NEXT) | instid1(VALU_DEP_3)
	v_add_f32_e32 v29, v29, v31
	v_dual_add_f32 v27, v38, v27 :: v_dual_mul_f32 v28, v40, v28
	s_delay_alu instid0(VALU_DEP_3) | instskip(SKIP_1) | instid1(VALU_DEP_4)
	v_cvt_f32_i32_e32 v24, v24
	v_subrev_co_ci_u32_e64 v26, null, 0, v26, s15
	v_add_f32_e32 v29, v43, v29
	s_delay_alu instid0(VALU_DEP_4) | instskip(SKIP_2) | instid1(VALU_DEP_4)
	v_mul_f32_e32 v27, v35, v27
	v_add_f32_e32 v33, v49, v28
	v_subrev_co_ci_u32_e64 v30, null, 0, v30, s11
	v_mul_f32_e32 v29, v36, v29
	v_dual_mul_f32 v36, 0x3f317218, v25 :: v_dual_add_f32 v31, v54, v32
	v_add_f32_e32 v32, v39, v27
	v_mul_f32_e32 v42, v33, v33
	v_cvt_f32_i32_e32 v26, v26
	v_cvt_f32_i32_e32 v30, v30
	v_mul_f32_e32 v31, v50, v31
	v_sub_f32_e32 v38, v32, v39
	v_mul_f32_e32 v39, v32, v32
	v_ldexp_f32 v40, v32, 1
	v_mul_f32_e32 v50, 0x3f317218, v30
	v_add_f32_e32 v34, v51, v31
	v_ldexp_f32 v43, v33, 1
	s_delay_alu instid0(VALU_DEP_2) | instskip(SKIP_2) | instid1(VALU_DEP_3)
	v_dual_mul_f32 v46, v34, v34 :: v_dual_mul_f32 v35, 0x3f317218, v24
	v_dual_add_f32 v44, v53, v29 :: v_dual_sub_f32 v45, v34, v51
	v_ldexp_f32 v47, v34, 1
	v_fma_f32 v48, 0x3f317218, v24, -v35
	v_sub_f32_e32 v41, v33, v49
	v_fma_f32 v49, 0x3f317218, v25, -v36
	v_sub_f32_e32 v52, v44, v53
	v_ldexp_f32 v54, v44, 1
	v_fmac_f32_e32 v48, 0xb102e308, v24
	v_dual_mul_f32 v37, 0x3f317218, v26 :: v_dual_sub_f32 v28, v28, v41
	v_fma_f32 v41, v33, v33, -v42
	v_fmac_f32_e32 v49, 0xb102e308, v25
	v_sub_f32_e32 v27, v27, v38
	s_delay_alu instid0(VALU_DEP_4)
	v_fma_f32 v51, 0x3f317218, v26, -v37
	v_add_f32_e32 v55, v28, v28
	v_fma_f32 v38, v32, v32, -v39
	v_add_f32_e32 v60, v36, v49
	v_fma_f32 v24, 0x3f317218, v30, -v50
	v_mul_f32_e32 v53, v44, v44
	v_fmac_f32_e32 v41, v33, v55
	s_delay_alu instid0(VALU_DEP_4) | instskip(NEXT) | instid1(VALU_DEP_4)
	v_dual_add_f32 v25, v27, v27 :: v_dual_sub_f32 v36, v60, v36
	v_dual_fmac_f32 v24, 0xb102e308, v30 :: v_dual_sub_f32 v29, v29, v52
	s_delay_alu instid0(VALU_DEP_3) | instskip(NEXT) | instid1(VALU_DEP_3)
	v_dual_add_f32 v62, v42, v41 :: v_dual_fmac_f32 v51, 0xb102e308, v26
	v_fmac_f32_e32 v38, v32, v25
	v_sub_f32_e32 v31, v31, v45
	v_fma_f32 v45, v34, v34, -v46
	v_sub_f32_e32 v36, v49, v36
	s_delay_alu instid0(VALU_DEP_4) | instskip(NEXT) | instid1(VALU_DEP_4)
	v_dual_add_f32 v30, v37, v51 :: v_dual_add_f32 v61, v39, v38
	v_add_f32_e32 v57, v31, v31
	v_dual_add_f32 v59, v35, v48 :: v_dual_sub_f32 v42, v62, v42
	v_mul_f32_e32 v63, v33, v62
	s_delay_alu instid0(VALU_DEP_4) | instskip(NEXT) | instid1(VALU_DEP_4)
	v_fmaak_f32 v49, s28, v61, 0x3e91f4c4
	v_fmac_f32_e32 v45, v34, v57
	s_delay_alu instid0(VALU_DEP_4) | instskip(SKIP_4) | instid1(VALU_DEP_4)
	v_sub_f32_e32 v35, v59, v35
	v_add_f32_e32 v57, v50, v24
	v_fma_f32 v52, v44, v44, -v53
	v_sub_f32_e32 v41, v41, v42
	v_fma_f32 v42, v62, v33, -v63
	v_dual_sub_f32 v35, v48, v35 :: v_dual_sub_f32 v48, v57, v50
	v_add_f32_e32 v25, v29, v29
	v_ldexp_f32 v26, v27, 1
	s_delay_alu instid0(VALU_DEP_4)
	v_fmac_f32_e32 v42, v62, v28
	v_ldexp_f32 v56, v28, 1
	v_sub_f32_e32 v24, v24, v48
	v_fmac_f32_e32 v52, v44, v25
	v_ldexp_f32 v58, v31, 1
	v_ldexp_f32 v55, v29, 1
	s_delay_alu instid0(VALU_DEP_3) | instskip(NEXT) | instid1(VALU_DEP_1)
	v_dual_add_f32 v64, v53, v52 :: v_dual_add_f32 v25, v46, v45
	v_dual_sub_f32 v53, v64, v53 :: v_dual_sub_f32 v46, v25, v46
	v_dual_mul_f32 v66, v34, v25 :: v_dual_sub_f32 v39, v61, v39
	v_mul_f32_e32 v50, v32, v61
	s_delay_alu instid0(VALU_DEP_3) | instskip(NEXT) | instid1(VALU_DEP_3)
	v_dual_sub_f32 v52, v52, v53 :: v_dual_sub_f32 v45, v45, v46
	v_fma_f32 v46, v25, v34, -v66
	v_sub_f32_e32 v37, v30, v37
	v_sub_f32_e32 v38, v38, v39
	v_fma_f32 v39, v61, v32, -v50
	s_delay_alu instid0(VALU_DEP_3) | instskip(SKIP_1) | instid1(VALU_DEP_3)
	v_dual_fmac_f32 v46, v25, v31 :: v_dual_sub_f32 v37, v51, v37
	v_fmaak_f32 v51, s28, v62, 0x3e91f4c4
	v_fmac_f32_e32 v39, v61, v27
	s_delay_alu instid0(VALU_DEP_1) | instskip(NEXT) | instid1(VALU_DEP_1)
	v_dual_fmac_f32 v46, v45, v34 :: v_dual_fmac_f32 v39, v38, v32
	v_add_f32_e32 v34, v50, v39
	v_fmaak_f32 v48, v61, v49, 0x3ecccdef
	s_delay_alu instid0(VALU_DEP_1) | instskip(NEXT) | instid1(VALU_DEP_1)
	v_mul_f32_e32 v27, v61, v48
	v_fma_f32 v32, v61, v48, -v27
	s_delay_alu instid0(VALU_DEP_1) | instskip(NEXT) | instid1(VALU_DEP_1)
	v_fmac_f32_e32 v32, v38, v48
	v_dual_add_f32 v48, v27, v32 :: v_dual_fmaak_f32 v49, v62, v51, 0x3ecccdef
	v_fmac_f32_e32 v42, v41, v33
	v_fmaak_f32 v65, s28, v25, 0x3e91f4c4
	s_delay_alu instid0(VALU_DEP_3) | instskip(NEXT) | instid1(VALU_DEP_2)
	v_dual_fmaak_f32 v51, s28, v64, 0x3e91f4c4 :: v_dual_mul_f32 v28, v62, v49
	v_dual_add_f32 v38, v63, v42 :: v_dual_fmaak_f32 v65, v25, v65, 0x3ecccdef
	s_delay_alu instid0(VALU_DEP_2) | instskip(NEXT) | instid1(VALU_DEP_2)
	v_fma_f32 v33, v62, v49, -v28
	v_mul_f32_e32 v31, v25, v65
	s_delay_alu instid0(VALU_DEP_2) | instskip(NEXT) | instid1(VALU_DEP_4)
	v_fmac_f32_e32 v33, v41, v49
	v_sub_f32_e32 v49, v38, v63
	s_delay_alu instid0(VALU_DEP_3) | instskip(NEXT) | instid1(VALU_DEP_2)
	v_fma_f32 v25, v25, v65, -v31
	v_sub_f32_e32 v42, v42, v49
	s_delay_alu instid0(VALU_DEP_2) | instskip(SKIP_2) | instid1(VALU_DEP_2)
	v_fmac_f32_e32 v25, v45, v65
	v_mul_f32_e32 v67, v44, v64
	v_dual_sub_f32 v45, v34, v50 :: v_dual_add_f32 v50, v28, v33
	v_fma_f32 v53, v64, v44, -v67
	s_delay_alu instid0(VALU_DEP_2) | instskip(NEXT) | instid1(VALU_DEP_1)
	v_dual_add_f32 v49, 0x3f2aaaaa, v50 :: v_dual_sub_f32 v28, v50, v28
	v_dual_fmac_f32 v53, v64, v29 :: v_dual_sub_f32 v28, v33, v28
	s_delay_alu instid0(VALU_DEP_2) | instskip(NEXT) | instid1(VALU_DEP_2)
	v_add_f32_e32 v33, 0xbf2aaaaa, v49
	v_dual_fmac_f32 v53, v52, v44 :: v_dual_add_f32 v44, v66, v46
	v_fmaak_f32 v51, v64, v51, 0x3ecccdef
	s_delay_alu instid0(VALU_DEP_3) | instskip(NEXT) | instid1(VALU_DEP_2)
	v_dual_add_f32 v28, 0x31739010, v28 :: v_dual_sub_f32 v33, v50, v33
	v_mul_f32_e32 v29, v64, v51
	s_delay_alu instid0(VALU_DEP_2) | instskip(NEXT) | instid1(VALU_DEP_2)
	v_add_f32_e32 v28, v28, v33
	v_fma_f32 v41, v64, v51, -v29
	s_delay_alu instid0(VALU_DEP_2) | instskip(NEXT) | instid1(VALU_DEP_2)
	v_add_f32_e32 v33, v49, v28
	v_dual_fmac_f32 v41, v52, v51 :: v_dual_add_f32 v52, v31, v25
	v_add_f32_e32 v61, v67, v53
	s_delay_alu instid0(VALU_DEP_1) | instskip(SKIP_1) | instid1(VALU_DEP_2)
	v_dual_sub_f32 v62, v61, v67 :: v_dual_sub_f32 v39, v39, v45
	v_add_f32_e32 v45, 0x3f2aaaaa, v48
	v_sub_f32_e32 v53, v53, v62
	v_sub_f32_e32 v27, v48, v27
	s_delay_alu instid0(VALU_DEP_1) | instskip(NEXT) | instid1(VALU_DEP_1)
	v_dual_sub_f32 v27, v32, v27 :: v_dual_add_f32 v32, 0xbf2aaaaa, v45
	v_dual_add_f32 v27, 0x31739010, v27 :: v_dual_sub_f32 v32, v48, v32
	v_sub_f32_e32 v48, v49, v33
	v_add_f32_e32 v63, v29, v41
	v_mul_f32_e32 v49, v38, v33
	s_delay_alu instid0(VALU_DEP_4) | instskip(NEXT) | instid1(VALU_DEP_4)
	v_add_f32_e32 v27, v27, v32
	v_add_f32_e32 v28, v28, v48
	s_delay_alu instid0(VALU_DEP_4) | instskip(NEXT) | instid1(VALU_DEP_4)
	v_dual_add_f32 v62, 0x3f2aaaaa, v63 :: v_dual_sub_f32 v29, v63, v29
	v_fma_f32 v48, v38, v33, -v49
	s_delay_alu instid0(VALU_DEP_2) | instskip(NEXT) | instid1(VALU_DEP_2)
	v_sub_f32_e32 v29, v41, v29
	v_dual_add_f32 v41, 0xbf2aaaaa, v62 :: v_dual_fmac_f32 v48, v38, v28
	s_delay_alu instid0(VALU_DEP_2) | instskip(NEXT) | instid1(VALU_DEP_2)
	v_add_f32_e32 v29, 0x31739010, v29
	v_sub_f32_e32 v32, v63, v41
	s_delay_alu instid0(VALU_DEP_1) | instskip(NEXT) | instid1(VALU_DEP_1)
	v_dual_fmac_f32 v48, v42, v33 :: v_dual_add_f32 v29, v29, v32
	v_dual_sub_f32 v51, v44, v66 :: v_dual_add_f32 v50, v62, v29
	s_delay_alu instid0(VALU_DEP_1) | instskip(NEXT) | instid1(VALU_DEP_2)
	v_dual_sub_f32 v46, v46, v51 :: v_dual_add_f32 v51, 0x3f2aaaaa, v52
	v_sub_f32_e32 v62, v62, v50
	v_mul_f32_e32 v63, v61, v50
	v_sub_f32_e32 v31, v52, v31
	s_delay_alu instid0(VALU_DEP_2) | instskip(NEXT) | instid1(VALU_DEP_2)
	v_fma_f32 v28, v61, v50, -v63
	v_sub_f32_e32 v25, v25, v31
	v_add_f32_e32 v31, 0xbf2aaaaa, v51
	s_delay_alu instid0(VALU_DEP_2) | instskip(NEXT) | instid1(VALU_DEP_2)
	v_add_f32_e32 v25, 0x31739010, v25
	v_sub_f32_e32 v31, v52, v31
	s_delay_alu instid0(VALU_DEP_1) | instskip(NEXT) | instid1(VALU_DEP_1)
	v_add_f32_e32 v25, v25, v31
	v_dual_add_f32 v31, v45, v27 :: v_dual_add_f32 v32, v51, v25
	s_delay_alu instid0(VALU_DEP_1) | instskip(SKIP_1) | instid1(VALU_DEP_3)
	v_sub_f32_e32 v41, v45, v31
	v_mul_f32_e32 v45, v34, v31
	v_sub_f32_e32 v51, v51, v32
	s_delay_alu instid0(VALU_DEP_3) | instskip(NEXT) | instid1(VALU_DEP_3)
	v_add_f32_e32 v27, v27, v41
	v_fma_f32 v41, v34, v31, -v45
	s_delay_alu instid0(VALU_DEP_3) | instskip(NEXT) | instid1(VALU_DEP_2)
	v_dual_mul_f32 v52, v44, v32 :: v_dual_add_f32 v25, v25, v51
	v_fmac_f32_e32 v41, v34, v27
	s_delay_alu instid0(VALU_DEP_2) | instskip(SKIP_1) | instid1(VALU_DEP_3)
	v_fma_f32 v51, v44, v32, -v52
	v_add_f32_e32 v27, v29, v62
	v_fmac_f32_e32 v41, v39, v31
	s_delay_alu instid0(VALU_DEP_2) | instskip(SKIP_1) | instid1(VALU_DEP_3)
	v_dual_fmac_f32 v51, v44, v25 :: v_dual_fmac_f32 v28, v61, v27
	v_add_f32_e32 v27, v49, v48
	v_add_f32_e32 v25, v45, v41
	s_delay_alu instid0(VALU_DEP_3) | instskip(NEXT) | instid1(VALU_DEP_3)
	v_fmac_f32_e32 v51, v46, v32
	v_sub_f32_e32 v33, v27, v49
	s_delay_alu instid0(VALU_DEP_3) | instskip(SKIP_1) | instid1(VALU_DEP_4)
	v_dual_add_f32 v34, v43, v27 :: v_dual_sub_f32 v31, v25, v45
	v_add_f32_e32 v32, v40, v25
	v_add_f32_e32 v29, v52, v51
	s_delay_alu instid0(VALU_DEP_4) | instskip(NEXT) | instid1(VALU_DEP_3)
	v_sub_f32_e32 v33, v48, v33
	v_dual_sub_f32 v31, v41, v31 :: v_dual_sub_f32 v40, v32, v40
	s_delay_alu instid0(VALU_DEP_3) | instskip(NEXT) | instid1(VALU_DEP_2)
	v_dual_sub_f32 v41, v34, v43 :: v_dual_add_f32 v42, v47, v29
	v_add_f32_e32 v26, v26, v31
	v_fmac_f32_e32 v28, v53, v50
	s_delay_alu instid0(VALU_DEP_4) | instskip(NEXT) | instid1(VALU_DEP_4)
	v_sub_f32_e32 v25, v25, v40
	v_sub_f32_e32 v27, v27, v41
	s_delay_alu instid0(VALU_DEP_3) | instskip(NEXT) | instid1(VALU_DEP_1)
	v_dual_add_f32 v31, v56, v33 :: v_dual_add_f32 v38, v63, v28
	v_dual_add_f32 v25, v26, v25 :: v_dual_add_f32 v26, v31, v27
	s_delay_alu instid0(VALU_DEP_2) | instskip(NEXT) | instid1(VALU_DEP_2)
	v_sub_f32_e32 v43, v38, v63
	v_dual_add_f32 v44, v54, v38 :: v_dual_add_f32 v31, v32, v25
	s_delay_alu instid0(VALU_DEP_2) | instskip(NEXT) | instid1(VALU_DEP_2)
	v_sub_f32_e32 v28, v28, v43
	v_dual_sub_f32 v33, v44, v54 :: v_dual_sub_f32 v32, v31, v32
	s_delay_alu instid0(VALU_DEP_1)
	v_dual_add_f32 v28, v55, v28 :: v_dual_sub_f32 v27, v38, v33
	v_add_f32_e32 v38, v59, v31
	v_sub_f32_e32 v45, v42, v47
	v_add_f32_e32 v33, v34, v26
	v_sub_f32_e32 v25, v25, v32
	;; [unrolled: 2-line block ×3, first 2 shown]
	s_delay_alu instid0(VALU_DEP_4) | instskip(NEXT) | instid1(VALU_DEP_2)
	v_sub_f32_e32 v34, v33, v34
	v_dual_add_f32 v40, v44, v27 :: v_dual_sub_f32 v31, v31, v32
	s_delay_alu instid0(VALU_DEP_1) | instskip(NEXT) | instid1(VALU_DEP_1)
	v_dual_sub_f32 v26, v26, v34 :: v_dual_sub_f32 v43, v40, v44
	v_dual_add_f32 v44, v57, v40 :: v_dual_sub_f32 v27, v27, v43
	s_delay_alu instid0(VALU_DEP_1) | instskip(NEXT) | instid1(VALU_DEP_1)
	v_sub_f32_e32 v43, v44, v57
	v_sub_f32_e32 v50, v44, v43
	;; [unrolled: 1-line block ×3, first 2 shown]
	s_delay_alu instid0(VALU_DEP_4) | instskip(SKIP_3) | instid1(VALU_DEP_3)
	v_add_f32_e32 v43, v24, v27
	v_sub_f32_e32 v39, v29, v52
	v_sub_f32_e32 v29, v29, v45
	v_dual_sub_f32 v45, v38, v32 :: v_dual_add_f32 v32, v35, v25
	v_sub_f32_e32 v39, v51, v39
	s_delay_alu instid0(VALU_DEP_2) | instskip(NEXT) | instid1(VALU_DEP_2)
	v_dual_sub_f32 v45, v59, v45 :: v_dual_sub_f32 v48, v32, v35
	v_add_f32_e32 v39, v58, v39
	s_delay_alu instid0(VALU_DEP_2) | instskip(NEXT) | instid1(VALU_DEP_3)
	v_add_f32_e32 v31, v31, v45
	v_sub_f32_e32 v45, v32, v48
	v_sub_f32_e32 v25, v25, v48
	s_delay_alu instid0(VALU_DEP_4) | instskip(NEXT) | instid1(VALU_DEP_4)
	v_dual_add_f32 v29, v39, v29 :: v_dual_sub_f32 v48, v57, v50
	v_add_f32_e32 v31, v32, v31
	s_delay_alu instid0(VALU_DEP_4) | instskip(NEXT) | instid1(VALU_DEP_1)
	v_sub_f32_e32 v35, v35, v45
	v_dual_add_f32 v28, v42, v29 :: v_dual_add_f32 v25, v25, v35
	s_delay_alu instid0(VALU_DEP_3) | instskip(NEXT) | instid1(VALU_DEP_2)
	v_add_f32_e32 v35, v38, v31
	v_dual_sub_f32 v41, v28, v42 :: v_dual_add_f32 v42, v30, v28
	s_delay_alu instid0(VALU_DEP_1) | instskip(NEXT) | instid1(VALU_DEP_2)
	v_sub_f32_e32 v29, v29, v41
	v_sub_f32_e32 v41, v42, v30
	s_delay_alu instid0(VALU_DEP_1) | instskip(SKIP_1) | instid1(VALU_DEP_2)
	v_sub_f32_e32 v47, v42, v41
	v_sub_f32_e32 v28, v28, v41
	v_dual_add_f32 v41, v37, v29 :: v_dual_sub_f32 v30, v30, v47
	s_delay_alu instid0(VALU_DEP_1) | instskip(NEXT) | instid1(VALU_DEP_1)
	v_dual_sub_f32 v47, v41, v37 :: v_dual_add_f32 v28, v28, v30
	v_sub_f32_e32 v30, v41, v47
	v_sub_f32_e32 v29, v29, v47
	s_delay_alu instid0(VALU_DEP_3) | instskip(NEXT) | instid1(VALU_DEP_3)
	v_add_f32_e32 v28, v41, v28
	v_sub_f32_e32 v30, v37, v30
	s_delay_alu instid0(VALU_DEP_1) | instskip(SKIP_1) | instid1(VALU_DEP_1)
	v_dual_add_f32 v29, v29, v30 :: v_dual_add_f32 v30, v42, v28
	v_add_f32_e32 v39, v60, v33
	v_sub_f32_e32 v34, v39, v60
	s_delay_alu instid0(VALU_DEP_1) | instskip(SKIP_2) | instid1(VALU_DEP_1)
	v_sub_f32_e32 v46, v39, v34
	v_sub_f32_e32 v33, v33, v34
	v_add_f32_e32 v34, v36, v26
	v_dual_sub_f32 v46, v60, v46 :: v_dual_sub_f32 v49, v34, v36
	s_delay_alu instid0(VALU_DEP_1) | instskip(SKIP_1) | instid1(VALU_DEP_2)
	v_dual_add_f32 v33, v33, v46 :: v_dual_sub_f32 v46, v34, v49
	v_dual_sub_f32 v26, v26, v49 :: v_dual_sub_f32 v49, v43, v24
	v_dual_add_f32 v33, v34, v33 :: v_dual_add_f32 v34, v40, v48
	s_delay_alu instid0(VALU_DEP_3) | instskip(NEXT) | instid1(VALU_DEP_3)
	v_sub_f32_e32 v32, v36, v46
	v_sub_f32_e32 v36, v43, v49
	;; [unrolled: 1-line block ×3, first 2 shown]
	s_delay_alu instid0(VALU_DEP_4) | instskip(NEXT) | instid1(VALU_DEP_4)
	v_add_f32_e32 v34, v43, v34
	v_add_f32_e32 v26, v26, v32
	s_delay_alu instid0(VALU_DEP_4) | instskip(SKIP_2) | instid1(VALU_DEP_3)
	v_sub_f32_e32 v24, v24, v36
	v_sub_f32_e32 v36, v35, v38
	;; [unrolled: 1-line block ×3, first 2 shown]
	v_dual_add_f32 v24, v27, v24 :: v_dual_add_f32 v27, v44, v34
	s_delay_alu instid0(VALU_DEP_2) | instskip(NEXT) | instid1(VALU_DEP_1)
	v_dual_sub_f32 v31, v31, v36 :: v_dual_sub_f32 v28, v28, v38
	v_dual_sub_f32 v36, v27, v44 :: v_dual_add_f32 v25, v25, v31
	s_delay_alu instid0(VALU_DEP_2) | instskip(NEXT) | instid1(VALU_DEP_2)
	v_add_f32_e32 v28, v29, v28
	v_sub_f32_e32 v31, v34, v36
	s_delay_alu instid0(VALU_DEP_1) | instskip(NEXT) | instid1(VALU_DEP_1)
	v_dual_add_f32 v29, v35, v25 :: v_dual_add_f32 v24, v24, v31
	v_dual_add_f32 v31, v30, v28 :: v_dual_sub_f32 v34, v29, v35
	s_delay_alu instid0(VALU_DEP_1) | instskip(SKIP_1) | instid1(VALU_DEP_3)
	v_dual_mul_f32 v35, v2, v29 :: v_dual_sub_f32 v30, v31, v30
	v_add_f32_e32 v32, v39, v33
	v_dual_mul_f32 v38, v4, v31 :: v_dual_sub_f32 v25, v25, v34
	s_delay_alu instid0(VALU_DEP_3) | instskip(NEXT) | instid1(VALU_DEP_4)
	v_fma_f32 v29, v2, v29, -v35
	v_sub_f32_e32 v28, v28, v30
	s_delay_alu instid0(VALU_DEP_4) | instskip(NEXT) | instid1(VALU_DEP_4)
	v_sub_f32_e32 v37, v32, v39
	v_fma_f32 v30, v4, v31, -v38
	v_cmp_class_f32_e64 s7, v35, 0x204
	v_fmac_f32_e32 v29, v2, v25
	v_cmp_class_f32_e64 s9, v38, 0x204
	v_sub_f32_e32 v33, v33, v37
	v_add_f32_e32 v37, v27, v24
	v_fmac_f32_e32 v30, v4, v28
	s_delay_alu instid0(VALU_DEP_2) | instskip(NEXT) | instid1(VALU_DEP_1)
	v_dual_add_f32 v26, v26, v33 :: v_dual_sub_f32 v27, v37, v27
	v_add_f32_e32 v33, v32, v26
	s_delay_alu instid0(VALU_DEP_2) | instskip(NEXT) | instid1(VALU_DEP_2)
	v_sub_f32_e32 v24, v24, v27
	v_sub_f32_e32 v32, v33, v32
	v_mul_f32_e32 v36, v6, v33
	s_delay_alu instid0(VALU_DEP_2) | instskip(NEXT) | instid1(VALU_DEP_2)
	v_sub_f32_e32 v26, v26, v32
	v_fma_f32 v32, v6, v33, -v36
	v_mul_f32_e32 v33, v8, v37
	v_cmp_class_f32_e64 s8, v36, 0x204
	s_delay_alu instid0(VALU_DEP_3) | instskip(NEXT) | instid1(VALU_DEP_3)
	v_fmac_f32_e32 v32, v6, v26
	v_fma_f32 v25, v8, v37, -v33
	s_delay_alu instid0(VALU_DEP_2) | instskip(NEXT) | instid1(VALU_DEP_2)
	v_dual_add_f32 v26, v35, v29 :: v_dual_add_f32 v27, v36, v32
	v_dual_fmac_f32 v25, v8, v24 :: v_dual_add_f32 v24, v38, v30
	s_delay_alu instid0(VALU_DEP_2)
	v_sub_f32_e32 v28, v26, v35
	s_wait_alu 0xf1ff
	v_cndmask_b32_e64 v26, v26, v35, s7
	v_sub_f32_e32 v31, v27, v36
	v_cndmask_b32_e64 v27, v27, v36, s8
	v_sub_f32_e32 v35, v24, v38
	v_cndmask_b32_e64 v24, v24, v38, s9
	v_add_f32_e32 v34, v33, v25
	v_cmp_class_f32_e64 s7, v33, 0x204
	v_cmp_eq_f32_e64 s9, 0x42b17218, v27
	v_dual_sub_f32 v31, v32, v31 :: v_dual_sub_f32 v28, v29, v28
	v_cmp_eq_f32_e64 s8, 0x42b17218, v26
	v_sub_f32_e32 v36, v34, v33
	s_wait_alu 0xf1ff
	v_cndmask_b32_e64 v32, 0, 0x37000000, s9
	v_cmp_eq_f32_e64 s9, 0x42b17218, v24
	v_cndmask_b32_e64 v33, v34, v33, s7
	v_cndmask_b32_e64 v29, 0, 0x37000000, s8
	v_cmp_neq_f32_e64 s8, 0x7f800000, |v27|
	v_sub_f32_e32 v30, v30, v35
	s_wait_alu 0xf1ff
	v_cndmask_b32_e64 v34, 0, 0x37000000, s9
	v_cmp_neq_f32_e64 s9, 0x7f800000, |v26|
	v_cmp_neq_f32_e64 s7, 0x7f800000, |v24|
	v_sub_f32_e32 v26, v26, v29
	v_cndmask_b32_e64 v31, 0, v31, s8
	v_sub_f32_e32 v27, v27, v32
	s_wait_alu 0xf1ff
	v_cndmask_b32_e64 v28, 0, v28, s9
	v_cmp_eq_f32_e64 s9, 0x42b17218, v33
	v_sub_f32_e32 v25, v25, v36
	v_cmp_neq_f32_e64 s8, 0x7f800000, |v33|
	v_cndmask_b32_e64 v30, 0, v30, s7
	v_sub_f32_e32 v24, v24, v34
	s_wait_alu 0xf1ff
	v_cndmask_b32_e64 v35, 0, 0x37000000, s9
	v_dual_add_f32 v28, v29, v28 :: v_dual_mul_f32 v29, 0x3fb8aa3b, v26
	v_add_f32_e32 v31, v32, v31
	v_mul_f32_e32 v32, 0x3fb8aa3b, v27
	v_cndmask_b32_e64 v25, 0, v25, s8
	v_dual_sub_f32 v33, v33, v35 :: v_dual_add_f32 v30, v34, v30
	v_mul_f32_e32 v34, 0x3fb8aa3b, v24
	v_fma_f32 v36, 0x3fb8aa3b, v26, -v29
	v_rndne_f32_e32 v37, v29
	v_fma_f32 v38, 0x3fb8aa3b, v27, -v32
	v_rndne_f32_e32 v39, v32
	v_add_f32_e32 v25, v35, v25
	v_mul_f32_e32 v35, 0x3fb8aa3b, v33
	v_fma_f32 v40, 0x3fb8aa3b, v24, -v34
	v_rndne_f32_e32 v41, v34
	v_dual_fmac_f32 v36, 0x32a5705f, v26 :: v_dual_sub_f32 v29, v29, v37
	v_fmac_f32_e32 v38, 0x32a5705f, v27
	v_sub_f32_e32 v32, v32, v39
	v_fma_f32 v42, 0x3fb8aa3b, v33, -v35
	v_rndne_f32_e32 v43, v35
	v_fmac_f32_e32 v40, 0x32a5705f, v24
	v_dual_sub_f32 v34, v34, v41 :: v_dual_add_f32 v29, v29, v36
	v_add_f32_e32 v32, v32, v38
	s_delay_alu instid0(VALU_DEP_4) | instskip(NEXT) | instid1(VALU_DEP_3)
	v_dual_fmac_f32 v42, 0x32a5705f, v33 :: v_dual_sub_f32 v35, v35, v43
	v_add_f32_e32 v34, v34, v40
	s_delay_alu instid0(VALU_DEP_4) | instskip(NEXT) | instid1(VALU_DEP_3)
	v_exp_f32_e32 v29, v29
	v_exp_f32_e32 v32, v32
	v_cvt_i32_f32_e32 v37, v37
	v_add_f32_e32 v35, v35, v42
	v_exp_f32_e32 v34, v34
	v_cvt_i32_f32_e32 v39, v39
	v_cvt_i32_f32_e32 v41, v41
	v_cvt_i32_f32_e32 v36, v43
	v_exp_f32_e32 v35, v35
	v_cmp_ngt_f32_e64 s7, 0xc2ce8ed0, v27
	v_ldexp_f32 v29, v29, v37
	v_ldexp_f32 v32, v32, v39
	v_cmp_ngt_f32_e64 s8, 0xc2ce8ed0, v24
	v_cmp_ngt_f32_e64 s9, 0xc2ce8ed0, v26
	v_ldexp_f32 v34, v34, v41
	v_cmp_nlt_f32_e64 s10, 0x42b17218, v26
	s_wait_alu 0xf1ff
	v_cndmask_b32_e64 v32, 0, v32, s7
	v_cmp_nlt_f32_e64 s7, 0x42b17218, v27
	v_cndmask_b32_e64 v29, 0, v29, s9
	v_ldexp_f32 v27, v35, v36
	v_cmp_ngt_f32_e64 s9, 0xc2ce8ed0, v33
	v_cndmask_b32_e64 v34, 0, v34, s8
	v_cmp_nlt_f32_e64 s8, 0x42b17218, v24
	v_cndmask_b32_e64 v24, 0x7f800000, v29, s10
	s_wait_alu 0xf1ff
	v_cndmask_b32_e64 v26, 0x7f800000, v32, s7
	v_cndmask_b32_e64 v27, 0, v27, s9
	v_cmp_nlt_f32_e64 s7, 0x42b17218, v33
	v_cndmask_b32_e64 v29, 0x7f800000, v34, s8
	v_fma_f32 v28, v24, v28, v24
	v_fma_f32 v31, v26, v31, v26
	v_cmp_class_f32_e64 s8, v26, 0x204
	s_wait_alu 0xf1ff
	v_cndmask_b32_e64 v27, 0x7f800000, v27, s7
	v_fma_f32 v30, v29, v30, v29
	v_cmp_class_f32_e64 s7, v29, 0x204
	v_cmp_class_f32_e64 s9, v24, 0x204
	v_cndmask_b32_e64 v26, v31, v26, s8
	v_fma_f32 v25, v27, v25, v27
	v_cmp_class_f32_e64 s8, v27, 0x204
	s_wait_alu 0xf1ff
	v_cndmask_b32_e64 v24, v28, v24, s9
	v_cndmask_b32_e64 v28, v30, v29, s7
	v_bfi_b32 v18, 0x7fffffff, v26, v18
	s_delay_alu instid0(VALU_DEP_3) | instskip(SKIP_1) | instid1(VALU_DEP_4)
	v_bfi_b32 v16, 0x7fffffff, v24, v16
	v_cndmask_b32_e64 v24, v25, v27, s8
	v_bfi_b32 v22, 0x7fffffff, v28, v22
	s_delay_alu instid0(VALU_DEP_4)
	v_cndmask_b32_e64 v26, 0x7fc00000, v18, s3
	v_cmp_gt_f32_e64 s3, 0, v10
	v_cndmask_b32_e64 v25, 0x7fc00000, v16, s1
	v_cmp_gt_f32_e64 s1, 0, v9
	v_bfi_b32 v23, 0x7fffffff, v24, v23
	v_cndmask_b32_e64 v24, 0x7fc00000, v22, s4
	v_cmp_gt_f32_e64 s4, 0, v7
	s_wait_alu 0xf1ff
	v_cndmask_b32_e64 v18, v18, v26, s1
	v_cmp_class_f32_e64 s1, v6, 0x204
	v_cndmask_b32_e64 v22, v22, v24, s3
	v_cndmask_b32_e64 v16, v16, v25, s4
	;; [unrolled: 1-line block ×3, first 2 shown]
	v_cmp_gt_f32_e64 s4, 0, v11
	v_cmp_class_f32_e64 s6, v2, 0x204
	v_cmp_class_f32_e64 s3, v4, 0x204
	s_wait_alu 0xf1ff
	v_cndmask_b32_e64 v13, v18, v13, s1
	v_cmp_class_f32_e64 s1, v8, 0x204
	v_cndmask_b32_e64 v12, v16, v12, s6
	v_cndmask_b32_e64 v16, v23, v25, s4
	;; [unrolled: 1-line block ×3, first 2 shown]
	s_wait_alu 0xfffe
	s_delay_alu instid0(VALU_DEP_3)
	v_cndmask_b32_e32 v12, v12, v20, vcc_lo
	v_cmp_o_f32_e32 vcc_lo, v7, v2
	s_wait_alu 0xf1ff
	v_cndmask_b32_e64 v7, v16, v15, s1
	v_cndmask_b32_e64 v2, v13, v19, s0
	v_cmp_o_f32_e64 s0, v9, v6
	v_cndmask_b32_e64 v6, v14, v17, s2
	s_or_b32 s2, s5, s35
	v_cmp_o_f32_e64 s1, v10, v4
	s_wait_alu 0xfffe
	v_cndmask_b32_e64 v4, v7, v21, s2
	s_wait_alu 0xfffd
	v_cndmask_b32_e32 v9, 0x7fc00000, v12, vcc_lo
	v_cmp_o_f32_e32 vcc_lo, v11, v8
	v_cndmask_b32_e64 v2, 0x7fc00000, v2, s0
	s_wait_alu 0xf1ff
	v_cndmask_b32_e64 v10, 0x7fc00000, v6, s1
	v_lshlrev_b64_e32 v[6:7], 2, v[0:1]
	v_cvt_f16_f32_e32 v8, v9
	s_wait_alu 0xfffd
	v_cndmask_b32_e32 v4, 0x7fc00000, v4, vcc_lo
	v_cvt_f16_f32_e32 v2, v2
	v_cvt_f16_f32_e32 v9, v10
	v_cmp_le_i64_e32 vcc_lo, s[22:23], v[6:7]
	s_delay_alu instid0(VALU_DEP_4) | instskip(SKIP_3) | instid1(VALU_DEP_3)
	v_cvt_f16_f32_e32 v10, v4
	v_add_co_ci_u32_e64 v4, null, s21, 0, s30
	v_pack_b32_f16 v6, v8, v2
	s_add_nc_u64 s[20:21], s[20:21], s[24:25]
	v_pack_b32_f16 v7, v10, v9
	s_or_b32 s29, vcc_lo, s29
	global_store_b64 v[3:4], v[6:7], off
	s_wait_alu 0xfffe
	s_and_not1_b32 exec_lo, exec_lo, s29
	s_cbranch_execnz .LBB70_24
.LBB70_25:
	s_endpgm
	.section	.rodata,"a",@progbits
	.p2align	6, 0x0
	.amdhsa_kernel _ZN2at6native12_GLOBAL__N_125multi_tensor_apply_kernelINS1_18TensorListMetadataILi2EEENS1_21BinaryOpScalarFunctorIN3c104HalfELi2ELi1ELi1EEEJNS1_13power_functorIfEEfEEEvT_T0_DpT1_
		.amdhsa_group_segment_fixed_size 0
		.amdhsa_private_segment_fixed_size 0
		.amdhsa_kernarg_size 3408
		.amdhsa_user_sgpr_count 2
		.amdhsa_user_sgpr_dispatch_ptr 0
		.amdhsa_user_sgpr_queue_ptr 0
		.amdhsa_user_sgpr_kernarg_segment_ptr 1
		.amdhsa_user_sgpr_dispatch_id 0
		.amdhsa_user_sgpr_private_segment_size 0
		.amdhsa_wavefront_size32 1
		.amdhsa_uses_dynamic_stack 0
		.amdhsa_enable_private_segment 0
		.amdhsa_system_sgpr_workgroup_id_x 1
		.amdhsa_system_sgpr_workgroup_id_y 0
		.amdhsa_system_sgpr_workgroup_id_z 0
		.amdhsa_system_sgpr_workgroup_info 0
		.amdhsa_system_vgpr_workitem_id 0
		.amdhsa_next_free_vgpr 68
		.amdhsa_next_free_sgpr 39
		.amdhsa_reserve_vcc 1
		.amdhsa_float_round_mode_32 0
		.amdhsa_float_round_mode_16_64 0
		.amdhsa_float_denorm_mode_32 3
		.amdhsa_float_denorm_mode_16_64 3
		.amdhsa_fp16_overflow 0
		.amdhsa_workgroup_processor_mode 1
		.amdhsa_memory_ordered 1
		.amdhsa_forward_progress 1
		.amdhsa_inst_pref_size 88
		.amdhsa_round_robin_scheduling 0
		.amdhsa_exception_fp_ieee_invalid_op 0
		.amdhsa_exception_fp_denorm_src 0
		.amdhsa_exception_fp_ieee_div_zero 0
		.amdhsa_exception_fp_ieee_overflow 0
		.amdhsa_exception_fp_ieee_underflow 0
		.amdhsa_exception_fp_ieee_inexact 0
		.amdhsa_exception_int_div_zero 0
	.end_amdhsa_kernel
	.section	.text._ZN2at6native12_GLOBAL__N_125multi_tensor_apply_kernelINS1_18TensorListMetadataILi2EEENS1_21BinaryOpScalarFunctorIN3c104HalfELi2ELi1ELi1EEEJNS1_13power_functorIfEEfEEEvT_T0_DpT1_,"axG",@progbits,_ZN2at6native12_GLOBAL__N_125multi_tensor_apply_kernelINS1_18TensorListMetadataILi2EEENS1_21BinaryOpScalarFunctorIN3c104HalfELi2ELi1ELi1EEEJNS1_13power_functorIfEEfEEEvT_T0_DpT1_,comdat
.Lfunc_end70:
	.size	_ZN2at6native12_GLOBAL__N_125multi_tensor_apply_kernelINS1_18TensorListMetadataILi2EEENS1_21BinaryOpScalarFunctorIN3c104HalfELi2ELi1ELi1EEEJNS1_13power_functorIfEEfEEEvT_T0_DpT1_, .Lfunc_end70-_ZN2at6native12_GLOBAL__N_125multi_tensor_apply_kernelINS1_18TensorListMetadataILi2EEENS1_21BinaryOpScalarFunctorIN3c104HalfELi2ELi1ELi1EEEJNS1_13power_functorIfEEfEEEvT_T0_DpT1_
                                        ; -- End function
	.set _ZN2at6native12_GLOBAL__N_125multi_tensor_apply_kernelINS1_18TensorListMetadataILi2EEENS1_21BinaryOpScalarFunctorIN3c104HalfELi2ELi1ELi1EEEJNS1_13power_functorIfEEfEEEvT_T0_DpT1_.num_vgpr, 68
	.set _ZN2at6native12_GLOBAL__N_125multi_tensor_apply_kernelINS1_18TensorListMetadataILi2EEENS1_21BinaryOpScalarFunctorIN3c104HalfELi2ELi1ELi1EEEJNS1_13power_functorIfEEfEEEvT_T0_DpT1_.num_agpr, 0
	.set _ZN2at6native12_GLOBAL__N_125multi_tensor_apply_kernelINS1_18TensorListMetadataILi2EEENS1_21BinaryOpScalarFunctorIN3c104HalfELi2ELi1ELi1EEEJNS1_13power_functorIfEEfEEEvT_T0_DpT1_.numbered_sgpr, 39
	.set _ZN2at6native12_GLOBAL__N_125multi_tensor_apply_kernelINS1_18TensorListMetadataILi2EEENS1_21BinaryOpScalarFunctorIN3c104HalfELi2ELi1ELi1EEEJNS1_13power_functorIfEEfEEEvT_T0_DpT1_.num_named_barrier, 0
	.set _ZN2at6native12_GLOBAL__N_125multi_tensor_apply_kernelINS1_18TensorListMetadataILi2EEENS1_21BinaryOpScalarFunctorIN3c104HalfELi2ELi1ELi1EEEJNS1_13power_functorIfEEfEEEvT_T0_DpT1_.private_seg_size, 0
	.set _ZN2at6native12_GLOBAL__N_125multi_tensor_apply_kernelINS1_18TensorListMetadataILi2EEENS1_21BinaryOpScalarFunctorIN3c104HalfELi2ELi1ELi1EEEJNS1_13power_functorIfEEfEEEvT_T0_DpT1_.uses_vcc, 1
	.set _ZN2at6native12_GLOBAL__N_125multi_tensor_apply_kernelINS1_18TensorListMetadataILi2EEENS1_21BinaryOpScalarFunctorIN3c104HalfELi2ELi1ELi1EEEJNS1_13power_functorIfEEfEEEvT_T0_DpT1_.uses_flat_scratch, 0
	.set _ZN2at6native12_GLOBAL__N_125multi_tensor_apply_kernelINS1_18TensorListMetadataILi2EEENS1_21BinaryOpScalarFunctorIN3c104HalfELi2ELi1ELi1EEEJNS1_13power_functorIfEEfEEEvT_T0_DpT1_.has_dyn_sized_stack, 0
	.set _ZN2at6native12_GLOBAL__N_125multi_tensor_apply_kernelINS1_18TensorListMetadataILi2EEENS1_21BinaryOpScalarFunctorIN3c104HalfELi2ELi1ELi1EEEJNS1_13power_functorIfEEfEEEvT_T0_DpT1_.has_recursion, 0
	.set _ZN2at6native12_GLOBAL__N_125multi_tensor_apply_kernelINS1_18TensorListMetadataILi2EEENS1_21BinaryOpScalarFunctorIN3c104HalfELi2ELi1ELi1EEEJNS1_13power_functorIfEEfEEEvT_T0_DpT1_.has_indirect_call, 0
	.section	.AMDGPU.csdata,"",@progbits
; Kernel info:
; codeLenInByte = 11176
; TotalNumSgprs: 41
; NumVgprs: 68
; ScratchSize: 0
; MemoryBound: 0
; FloatMode: 240
; IeeeMode: 1
; LDSByteSize: 0 bytes/workgroup (compile time only)
; SGPRBlocks: 0
; VGPRBlocks: 8
; NumSGPRsForWavesPerEU: 41
; NumVGPRsForWavesPerEU: 68
; Occupancy: 16
; WaveLimiterHint : 0
; COMPUTE_PGM_RSRC2:SCRATCH_EN: 0
; COMPUTE_PGM_RSRC2:USER_SGPR: 2
; COMPUTE_PGM_RSRC2:TRAP_HANDLER: 0
; COMPUTE_PGM_RSRC2:TGID_X_EN: 1
; COMPUTE_PGM_RSRC2:TGID_Y_EN: 0
; COMPUTE_PGM_RSRC2:TGID_Z_EN: 0
; COMPUTE_PGM_RSRC2:TIDIG_COMP_CNT: 0
	.section	.text._ZN2at6native12_GLOBAL__N_125multi_tensor_apply_kernelINS1_18TensorListMetadataILi2EEENS1_21BinaryOpScalarFunctorIN3c108BFloat16ELi2ELi1ELi1EEEJNS1_13power_functorIfEEfEEEvT_T0_DpT1_,"axG",@progbits,_ZN2at6native12_GLOBAL__N_125multi_tensor_apply_kernelINS1_18TensorListMetadataILi2EEENS1_21BinaryOpScalarFunctorIN3c108BFloat16ELi2ELi1ELi1EEEJNS1_13power_functorIfEEfEEEvT_T0_DpT1_,comdat
	.globl	_ZN2at6native12_GLOBAL__N_125multi_tensor_apply_kernelINS1_18TensorListMetadataILi2EEENS1_21BinaryOpScalarFunctorIN3c108BFloat16ELi2ELi1ELi1EEEJNS1_13power_functorIfEEfEEEvT_T0_DpT1_ ; -- Begin function _ZN2at6native12_GLOBAL__N_125multi_tensor_apply_kernelINS1_18TensorListMetadataILi2EEENS1_21BinaryOpScalarFunctorIN3c108BFloat16ELi2ELi1ELi1EEEJNS1_13power_functorIfEEfEEEvT_T0_DpT1_
	.p2align	8
	.type	_ZN2at6native12_GLOBAL__N_125multi_tensor_apply_kernelINS1_18TensorListMetadataILi2EEENS1_21BinaryOpScalarFunctorIN3c108BFloat16ELi2ELi1ELi1EEEJNS1_13power_functorIfEEfEEEvT_T0_DpT1_,@function
_ZN2at6native12_GLOBAL__N_125multi_tensor_apply_kernelINS1_18TensorListMetadataILi2EEENS1_21BinaryOpScalarFunctorIN3c108BFloat16ELi2ELi1ELi1EEEJNS1_13power_functorIfEEfEEEvT_T0_DpT1_: ; @_ZN2at6native12_GLOBAL__N_125multi_tensor_apply_kernelINS1_18TensorListMetadataILi2EEENS1_21BinaryOpScalarFunctorIN3c108BFloat16ELi2ELi1ELi1EEEJNS1_13power_functorIfEEfEEEvT_T0_DpT1_
; %bb.0:
	s_load_u8 s8, s[0:1], ttmp9 offset:0x600
	s_mov_b32 s2, ttmp9
	s_mov_b32 s3, 0
	s_delay_alu instid0(SALU_CYCLE_1)
	s_mul_u64 s[4:5], s[2:3], 3
	s_add_nc_u64 s[6:7], s[0:1], s[2:3]
	s_mov_b32 s11, s3
	s_add_nc_u64 s[4:5], s[6:7], s[4:5]
	s_mov_b32 s13, s3
	s_load_b32 s4, s[4:5], 0x740
	s_wait_kmcnt 0x0
	s_lshl_b32 s2, s8, 3
	s_clause 0x3
	s_load_b64 s[18:19], s[0:1], s2 offset:0x0
	s_load_b64 s[20:21], s[0:1], s2 offset:0x200
	;; [unrolled: 1-line block ×3, first 2 shown]
	s_load_b32 s24, s[0:1], 0xc4c
	s_ashr_i32 s5, s4, 31
	s_delay_alu instid0(SALU_CYCLE_1)
	s_lshl_b64 s[8:9], s[4:5], 17
	s_lshl_b64 s[4:5], s[4:5], 16
	s_wait_kmcnt 0x0
	s_add_nc_u64 s[14:15], s[18:19], s[8:9]
	s_and_b32 s10, s20, 7
	s_and_b32 s12, s6, 3
	;; [unrolled: 1-line block ×3, first 2 shown]
	s_or_b64 s[10:11], s[10:11], s[12:13]
	s_delay_alu instid0(SALU_CYCLE_1)
	s_or_b64 s[2:3], s[10:11], s[2:3]
	s_sub_nc_u64 s[10:11], s[6:7], s[4:5]
	s_cmp_eq_u64 s[2:3], 0
	s_mov_b32 s2, -1
	s_cbranch_scc1 .LBB71_21
; %bb.1:
	v_cmp_lt_i64_e64 s2, s[10:11], 1
	s_and_b32 vcc_lo, exec_lo, s2
	s_cbranch_vccnz .LBB71_20
; %bb.2:
	s_load_b32 s2, s[0:1], 0xc5c
	v_cmp_gt_i64_e64 s3, 0x10000, s[10:11]
	v_dual_mov_b32 v10, 0 :: v_dual_lshlrev_b32 v9, 1, v0
	v_cmp_gt_u64_e64 s4, 0x10000, s[10:11]
	s_mov_b32 s13, 0
	s_mov_b64 s[22:23], 0
	s_and_b32 s3, s3, exec_lo
	v_add_co_u32 v1, s5, s18, v9
	s_cselect_b32 s15, s11, 0
	s_cselect_b32 s14, s10, 0x10000
	v_add_co_ci_u32_e64 v2, null, s19, 0, s5
	v_add_co_u32 v3, s5, s20, v9
	s_wait_alu 0xf1ff
	v_add_co_ci_u32_e64 v4, null, s21, 0, s5
	s_mov_b32 s25, 0x3e76c4e1
	s_wait_kmcnt 0x0
	s_and_b32 s2, s2, 0xffff
	s_and_b32 s3, s4, exec_lo
	s_cselect_b32 s17, s11, 0
	s_cselect_b32 s16, s10, 0x10000
	s_mul_i32 s4, s2, 3
	s_lshl_b32 s12, s2, 2
	v_mad_co_u64_u32 v[7:8], null, s2, 6, v[9:10]
	v_add_co_u32 v14, s5, s12, v9
	s_wait_alu 0xfffe
	v_add_co_u32 v9, s4, s4, v0
	s_wait_alu 0xf1ff
	v_add_co_ci_u32_e64 v10, null, 0, 0, s4
	v_add_co_u32 v13, s4, v0, s2
	s_lshl_b32 s3, s2, 1
	v_add_co_u32 v5, vcc_lo, s18, v7
	v_lshlrev_b32_e32 v21, 1, v13
	v_add_co_ci_u32_e64 v15, null, 0, 0, s5
	v_add_co_ci_u32_e64 v6, null, s19, v8, vcc_lo
	v_add_co_u32 v7, vcc_lo, s20, v7
	s_wait_alu 0xfffe
	v_add_co_u32 v17, s3, s3, v0
	s_wait_alu 0xfffd
	v_add_co_ci_u32_e64 v8, null, s21, v8, vcc_lo
	v_add_co_u32 v11, vcc_lo, s18, v14
	s_wait_alu 0xf1ff
	v_add_co_ci_u32_e64 v18, null, 0, 0, s3
	v_add_co_u32 v19, s3, s18, v21
	s_wait_alu 0xfffd
	v_add_co_ci_u32_e64 v12, null, s19, v15, vcc_lo
	v_add_co_u32 v14, vcc_lo, s20, v14
	s_wait_alu 0xf1ff
	v_add_co_ci_u32_e64 v20, null, s19, 0, s3
	v_add_co_u32 v21, s3, s20, v21
	s_wait_alu 0xfffd
	v_add_co_ci_u32_e64 v15, null, s21, v15, vcc_lo
	v_add_co_ci_u32_e64 v16, null, 0, 0, s4
	s_wait_alu 0xf1ff
	v_add_co_ci_u32_e64 v22, null, s21, 0, s3
	s_lshl_b32 s7, s2, 3
	s_branch .LBB71_4
.LBB71_3:                               ;   in Loop: Header=BB71_4 Depth=1
	s_wait_alu 0xfffe
	s_or_b32 exec_lo, exec_lo, s5
	v_add_co_u32 v1, vcc_lo, v1, s7
	s_wait_alu 0xfffd
	v_add_co_ci_u32_e64 v2, null, 0, v2, vcc_lo
	v_add_co_u32 v3, vcc_lo, v3, s7
	s_wait_alu 0xfffd
	v_add_co_ci_u32_e64 v4, null, 0, v4, vcc_lo
	;; [unrolled: 3-line block ×5, first 2 shown]
	v_add_co_u32 v14, vcc_lo, v14, s7
	s_add_nc_u64 s[22:23], s[22:23], s[12:13]
	s_wait_alu 0xfffd
	v_add_co_ci_u32_e64 v15, null, 0, v15, vcc_lo
	v_add_co_u32 v19, vcc_lo, v19, s7
	s_wait_alu 0xfffe
	v_cmp_lt_i64_e64 s2, s[22:23], s[14:15]
	s_wait_alu 0xfffd
	v_add_co_ci_u32_e64 v20, null, 0, v20, vcc_lo
	v_add_co_u32 v21, vcc_lo, v21, s7
	s_wait_alu 0xfffd
	v_add_co_ci_u32_e64 v22, null, 0, v22, vcc_lo
	s_and_b32 vcc_lo, exec_lo, s2
	s_wait_alu 0xfffe
	s_cbranch_vccz .LBB71_20
.LBB71_4:                               ; =>This Inner Loop Header: Depth=1
	v_add_co_u32 v23, s2, v0, s22
	s_wait_alu 0xf1ff
	v_add_co_ci_u32_e64 v24, null, 0, s23, s2
	v_mov_b32_e32 v26, 0
	s_delay_alu instid0(VALU_DEP_2)
	v_cmp_gt_u64_e64 s4, s[16:17], v[23:24]
	s_and_saveexec_b32 s2, s4
	s_cbranch_execz .LBB71_6
; %bb.5:                                ;   in Loop: Header=BB71_4 Depth=1
	v_add_co_u32 v23, vcc_lo, v1, s8
	s_wait_alu 0xfffd
	v_add_co_ci_u32_e64 v24, null, s9, v2, vcc_lo
	global_load_u16 v23, v[23:24], off
	s_wait_loadcnt 0x0
	v_lshlrev_b32_e32 v26, 16, v23
.LBB71_6:                               ;   in Loop: Header=BB71_4 Depth=1
	s_wait_alu 0xfffe
	s_or_b32 exec_lo, exec_lo, s2
	v_add_co_u32 v23, vcc_lo, v13, s22
	s_wait_alu 0xfffd
	v_add_co_ci_u32_e64 v24, null, s23, v16, vcc_lo
	v_mov_b32_e32 v25, 0
	s_delay_alu instid0(VALU_DEP_2)
	v_cmp_gt_u64_e64 s3, s[16:17], v[23:24]
	v_mov_b32_e32 v24, 0
	s_and_saveexec_b32 s2, s3
	s_cbranch_execz .LBB71_8
; %bb.7:                                ;   in Loop: Header=BB71_4 Depth=1
	v_add_co_u32 v27, vcc_lo, v19, s8
	s_wait_alu 0xfffd
	v_add_co_ci_u32_e64 v28, null, s9, v20, vcc_lo
	global_load_u16 v23, v[27:28], off
	s_wait_loadcnt 0x0
	v_lshlrev_b32_e32 v25, 16, v23
.LBB71_8:                               ;   in Loop: Header=BB71_4 Depth=1
	s_wait_alu 0xfffe
	s_or_b32 exec_lo, exec_lo, s2
	v_add_co_u32 v27, vcc_lo, v17, s22
	s_wait_alu 0xfffd
	v_add_co_ci_u32_e64 v28, null, s23, v18, vcc_lo
	s_delay_alu instid0(VALU_DEP_1)
	v_cmp_gt_u64_e64 s2, s[16:17], v[27:28]
	s_and_saveexec_b32 s5, s2
	s_cbranch_execz .LBB71_10
; %bb.9:                                ;   in Loop: Header=BB71_4 Depth=1
	v_add_co_u32 v23, vcc_lo, v11, s8
	s_wait_alu 0xfffd
	v_add_co_ci_u32_e64 v24, null, s9, v12, vcc_lo
	global_load_u16 v23, v[23:24], off
	s_wait_loadcnt 0x0
	v_lshlrev_b32_e32 v24, 16, v23
.LBB71_10:                              ;   in Loop: Header=BB71_4 Depth=1
	s_wait_alu 0xfffe
	s_or_b32 exec_lo, exec_lo, s5
	v_add_co_u32 v27, vcc_lo, v9, s22
	s_wait_alu 0xfffd
	v_add_co_ci_u32_e64 v28, null, s23, v10, vcc_lo
	v_mov_b32_e32 v23, 0
	s_delay_alu instid0(VALU_DEP_2)
	v_cmp_gt_u64_e32 vcc_lo, s[16:17], v[27:28]
	s_and_saveexec_b32 s6, vcc_lo
	s_cbranch_execnz .LBB71_15
; %bb.11:                               ;   in Loop: Header=BB71_4 Depth=1
	s_wait_alu 0xfffe
	s_or_b32 exec_lo, exec_lo, s6
	s_and_saveexec_b32 s26, s4
	s_cbranch_execnz .LBB71_16
.LBB71_12:                              ;   in Loop: Header=BB71_4 Depth=1
	s_wait_alu 0xfffe
	s_or_b32 exec_lo, exec_lo, s26
	s_and_saveexec_b32 s26, s3
	s_cbranch_execnz .LBB71_17
.LBB71_13:                              ;   in Loop: Header=BB71_4 Depth=1
	s_wait_alu 0xfffe
	s_or_b32 exec_lo, exec_lo, s26
	s_and_saveexec_b32 s6, s2
	s_cbranch_execnz .LBB71_18
.LBB71_14:                              ;   in Loop: Header=BB71_4 Depth=1
	s_wait_alu 0xfffe
	s_or_b32 exec_lo, exec_lo, s6
	s_and_saveexec_b32 s5, vcc_lo
	s_cbranch_execz .LBB71_3
	s_branch .LBB71_19
.LBB71_15:                              ;   in Loop: Header=BB71_4 Depth=1
	v_add_co_u32 v27, s5, v5, s8
	s_wait_alu 0xf1ff
	v_add_co_ci_u32_e64 v28, null, s9, v6, s5
	global_load_u16 v23, v[27:28], off
	s_wait_loadcnt 0x0
	v_lshlrev_b32_e32 v23, 16, v23
	s_wait_alu 0xfffe
	s_or_b32 exec_lo, exec_lo, s6
	s_and_saveexec_b32 s26, s4
	s_cbranch_execz .LBB71_12
.LBB71_16:                              ;   in Loop: Header=BB71_4 Depth=1
	v_cmp_neq_f32_e64 s4, 1.0, v26
	s_wait_alu 0xf1ff
	s_delay_alu instid0(VALU_DEP_1) | instskip(NEXT) | instid1(VALU_DEP_1)
	v_cndmask_b32_e64 v28, 1.0, s24, s4
	v_cmp_neq_f32_e64 s4, 0, v28
	v_cmp_neq_f32_e64 s27, v28, |v28|
	s_wait_alu 0xf1ff
	s_delay_alu instid0(VALU_DEP_2) | instskip(NEXT) | instid1(VALU_DEP_1)
	v_cndmask_b32_e64 v29, 1.0, v26, s4
	v_cvt_f64_f32_e64 v[26:27], |v29|
	v_cmp_lt_f32_e64 s28, |v29|, 1.0
	v_cmp_eq_f32_e64 s6, 0, v29
	s_xor_b32 s27, s27, s28
	v_frexp_exp_i32_f64_e32 v26, v[26:27]
	v_frexp_mant_f32_e64 v27, |v29|
	s_delay_alu instid0(VALU_DEP_1) | instskip(SKIP_1) | instid1(VALU_DEP_1)
	v_cmp_gt_f32_e64 s4, 0x3f2aaaab, v27
	s_wait_alu 0xf1ff
	v_cndmask_b32_e64 v30, 1.0, 2.0, s4
	s_delay_alu instid0(VALU_DEP_1) | instskip(NEXT) | instid1(VALU_DEP_1)
	v_mul_f32_e32 v27, v27, v30
	v_add_f32_e32 v30, 1.0, v27
	v_add_f32_e32 v32, -1.0, v27
	s_delay_alu instid0(VALU_DEP_2) | instskip(NEXT) | instid1(VALU_DEP_1)
	v_add_f32_e32 v34, -1.0, v30
	v_sub_f32_e32 v27, v27, v34
	v_rcp_f32_e32 v31, v30
	v_subrev_co_ci_u32_e64 v26, null, 0, v26, s4
	s_delay_alu instid0(TRANS32_DEP_1) | instskip(NEXT) | instid1(VALU_DEP_2)
	v_mul_f32_e32 v33, v32, v31
	v_cvt_f32_i32_e32 v26, v26
	s_delay_alu instid0(VALU_DEP_2) | instskip(NEXT) | instid1(VALU_DEP_1)
	v_mul_f32_e32 v35, v30, v33
	v_fma_f32 v30, v33, v30, -v35
	s_delay_alu instid0(VALU_DEP_1) | instskip(NEXT) | instid1(VALU_DEP_1)
	v_fmac_f32_e32 v30, v33, v27
	v_add_f32_e32 v27, v35, v30
	s_delay_alu instid0(VALU_DEP_1) | instskip(NEXT) | instid1(VALU_DEP_1)
	v_sub_f32_e32 v35, v27, v35
	v_sub_f32_e32 v30, v35, v30
	;; [unrolled: 1-line block ×3, first 2 shown]
	s_delay_alu instid0(VALU_DEP_1) | instskip(NEXT) | instid1(VALU_DEP_1)
	v_sub_f32_e32 v32, v32, v34
	v_sub_f32_e32 v27, v32, v27
	s_delay_alu instid0(VALU_DEP_1) | instskip(NEXT) | instid1(VALU_DEP_1)
	v_add_f32_e32 v27, v30, v27
	v_add_f32_e32 v27, v34, v27
	s_delay_alu instid0(VALU_DEP_1) | instskip(NEXT) | instid1(VALU_DEP_1)
	v_mul_f32_e32 v27, v31, v27
	v_add_f32_e32 v30, v33, v27
	s_delay_alu instid0(VALU_DEP_1) | instskip(NEXT) | instid1(VALU_DEP_1)
	v_sub_f32_e32 v31, v30, v33
	v_dual_mul_f32 v32, v30, v30 :: v_dual_sub_f32 v27, v27, v31
	s_delay_alu instid0(VALU_DEP_1) | instskip(NEXT) | instid1(VALU_DEP_2)
	v_fma_f32 v31, v30, v30, -v32
	v_add_f32_e32 v33, v27, v27
	s_delay_alu instid0(VALU_DEP_1) | instskip(NEXT) | instid1(VALU_DEP_1)
	v_fmac_f32_e32 v31, v30, v33
	v_add_f32_e32 v33, v32, v31
	s_delay_alu instid0(VALU_DEP_1) | instskip(SKIP_1) | instid1(VALU_DEP_1)
	v_fmaak_f32 v34, s25, v33, 0x3e91f4c4
	v_sub_f32_e32 v32, v33, v32
	v_dual_fmaak_f32 v34, v33, v34, 0x3ecccdef :: v_dual_sub_f32 v31, v31, v32
	s_delay_alu instid0(VALU_DEP_1) | instskip(NEXT) | instid1(VALU_DEP_1)
	v_mul_f32_e32 v35, v33, v34
	v_fma_f32 v32, v33, v34, -v35
	s_delay_alu instid0(VALU_DEP_1) | instskip(NEXT) | instid1(VALU_DEP_1)
	v_fmac_f32_e32 v32, v31, v34
	v_add_f32_e32 v34, v35, v32
	s_delay_alu instid0(VALU_DEP_1) | instskip(NEXT) | instid1(VALU_DEP_1)
	v_dual_sub_f32 v35, v34, v35 :: v_dual_add_f32 v36, 0x3f2aaaaa, v34
	v_dual_sub_f32 v32, v32, v35 :: v_dual_add_f32 v35, 0xbf2aaaaa, v36
	s_delay_alu instid0(VALU_DEP_1) | instskip(NEXT) | instid1(VALU_DEP_2)
	v_dual_add_f32 v32, 0x31739010, v32 :: v_dual_mul_f32 v37, v30, v33
	v_sub_f32_e32 v34, v34, v35
	s_delay_alu instid0(VALU_DEP_2) | instskip(NEXT) | instid1(VALU_DEP_2)
	v_fma_f32 v38, v33, v30, -v37
	v_add_f32_e32 v32, v32, v34
	s_delay_alu instid0(VALU_DEP_2) | instskip(SKIP_1) | instid1(VALU_DEP_2)
	v_fmac_f32_e32 v38, v33, v27
	v_ldexp_f32 v27, v27, 1
	v_dual_fmac_f32 v38, v31, v30 :: v_dual_add_f32 v31, v36, v32
	v_ldexp_f32 v30, v30, 1
	s_delay_alu instid0(VALU_DEP_2) | instskip(NEXT) | instid1(VALU_DEP_1)
	v_dual_add_f32 v33, v37, v38 :: v_dual_sub_f32 v34, v36, v31
	v_dual_mul_f32 v35, v33, v31 :: v_dual_add_f32 v32, v32, v34
	v_sub_f32_e32 v36, v33, v37
	s_delay_alu instid0(VALU_DEP_2) | instskip(NEXT) | instid1(VALU_DEP_2)
	v_fma_f32 v34, v33, v31, -v35
	v_sub_f32_e32 v36, v38, v36
	s_delay_alu instid0(VALU_DEP_2) | instskip(NEXT) | instid1(VALU_DEP_1)
	v_fmac_f32_e32 v34, v33, v32
	v_fmac_f32_e32 v34, v36, v31
	s_delay_alu instid0(VALU_DEP_1) | instskip(NEXT) | instid1(VALU_DEP_1)
	v_add_f32_e32 v31, v35, v34
	v_add_f32_e32 v33, v30, v31
	v_dual_sub_f32 v32, v31, v35 :: v_dual_mul_f32 v35, 0x3f317218, v26
	s_delay_alu instid0(VALU_DEP_2) | instskip(NEXT) | instid1(VALU_DEP_2)
	v_sub_f32_e32 v30, v33, v30
	v_sub_f32_e32 v32, v34, v32
	s_delay_alu instid0(VALU_DEP_3) | instskip(NEXT) | instid1(VALU_DEP_3)
	v_fma_f32 v34, 0x3f317218, v26, -v35
	v_sub_f32_e32 v30, v31, v30
	s_delay_alu instid0(VALU_DEP_2) | instskip(NEXT) | instid1(VALU_DEP_1)
	v_dual_add_f32 v27, v27, v32 :: v_dual_fmac_f32 v34, 0xb102e308, v26
	v_add_f32_e32 v26, v27, v30
	s_delay_alu instid0(VALU_DEP_2) | instskip(NEXT) | instid1(VALU_DEP_1)
	v_add_f32_e32 v27, v35, v34
	v_dual_add_f32 v30, v33, v26 :: v_dual_sub_f32 v35, v27, v35
	s_delay_alu instid0(VALU_DEP_1) | instskip(NEXT) | instid1(VALU_DEP_1)
	v_add_f32_e32 v31, v27, v30
	v_dual_sub_f32 v33, v30, v33 :: v_dual_sub_f32 v32, v31, v27
	s_delay_alu instid0(VALU_DEP_1) | instskip(SKIP_1) | instid1(VALU_DEP_2)
	v_sub_f32_e32 v36, v31, v32
	v_sub_f32_e32 v30, v30, v32
	v_dual_sub_f32 v27, v27, v36 :: v_dual_sub_f32 v34, v34, v35
	s_delay_alu instid0(VALU_DEP_1) | instskip(SKIP_1) | instid1(VALU_DEP_1)
	v_add_f32_e32 v27, v30, v27
	v_sub_f32_e32 v26, v26, v33
	v_add_f32_e32 v32, v34, v26
	s_delay_alu instid0(VALU_DEP_1) | instskip(NEXT) | instid1(VALU_DEP_1)
	v_add_f32_e32 v27, v32, v27
	v_dual_sub_f32 v30, v32, v34 :: v_dual_add_f32 v33, v31, v27
	s_delay_alu instid0(VALU_DEP_1) | instskip(NEXT) | instid1(VALU_DEP_1)
	v_dual_sub_f32 v32, v32, v30 :: v_dual_sub_f32 v31, v33, v31
	v_dual_sub_f32 v27, v27, v31 :: v_dual_sub_f32 v26, v26, v30
	s_delay_alu instid0(VALU_DEP_2) | instskip(NEXT) | instid1(VALU_DEP_1)
	v_sub_f32_e32 v30, v34, v32
	v_add_f32_e32 v26, v26, v30
	s_delay_alu instid0(VALU_DEP_1) | instskip(NEXT) | instid1(VALU_DEP_1)
	v_add_f32_e32 v26, v26, v27
	v_add_f32_e32 v27, v33, v26
	s_delay_alu instid0(VALU_DEP_1) | instskip(NEXT) | instid1(VALU_DEP_1)
	v_dual_sub_f32 v30, v27, v33 :: v_dual_mul_f32 v31, v28, v27
	v_sub_f32_e32 v26, v26, v30
	s_delay_alu instid0(VALU_DEP_2) | instskip(SKIP_1) | instid1(VALU_DEP_2)
	v_fma_f32 v27, v28, v27, -v31
	v_cmp_class_f32_e64 s4, v31, 0x204
	v_fmac_f32_e32 v27, v28, v26
	s_delay_alu instid0(VALU_DEP_1) | instskip(SKIP_1) | instid1(VALU_DEP_1)
	v_add_f32_e32 v26, v31, v27
	s_wait_alu 0xf1ff
	v_cndmask_b32_e64 v30, v26, v31, s4
	s_delay_alu instid0(VALU_DEP_1) | instskip(SKIP_1) | instid1(VALU_DEP_1)
	v_cmp_eq_f32_e64 s4, 0x42b17218, v30
	s_wait_alu 0xf1ff
	v_cndmask_b32_e64 v32, 0, 0x37000000, s4
	v_cmp_neq_f32_e64 s4, 0x7f800000, |v30|
	s_delay_alu instid0(VALU_DEP_2) | instskip(SKIP_1) | instid1(VALU_DEP_2)
	v_sub_f32_e32 v33, v30, v32
	v_sub_f32_e32 v26, v26, v31
	v_mul_f32_e32 v34, 0x3fb8aa3b, v33
	s_delay_alu instid0(VALU_DEP_2) | instskip(SKIP_2) | instid1(VALU_DEP_4)
	v_sub_f32_e32 v26, v27, v26
	v_trunc_f32_e32 v27, v28
	v_cmp_nlt_f32_e64 s5, 0x42b17218, v33
	v_fma_f32 v35, 0x3fb8aa3b, v33, -v34
	v_rndne_f32_e32 v36, v34
	s_wait_alu 0xf1ff
	v_cndmask_b32_e64 v26, 0, v26, s4
	v_cmp_ngt_f32_e64 s4, 0xc2ce8ed0, v33
	s_delay_alu instid0(VALU_DEP_3) | instskip(SKIP_1) | instid1(VALU_DEP_4)
	v_dual_fmac_f32 v35, 0x32a5705f, v33 :: v_dual_sub_f32 v34, v34, v36
	v_cvt_i32_f32_e32 v31, v36
	v_add_f32_e32 v26, v32, v26
	s_delay_alu instid0(VALU_DEP_3) | instskip(NEXT) | instid1(VALU_DEP_1)
	v_add_f32_e32 v34, v34, v35
	v_exp_f32_e32 v34, v34
	s_delay_alu instid0(TRANS32_DEP_1) | instskip(SKIP_2) | instid1(VALU_DEP_2)
	v_ldexp_f32 v31, v34, v31
	v_mul_f32_e32 v34, 0.5, v28
	s_wait_alu 0xf1ff
	v_cndmask_b32_e64 v30, 0, v31, s4
	s_delay_alu instid0(VALU_DEP_2) | instskip(SKIP_1) | instid1(VALU_DEP_3)
	v_trunc_f32_e32 v31, v34
	v_cmp_eq_f32_e64 s4, v27, v28
	v_cndmask_b32_e64 v27, 0x7f800000, v30, s5
	s_delay_alu instid0(VALU_DEP_3) | instskip(NEXT) | instid1(VALU_DEP_2)
	v_cmp_neq_f32_e64 s5, v31, v34
	v_fma_f32 v26, v27, v26, v27
	s_and_b32 s5, s4, s5
	s_wait_alu 0xfffe
	v_cndmask_b32_e64 v30, 0, v29, s5
	v_cndmask_b32_e64 v31, 1.0, v29, s5
	v_cmp_class_f32_e64 s5, v27, 0x204
	s_wait_alu 0xf1ff
	s_delay_alu instid0(VALU_DEP_1) | instskip(SKIP_2) | instid1(VALU_DEP_3)
	v_cndmask_b32_e64 v26, v26, v27, s5
	v_cmp_gt_f32_e64 s5, 0, v28
	v_cndmask_b32_e64 v27, 0x7f800000, 0, s27
	v_bfi_b32 v26, 0x7fffffff, v26, v31
	s_delay_alu instid0(VALU_DEP_1)
	v_cndmask_b32_e64 v31, 0x7fc00000, v26, s4
	s_xor_b32 s4, s5, s6
	v_cmp_class_f32_e64 s5, v29, 0x204
	s_wait_alu 0xfffe
	v_cndmask_b32_e64 v32, 0x7f800000, 0, s4
	v_cmp_neq_f32_e64 s4, |v29|, 1.0
	s_delay_alu instid0(VALU_DEP_2) | instskip(SKIP_1) | instid1(VALU_DEP_2)
	v_bfi_b32 v30, 0x7fffffff, v32, v30
	s_wait_alu 0xf1ff
	v_cndmask_b32_e64 v27, 1.0, v27, s4
	v_cmp_gt_f32_e64 s4, 0, v29
	s_wait_alu 0xf1ff
	s_delay_alu instid0(VALU_DEP_1) | instskip(SKIP_2) | instid1(VALU_DEP_1)
	v_cndmask_b32_e64 v26, v26, v31, s4
	v_cmp_class_f32_e64 s4, v28, 0x204
	s_wait_alu 0xf1ff
	v_cndmask_b32_e64 v26, v26, v27, s4
	s_or_b32 s4, s6, s5
	s_wait_alu 0xfffe
	s_delay_alu instid0(VALU_DEP_1) | instskip(SKIP_2) | instid1(VALU_DEP_1)
	v_cndmask_b32_e64 v26, v26, v30, s4
	v_cmp_o_f32_e64 s4, v29, v28
	s_wait_alu 0xf1ff
	v_cndmask_b32_e64 v28, 0x7fc00000, v26, s4
	s_delay_alu instid0(VALU_DEP_1) | instskip(NEXT) | instid1(VALU_DEP_1)
	v_bfe_u32 v26, v28, 16, 1
	v_add3_u32 v26, v28, v26, 0x7fff
	s_delay_alu instid0(VALU_DEP_1)
	v_lshrrev_b32_e32 v29, 16, v26
	v_add_co_u32 v26, s4, v3, s8
	s_wait_alu 0xf1ff
	v_add_co_ci_u32_e64 v27, null, s9, v4, s4
	v_cmp_o_f32_e64 s4, v28, v28
	s_wait_alu 0xf1ff
	s_delay_alu instid0(VALU_DEP_1)
	v_cndmask_b32_e64 v28, 0x7fc0, v29, s4
	global_store_b16 v[26:27], v28, off
	s_or_b32 exec_lo, exec_lo, s26
	s_and_saveexec_b32 s26, s3
	s_cbranch_execz .LBB71_13
.LBB71_17:                              ;   in Loop: Header=BB71_4 Depth=1
	v_cmp_neq_f32_e64 s3, 1.0, v25
	s_wait_alu 0xf1ff
	s_delay_alu instid0(VALU_DEP_1) | instskip(NEXT) | instid1(VALU_DEP_1)
	v_cndmask_b32_e64 v27, 1.0, s24, s3
	v_cmp_neq_f32_e64 s3, 0, v27
	v_cmp_neq_f32_e64 s27, v27, |v27|
	s_wait_alu 0xf1ff
	s_delay_alu instid0(VALU_DEP_2) | instskip(NEXT) | instid1(VALU_DEP_1)
	v_cndmask_b32_e64 v28, 1.0, v25, s3
	v_frexp_mant_f32_e64 v25, |v28|
	v_cmp_lt_f32_e64 s28, |v28|, 1.0
	v_cmp_eq_f32_e64 s6, 0, v28
	s_delay_alu instid0(VALU_DEP_3) | instskip(SKIP_2) | instid1(VALU_DEP_1)
	v_cmp_gt_f32_e64 s3, 0x3f2aaaab, v25
	s_xor_b32 s27, s27, s28
	v_cndmask_b32_e64 v26, 1.0, 2.0, s3
	v_mul_f32_e32 v25, v25, v26
	s_delay_alu instid0(VALU_DEP_1) | instskip(SKIP_1) | instid1(VALU_DEP_2)
	v_add_f32_e32 v26, 1.0, v25
	v_add_f32_e32 v30, -1.0, v25
	v_add_f32_e32 v32, -1.0, v26
	s_delay_alu instid0(VALU_DEP_1) | instskip(SKIP_1) | instid1(TRANS32_DEP_1)
	v_sub_f32_e32 v25, v25, v32
	v_rcp_f32_e32 v29, v26
	v_mul_f32_e32 v31, v30, v29
	s_delay_alu instid0(VALU_DEP_1) | instskip(NEXT) | instid1(VALU_DEP_1)
	v_mul_f32_e32 v33, v26, v31
	v_fma_f32 v26, v31, v26, -v33
	s_delay_alu instid0(VALU_DEP_1) | instskip(NEXT) | instid1(VALU_DEP_1)
	v_fmac_f32_e32 v26, v31, v25
	v_add_f32_e32 v25, v33, v26
	s_delay_alu instid0(VALU_DEP_1) | instskip(NEXT) | instid1(VALU_DEP_1)
	v_sub_f32_e32 v32, v30, v25
	v_dual_sub_f32 v33, v25, v33 :: v_dual_sub_f32 v30, v30, v32
	s_delay_alu instid0(VALU_DEP_1) | instskip(NEXT) | instid1(VALU_DEP_1)
	v_dual_sub_f32 v26, v33, v26 :: v_dual_sub_f32 v25, v30, v25
	v_add_f32_e32 v25, v26, v25
	s_delay_alu instid0(VALU_DEP_1) | instskip(NEXT) | instid1(VALU_DEP_1)
	v_add_f32_e32 v25, v32, v25
	v_mul_f32_e32 v25, v29, v25
	s_delay_alu instid0(VALU_DEP_1) | instskip(NEXT) | instid1(VALU_DEP_1)
	v_add_f32_e32 v29, v31, v25
	v_sub_f32_e32 v26, v29, v31
	s_delay_alu instid0(VALU_DEP_1) | instskip(NEXT) | instid1(VALU_DEP_1)
	v_sub_f32_e32 v31, v25, v26
	v_dual_mul_f32 v30, v29, v29 :: v_dual_add_f32 v25, v31, v31
	s_delay_alu instid0(VALU_DEP_1) | instskip(NEXT) | instid1(VALU_DEP_1)
	v_fma_f32 v32, v29, v29, -v30
	v_fmac_f32_e32 v32, v29, v25
	v_cvt_f64_f32_e64 v[25:26], |v28|
	s_delay_alu instid0(VALU_DEP_2) | instskip(NEXT) | instid1(VALU_DEP_1)
	v_add_f32_e32 v33, v30, v32
	v_fmaak_f32 v34, s25, v33, 0x3e91f4c4
	v_sub_f32_e32 v30, v33, v30
	s_delay_alu instid0(VALU_DEP_2) | instskip(NEXT) | instid1(VALU_DEP_2)
	v_fmaak_f32 v34, v33, v34, 0x3ecccdef
	v_sub_f32_e32 v30, v32, v30
	s_delay_alu instid0(VALU_DEP_2) | instskip(NEXT) | instid1(VALU_DEP_1)
	v_mul_f32_e32 v35, v33, v34
	v_fma_f32 v32, v33, v34, -v35
	s_delay_alu instid0(VALU_DEP_1) | instskip(NEXT) | instid1(VALU_DEP_1)
	v_dual_fmac_f32 v32, v30, v34 :: v_dual_mul_f32 v37, v29, v33
	v_add_f32_e32 v34, v35, v32
	v_frexp_exp_i32_f64_e32 v25, v[25:26]
	s_delay_alu instid0(VALU_DEP_2) | instskip(NEXT) | instid1(VALU_DEP_1)
	v_sub_f32_e32 v35, v34, v35
	v_sub_f32_e32 v26, v32, v35
	v_fma_f32 v35, v33, v29, -v37
	s_delay_alu instid0(VALU_DEP_1) | instskip(NEXT) | instid1(VALU_DEP_1)
	v_dual_add_f32 v36, 0x3f2aaaaa, v34 :: v_dual_fmac_f32 v35, v33, v31
	v_add_f32_e32 v32, 0xbf2aaaaa, v36
	v_ldexp_f32 v31, v31, 1
	s_delay_alu instid0(VALU_DEP_3) | instskip(NEXT) | instid1(VALU_DEP_3)
	v_dual_fmac_f32 v35, v30, v29 :: v_dual_add_f32 v26, 0x31739010, v26
	v_sub_f32_e32 v32, v34, v32
	s_delay_alu instid0(VALU_DEP_1) | instskip(NEXT) | instid1(VALU_DEP_1)
	v_add_f32_e32 v26, v26, v32
	v_add_f32_e32 v30, v36, v26
	s_delay_alu instid0(VALU_DEP_1) | instskip(SKIP_1) | instid1(VALU_DEP_2)
	v_sub_f32_e32 v33, v36, v30
	v_subrev_co_ci_u32_e64 v25, null, 0, v25, s3
	v_add_f32_e32 v26, v26, v33
	s_delay_alu instid0(VALU_DEP_2) | instskip(SKIP_1) | instid1(VALU_DEP_1)
	v_cvt_f32_i32_e32 v25, v25
	v_add_f32_e32 v32, v37, v35
	v_mul_f32_e32 v34, v32, v30
	v_sub_f32_e32 v36, v32, v37
	s_delay_alu instid0(VALU_DEP_2) | instskip(NEXT) | instid1(VALU_DEP_2)
	v_fma_f32 v33, v32, v30, -v34
	v_sub_f32_e32 v35, v35, v36
	s_delay_alu instid0(VALU_DEP_2) | instskip(SKIP_1) | instid1(VALU_DEP_2)
	v_fmac_f32_e32 v33, v32, v26
	v_ldexp_f32 v26, v29, 1
	v_fmac_f32_e32 v33, v35, v30
	s_delay_alu instid0(VALU_DEP_1) | instskip(NEXT) | instid1(VALU_DEP_1)
	v_add_f32_e32 v29, v34, v33
	v_add_f32_e32 v30, v26, v29
	v_sub_f32_e32 v32, v29, v34
	v_mul_f32_e32 v34, 0x3f317218, v25
	s_delay_alu instid0(VALU_DEP_3) | instskip(NEXT) | instid1(VALU_DEP_3)
	v_sub_f32_e32 v26, v30, v26
	v_sub_f32_e32 v32, v33, v32
	s_delay_alu instid0(VALU_DEP_3) | instskip(NEXT) | instid1(VALU_DEP_2)
	v_fma_f32 v33, 0x3f317218, v25, -v34
	v_dual_sub_f32 v26, v29, v26 :: v_dual_add_f32 v29, v31, v32
	s_delay_alu instid0(VALU_DEP_2) | instskip(NEXT) | instid1(VALU_DEP_2)
	v_fmac_f32_e32 v33, 0xb102e308, v25
	v_add_f32_e32 v25, v29, v26
	s_delay_alu instid0(VALU_DEP_1) | instskip(NEXT) | instid1(VALU_DEP_1)
	v_add_f32_e32 v29, v30, v25
	v_sub_f32_e32 v30, v29, v30
	s_delay_alu instid0(VALU_DEP_1) | instskip(NEXT) | instid1(VALU_DEP_1)
	v_dual_sub_f32 v25, v25, v30 :: v_dual_add_f32 v26, v34, v33
	v_sub_f32_e32 v34, v26, v34
	s_delay_alu instid0(VALU_DEP_1) | instskip(SKIP_1) | instid1(VALU_DEP_2)
	v_sub_f32_e32 v33, v33, v34
	v_add_f32_e32 v31, v26, v29
	v_add_f32_e32 v30, v33, v25
	s_delay_alu instid0(VALU_DEP_2) | instskip(NEXT) | instid1(VALU_DEP_1)
	v_sub_f32_e32 v32, v31, v26
	v_sub_f32_e32 v35, v31, v32
	s_delay_alu instid0(VALU_DEP_1) | instskip(NEXT) | instid1(VALU_DEP_1)
	v_dual_sub_f32 v29, v29, v32 :: v_dual_sub_f32 v26, v26, v35
	v_dual_add_f32 v26, v29, v26 :: v_dual_sub_f32 v29, v30, v33
	s_delay_alu instid0(VALU_DEP_1) | instskip(NEXT) | instid1(VALU_DEP_2)
	v_add_f32_e32 v26, v30, v26
	v_sub_f32_e32 v30, v30, v29
	s_delay_alu instid0(VALU_DEP_2) | instskip(NEXT) | instid1(VALU_DEP_1)
	v_dual_sub_f32 v25, v25, v29 :: v_dual_add_f32 v32, v31, v26
	v_dual_sub_f32 v29, v33, v30 :: v_dual_sub_f32 v30, v32, v31
	s_delay_alu instid0(VALU_DEP_1) | instskip(NEXT) | instid1(VALU_DEP_1)
	v_dual_add_f32 v25, v25, v29 :: v_dual_sub_f32 v26, v26, v30
	v_add_f32_e32 v25, v25, v26
	s_delay_alu instid0(VALU_DEP_1) | instskip(NEXT) | instid1(VALU_DEP_1)
	v_add_f32_e32 v26, v32, v25
	v_dual_sub_f32 v29, v26, v32 :: v_dual_mul_f32 v30, v27, v26
	s_delay_alu instid0(VALU_DEP_1) | instskip(NEXT) | instid1(VALU_DEP_2)
	v_sub_f32_e32 v25, v25, v29
	v_fma_f32 v26, v27, v26, -v30
	v_cmp_class_f32_e64 s3, v30, 0x204
	s_delay_alu instid0(VALU_DEP_2) | instskip(NEXT) | instid1(VALU_DEP_1)
	v_fmac_f32_e32 v26, v27, v25
	v_add_f32_e32 v25, v30, v26
	s_wait_alu 0xf1ff
	s_delay_alu instid0(VALU_DEP_1) | instskip(NEXT) | instid1(VALU_DEP_1)
	v_cndmask_b32_e64 v29, v25, v30, s3
	v_cmp_eq_f32_e64 s3, 0x42b17218, v29
	s_wait_alu 0xf1ff
	s_delay_alu instid0(VALU_DEP_1) | instskip(SKIP_1) | instid1(VALU_DEP_2)
	v_cndmask_b32_e64 v31, 0, 0x37000000, s3
	v_cmp_neq_f32_e64 s3, 0x7f800000, |v29|
	v_sub_f32_e32 v32, v29, v31
	v_sub_f32_e32 v25, v25, v30
	v_trunc_f32_e32 v29, v27
	s_delay_alu instid0(VALU_DEP_3) | instskip(NEXT) | instid1(VALU_DEP_3)
	v_mul_f32_e32 v33, 0x3fb8aa3b, v32
	v_sub_f32_e32 v25, v26, v25
	s_delay_alu instid0(VALU_DEP_2) | instskip(SKIP_2) | instid1(VALU_DEP_3)
	v_fma_f32 v34, 0x3fb8aa3b, v32, -v33
	v_rndne_f32_e32 v35, v33
	s_wait_alu 0xf1ff
	v_cndmask_b32_e64 v25, 0, v25, s3
	v_cmp_ngt_f32_e64 s3, 0xc2ce8ed0, v32
	s_delay_alu instid0(VALU_DEP_3) | instskip(SKIP_1) | instid1(VALU_DEP_4)
	v_dual_fmac_f32 v34, 0x32a5705f, v32 :: v_dual_sub_f32 v33, v33, v35
	v_cvt_i32_f32_e32 v30, v35
	v_add_f32_e32 v25, v31, v25
	s_delay_alu instid0(VALU_DEP_3) | instskip(NEXT) | instid1(VALU_DEP_1)
	v_add_f32_e32 v33, v33, v34
	v_exp_f32_e32 v33, v33
	s_delay_alu instid0(TRANS32_DEP_1) | instskip(SKIP_2) | instid1(VALU_DEP_2)
	v_ldexp_f32 v26, v33, v30
	v_mul_f32_e32 v30, 0.5, v27
	s_wait_alu 0xf1ff
	v_cndmask_b32_e64 v26, 0, v26, s3
	v_cmp_nlt_f32_e64 s3, 0x42b17218, v32
	s_delay_alu instid0(VALU_DEP_3) | instskip(SKIP_1) | instid1(VALU_DEP_2)
	v_trunc_f32_e32 v33, v30
	s_wait_alu 0xf1ff
	v_cndmask_b32_e64 v26, 0x7f800000, v26, s3
	v_cmp_eq_f32_e64 s3, v29, v27
	s_delay_alu instid0(VALU_DEP_3) | instskip(NEXT) | instid1(VALU_DEP_3)
	v_cmp_neq_f32_e64 s4, v33, v30
	v_fma_f32 v25, v26, v25, v26
	v_cmp_class_f32_e64 s5, v26, 0x204
	s_and_b32 s4, s3, s4
	s_wait_alu 0xfffe
	v_cndmask_b32_e64 v29, 1.0, v28, s4
	v_cndmask_b32_e64 v31, 0, v28, s4
	v_cndmask_b32_e64 v25, v25, v26, s5
	;; [unrolled: 1-line block ×3, first 2 shown]
	v_cmp_gt_f32_e64 s5, 0, v27
	v_cmp_class_f32_e64 s4, v28, 0x204
	s_delay_alu instid0(VALU_DEP_4) | instskip(SKIP_3) | instid1(VALU_DEP_2)
	v_bfi_b32 v25, 0x7fffffff, v25, v29
	s_xor_b32 s5, s5, s6
	s_wait_alu 0xfffe
	v_cndmask_b32_e64 v29, 0x7f800000, 0, s5
	v_cndmask_b32_e64 v30, 0x7fc00000, v25, s3
	v_cmp_neq_f32_e64 s3, |v28|, 1.0
	s_delay_alu instid0(VALU_DEP_3) | instskip(SKIP_1) | instid1(VALU_DEP_2)
	v_bfi_b32 v29, 0x7fffffff, v29, v31
	s_wait_alu 0xf1ff
	v_cndmask_b32_e64 v26, 1.0, v26, s3
	v_cmp_gt_f32_e64 s3, 0, v28
	s_wait_alu 0xf1ff
	s_delay_alu instid0(VALU_DEP_1) | instskip(SKIP_2) | instid1(VALU_DEP_1)
	v_cndmask_b32_e64 v25, v25, v30, s3
	v_cmp_class_f32_e64 s3, v27, 0x204
	s_wait_alu 0xf1ff
	v_cndmask_b32_e64 v25, v25, v26, s3
	s_or_b32 s3, s6, s4
	s_wait_alu 0xfffe
	s_delay_alu instid0(VALU_DEP_1) | instskip(SKIP_2) | instid1(VALU_DEP_1)
	v_cndmask_b32_e64 v25, v25, v29, s3
	v_cmp_o_f32_e64 s3, v28, v27
	s_wait_alu 0xf1ff
	v_cndmask_b32_e64 v25, 0x7fc00000, v25, s3
	s_delay_alu instid0(VALU_DEP_1) | instskip(SKIP_1) | instid1(VALU_DEP_2)
	v_bfe_u32 v26, v25, 16, 1
	v_cmp_o_f32_e64 s3, v25, v25
	v_add3_u32 v26, v25, v26, 0x7fff
	s_delay_alu instid0(VALU_DEP_1) | instskip(SKIP_1) | instid1(VALU_DEP_1)
	v_lshrrev_b32_e32 v26, 16, v26
	s_wait_alu 0xf1ff
	v_cndmask_b32_e64 v27, 0x7fc0, v26, s3
	v_add_co_u32 v25, s3, v21, s8
	s_wait_alu 0xf1ff
	v_add_co_ci_u32_e64 v26, null, s9, v22, s3
	global_store_b16 v[25:26], v27, off
	s_or_b32 exec_lo, exec_lo, s26
	s_and_saveexec_b32 s6, s2
	s_cbranch_execz .LBB71_14
.LBB71_18:                              ;   in Loop: Header=BB71_4 Depth=1
	v_cmp_neq_f32_e64 s2, 1.0, v24
	s_wait_alu 0xf1ff
	s_delay_alu instid0(VALU_DEP_1) | instskip(NEXT) | instid1(VALU_DEP_1)
	v_cndmask_b32_e64 v26, 1.0, s24, s2
	v_cmp_neq_f32_e64 s2, 0, v26
	v_cmp_neq_f32_e64 s26, v26, |v26|
	s_wait_alu 0xf1ff
	s_delay_alu instid0(VALU_DEP_2) | instskip(NEXT) | instid1(VALU_DEP_1)
	v_cndmask_b32_e64 v27, 1.0, v24, s2
	v_frexp_mant_f32_e64 v24, |v27|
	v_cmp_lt_f32_e64 s27, |v27|, 1.0
	v_cmp_eq_f32_e64 s5, 0, v27
	s_delay_alu instid0(VALU_DEP_3) | instskip(SKIP_2) | instid1(VALU_DEP_1)
	v_cmp_gt_f32_e64 s2, 0x3f2aaaab, v24
	s_xor_b32 s26, s26, s27
	v_cndmask_b32_e64 v25, 1.0, 2.0, s2
	v_mul_f32_e32 v24, v24, v25
	s_delay_alu instid0(VALU_DEP_1) | instskip(SKIP_1) | instid1(VALU_DEP_2)
	v_add_f32_e32 v25, 1.0, v24
	v_add_f32_e32 v29, -1.0, v24
	v_add_f32_e32 v31, -1.0, v25
	s_delay_alu instid0(VALU_DEP_1) | instskip(SKIP_1) | instid1(TRANS32_DEP_1)
	v_sub_f32_e32 v24, v24, v31
	v_rcp_f32_e32 v28, v25
	v_mul_f32_e32 v30, v29, v28
	s_delay_alu instid0(VALU_DEP_1) | instskip(NEXT) | instid1(VALU_DEP_1)
	v_mul_f32_e32 v32, v25, v30
	v_fma_f32 v25, v30, v25, -v32
	s_delay_alu instid0(VALU_DEP_1) | instskip(NEXT) | instid1(VALU_DEP_1)
	v_fmac_f32_e32 v25, v30, v24
	v_add_f32_e32 v24, v32, v25
	s_delay_alu instid0(VALU_DEP_1) | instskip(NEXT) | instid1(VALU_DEP_1)
	v_sub_f32_e32 v31, v29, v24
	v_dual_sub_f32 v32, v24, v32 :: v_dual_sub_f32 v29, v29, v31
	s_delay_alu instid0(VALU_DEP_1) | instskip(NEXT) | instid1(VALU_DEP_1)
	v_dual_sub_f32 v25, v32, v25 :: v_dual_sub_f32 v24, v29, v24
	v_add_f32_e32 v24, v25, v24
	s_delay_alu instid0(VALU_DEP_1) | instskip(NEXT) | instid1(VALU_DEP_1)
	v_add_f32_e32 v24, v31, v24
	v_mul_f32_e32 v24, v28, v24
	s_delay_alu instid0(VALU_DEP_1) | instskip(NEXT) | instid1(VALU_DEP_1)
	v_add_f32_e32 v28, v30, v24
	v_sub_f32_e32 v25, v28, v30
	s_delay_alu instid0(VALU_DEP_1) | instskip(NEXT) | instid1(VALU_DEP_1)
	v_sub_f32_e32 v30, v24, v25
	v_dual_mul_f32 v29, v28, v28 :: v_dual_add_f32 v24, v30, v30
	s_delay_alu instid0(VALU_DEP_1) | instskip(NEXT) | instid1(VALU_DEP_1)
	v_fma_f32 v31, v28, v28, -v29
	v_fmac_f32_e32 v31, v28, v24
	v_cvt_f64_f32_e64 v[24:25], |v27|
	s_delay_alu instid0(VALU_DEP_2) | instskip(NEXT) | instid1(VALU_DEP_1)
	v_add_f32_e32 v32, v29, v31
	v_fmaak_f32 v33, s25, v32, 0x3e91f4c4
	v_sub_f32_e32 v29, v32, v29
	s_delay_alu instid0(VALU_DEP_2) | instskip(NEXT) | instid1(VALU_DEP_2)
	v_fmaak_f32 v33, v32, v33, 0x3ecccdef
	v_sub_f32_e32 v29, v31, v29
	s_delay_alu instid0(VALU_DEP_2) | instskip(NEXT) | instid1(VALU_DEP_1)
	v_mul_f32_e32 v34, v32, v33
	v_fma_f32 v31, v32, v33, -v34
	s_delay_alu instid0(VALU_DEP_1) | instskip(NEXT) | instid1(VALU_DEP_1)
	v_dual_fmac_f32 v31, v29, v33 :: v_dual_mul_f32 v36, v28, v32
	v_add_f32_e32 v33, v34, v31
	v_frexp_exp_i32_f64_e32 v24, v[24:25]
	s_delay_alu instid0(VALU_DEP_2) | instskip(NEXT) | instid1(VALU_DEP_1)
	v_sub_f32_e32 v34, v33, v34
	v_sub_f32_e32 v25, v31, v34
	v_fma_f32 v34, v32, v28, -v36
	s_delay_alu instid0(VALU_DEP_1) | instskip(NEXT) | instid1(VALU_DEP_1)
	v_dual_add_f32 v35, 0x3f2aaaaa, v33 :: v_dual_fmac_f32 v34, v32, v30
	v_add_f32_e32 v31, 0xbf2aaaaa, v35
	v_ldexp_f32 v30, v30, 1
	s_delay_alu instid0(VALU_DEP_3) | instskip(NEXT) | instid1(VALU_DEP_3)
	v_dual_fmac_f32 v34, v29, v28 :: v_dual_add_f32 v25, 0x31739010, v25
	v_sub_f32_e32 v31, v33, v31
	s_delay_alu instid0(VALU_DEP_1) | instskip(NEXT) | instid1(VALU_DEP_1)
	v_add_f32_e32 v25, v25, v31
	v_add_f32_e32 v29, v35, v25
	s_delay_alu instid0(VALU_DEP_1) | instskip(SKIP_1) | instid1(VALU_DEP_2)
	v_sub_f32_e32 v32, v35, v29
	v_subrev_co_ci_u32_e64 v24, null, 0, v24, s2
	v_add_f32_e32 v25, v25, v32
	s_delay_alu instid0(VALU_DEP_2) | instskip(SKIP_1) | instid1(VALU_DEP_1)
	v_cvt_f32_i32_e32 v24, v24
	v_add_f32_e32 v31, v36, v34
	v_mul_f32_e32 v33, v31, v29
	v_sub_f32_e32 v35, v31, v36
	s_delay_alu instid0(VALU_DEP_2) | instskip(NEXT) | instid1(VALU_DEP_2)
	v_fma_f32 v32, v31, v29, -v33
	v_sub_f32_e32 v34, v34, v35
	s_delay_alu instid0(VALU_DEP_2) | instskip(SKIP_1) | instid1(VALU_DEP_2)
	v_fmac_f32_e32 v32, v31, v25
	v_ldexp_f32 v25, v28, 1
	v_fmac_f32_e32 v32, v34, v29
	s_delay_alu instid0(VALU_DEP_1) | instskip(NEXT) | instid1(VALU_DEP_1)
	v_add_f32_e32 v28, v33, v32
	v_add_f32_e32 v29, v25, v28
	v_sub_f32_e32 v31, v28, v33
	v_mul_f32_e32 v33, 0x3f317218, v24
	s_delay_alu instid0(VALU_DEP_3) | instskip(NEXT) | instid1(VALU_DEP_3)
	v_sub_f32_e32 v25, v29, v25
	v_sub_f32_e32 v31, v32, v31
	s_delay_alu instid0(VALU_DEP_3) | instskip(NEXT) | instid1(VALU_DEP_2)
	v_fma_f32 v32, 0x3f317218, v24, -v33
	v_dual_sub_f32 v25, v28, v25 :: v_dual_add_f32 v28, v30, v31
	s_delay_alu instid0(VALU_DEP_2) | instskip(NEXT) | instid1(VALU_DEP_2)
	v_fmac_f32_e32 v32, 0xb102e308, v24
	v_add_f32_e32 v24, v28, v25
	s_delay_alu instid0(VALU_DEP_1) | instskip(NEXT) | instid1(VALU_DEP_1)
	v_add_f32_e32 v28, v29, v24
	v_sub_f32_e32 v29, v28, v29
	s_delay_alu instid0(VALU_DEP_1) | instskip(NEXT) | instid1(VALU_DEP_1)
	v_dual_sub_f32 v24, v24, v29 :: v_dual_add_f32 v25, v33, v32
	v_sub_f32_e32 v33, v25, v33
	s_delay_alu instid0(VALU_DEP_1) | instskip(SKIP_1) | instid1(VALU_DEP_2)
	v_sub_f32_e32 v32, v32, v33
	v_add_f32_e32 v30, v25, v28
	v_add_f32_e32 v29, v32, v24
	s_delay_alu instid0(VALU_DEP_2) | instskip(NEXT) | instid1(VALU_DEP_1)
	v_sub_f32_e32 v31, v30, v25
	v_sub_f32_e32 v34, v30, v31
	s_delay_alu instid0(VALU_DEP_1) | instskip(NEXT) | instid1(VALU_DEP_1)
	v_dual_sub_f32 v28, v28, v31 :: v_dual_sub_f32 v25, v25, v34
	v_dual_add_f32 v25, v28, v25 :: v_dual_sub_f32 v28, v29, v32
	s_delay_alu instid0(VALU_DEP_1) | instskip(NEXT) | instid1(VALU_DEP_2)
	v_add_f32_e32 v25, v29, v25
	v_sub_f32_e32 v29, v29, v28
	s_delay_alu instid0(VALU_DEP_2) | instskip(NEXT) | instid1(VALU_DEP_1)
	v_dual_sub_f32 v24, v24, v28 :: v_dual_add_f32 v31, v30, v25
	v_dual_sub_f32 v28, v32, v29 :: v_dual_sub_f32 v29, v31, v30
	s_delay_alu instid0(VALU_DEP_1) | instskip(NEXT) | instid1(VALU_DEP_1)
	v_dual_add_f32 v24, v24, v28 :: v_dual_sub_f32 v25, v25, v29
	v_add_f32_e32 v24, v24, v25
	s_delay_alu instid0(VALU_DEP_1) | instskip(NEXT) | instid1(VALU_DEP_1)
	v_add_f32_e32 v25, v31, v24
	v_dual_sub_f32 v28, v25, v31 :: v_dual_mul_f32 v29, v26, v25
	s_delay_alu instid0(VALU_DEP_1) | instskip(NEXT) | instid1(VALU_DEP_2)
	v_sub_f32_e32 v24, v24, v28
	v_fma_f32 v25, v26, v25, -v29
	v_cmp_class_f32_e64 s2, v29, 0x204
	s_delay_alu instid0(VALU_DEP_2) | instskip(NEXT) | instid1(VALU_DEP_1)
	v_fmac_f32_e32 v25, v26, v24
	v_add_f32_e32 v24, v29, v25
	s_wait_alu 0xf1ff
	s_delay_alu instid0(VALU_DEP_1) | instskip(NEXT) | instid1(VALU_DEP_1)
	v_cndmask_b32_e64 v28, v24, v29, s2
	v_cmp_eq_f32_e64 s2, 0x42b17218, v28
	s_wait_alu 0xf1ff
	s_delay_alu instid0(VALU_DEP_1) | instskip(SKIP_1) | instid1(VALU_DEP_2)
	v_cndmask_b32_e64 v30, 0, 0x37000000, s2
	v_cmp_neq_f32_e64 s2, 0x7f800000, |v28|
	v_sub_f32_e32 v31, v28, v30
	v_sub_f32_e32 v24, v24, v29
	v_trunc_f32_e32 v28, v26
	s_delay_alu instid0(VALU_DEP_3) | instskip(NEXT) | instid1(VALU_DEP_3)
	v_mul_f32_e32 v32, 0x3fb8aa3b, v31
	v_sub_f32_e32 v24, v25, v24
	s_delay_alu instid0(VALU_DEP_2) | instskip(SKIP_2) | instid1(VALU_DEP_3)
	v_fma_f32 v33, 0x3fb8aa3b, v31, -v32
	v_rndne_f32_e32 v34, v32
	s_wait_alu 0xf1ff
	v_cndmask_b32_e64 v24, 0, v24, s2
	v_cmp_ngt_f32_e64 s2, 0xc2ce8ed0, v31
	s_delay_alu instid0(VALU_DEP_3) | instskip(SKIP_1) | instid1(VALU_DEP_4)
	v_dual_fmac_f32 v33, 0x32a5705f, v31 :: v_dual_sub_f32 v32, v32, v34
	v_cvt_i32_f32_e32 v29, v34
	v_add_f32_e32 v24, v30, v24
	s_delay_alu instid0(VALU_DEP_3) | instskip(NEXT) | instid1(VALU_DEP_1)
	v_add_f32_e32 v32, v32, v33
	v_exp_f32_e32 v32, v32
	s_delay_alu instid0(TRANS32_DEP_1) | instskip(SKIP_2) | instid1(VALU_DEP_2)
	v_ldexp_f32 v25, v32, v29
	v_mul_f32_e32 v29, 0.5, v26
	s_wait_alu 0xf1ff
	v_cndmask_b32_e64 v25, 0, v25, s2
	v_cmp_nlt_f32_e64 s2, 0x42b17218, v31
	s_delay_alu instid0(VALU_DEP_3) | instskip(SKIP_1) | instid1(VALU_DEP_2)
	v_trunc_f32_e32 v32, v29
	s_wait_alu 0xf1ff
	v_cndmask_b32_e64 v25, 0x7f800000, v25, s2
	v_cmp_eq_f32_e64 s2, v28, v26
	s_delay_alu instid0(VALU_DEP_3) | instskip(NEXT) | instid1(VALU_DEP_3)
	v_cmp_neq_f32_e64 s3, v32, v29
	v_fma_f32 v24, v25, v24, v25
	v_cmp_class_f32_e64 s4, v25, 0x204
	s_and_b32 s3, s2, s3
	s_wait_alu 0xfffe
	v_cndmask_b32_e64 v28, 1.0, v27, s3
	v_cndmask_b32_e64 v30, 0, v27, s3
	v_cndmask_b32_e64 v24, v24, v25, s4
	v_cndmask_b32_e64 v25, 0x7f800000, 0, s26
	v_cmp_gt_f32_e64 s4, 0, v26
	v_cmp_class_f32_e64 s3, v27, 0x204
	s_delay_alu instid0(VALU_DEP_4) | instskip(SKIP_3) | instid1(VALU_DEP_2)
	v_bfi_b32 v24, 0x7fffffff, v24, v28
	s_xor_b32 s4, s4, s5
	s_wait_alu 0xfffe
	v_cndmask_b32_e64 v28, 0x7f800000, 0, s4
	v_cndmask_b32_e64 v29, 0x7fc00000, v24, s2
	v_cmp_neq_f32_e64 s2, |v27|, 1.0
	s_delay_alu instid0(VALU_DEP_3) | instskip(SKIP_1) | instid1(VALU_DEP_2)
	v_bfi_b32 v28, 0x7fffffff, v28, v30
	s_wait_alu 0xf1ff
	v_cndmask_b32_e64 v25, 1.0, v25, s2
	v_cmp_gt_f32_e64 s2, 0, v27
	s_wait_alu 0xf1ff
	s_delay_alu instid0(VALU_DEP_1) | instskip(SKIP_2) | instid1(VALU_DEP_1)
	v_cndmask_b32_e64 v24, v24, v29, s2
	v_cmp_class_f32_e64 s2, v26, 0x204
	s_wait_alu 0xf1ff
	v_cndmask_b32_e64 v24, v24, v25, s2
	s_or_b32 s2, s5, s3
	s_wait_alu 0xfffe
	s_delay_alu instid0(VALU_DEP_1) | instskip(SKIP_2) | instid1(VALU_DEP_1)
	v_cndmask_b32_e64 v24, v24, v28, s2
	v_cmp_o_f32_e64 s2, v27, v26
	s_wait_alu 0xf1ff
	v_cndmask_b32_e64 v24, 0x7fc00000, v24, s2
	s_delay_alu instid0(VALU_DEP_1) | instskip(SKIP_1) | instid1(VALU_DEP_2)
	v_bfe_u32 v25, v24, 16, 1
	v_cmp_o_f32_e64 s2, v24, v24
	v_add3_u32 v25, v24, v25, 0x7fff
	s_delay_alu instid0(VALU_DEP_1) | instskip(SKIP_1) | instid1(VALU_DEP_1)
	v_lshrrev_b32_e32 v25, 16, v25
	s_wait_alu 0xf1ff
	v_cndmask_b32_e64 v26, 0x7fc0, v25, s2
	v_add_co_u32 v24, s2, v14, s8
	s_wait_alu 0xf1ff
	v_add_co_ci_u32_e64 v25, null, s9, v15, s2
	global_store_b16 v[24:25], v26, off
	s_or_b32 exec_lo, exec_lo, s6
	s_and_saveexec_b32 s5, vcc_lo
	s_cbranch_execz .LBB71_3
.LBB71_19:                              ;   in Loop: Header=BB71_4 Depth=1
	v_cmp_neq_f32_e32 vcc_lo, 1.0, v23
	s_wait_alu 0xfffd
	v_cndmask_b32_e64 v25, 1.0, s24, vcc_lo
	s_delay_alu instid0(VALU_DEP_1) | instskip(SKIP_3) | instid1(VALU_DEP_1)
	v_cmp_neq_f32_e32 vcc_lo, 0, v25
	v_cmp_neq_f32_e64 s6, v25, |v25|
	s_wait_alu 0xfffd
	v_cndmask_b32_e32 v26, 1.0, v23, vcc_lo
	v_frexp_mant_f32_e64 v23, |v26|
	s_delay_alu instid0(VALU_DEP_1) | instskip(SKIP_2) | instid1(VALU_DEP_1)
	v_cmp_gt_f32_e32 vcc_lo, 0x3f2aaaab, v23
	s_wait_alu 0xfffd
	v_cndmask_b32_e64 v24, 1.0, 2.0, vcc_lo
	v_mul_f32_e32 v23, v23, v24
	v_cmp_lt_f32_e64 s26, |v26|, 1.0
	v_cmp_eq_f32_e64 s4, 0, v26
	s_delay_alu instid0(VALU_DEP_3) | instskip(SKIP_2) | instid1(VALU_DEP_2)
	v_add_f32_e32 v24, 1.0, v23
	v_add_f32_e32 v28, -1.0, v23
	s_xor_b32 s6, s6, s26
	v_add_f32_e32 v30, -1.0, v24
	s_delay_alu instid0(VALU_DEP_1) | instskip(SKIP_1) | instid1(TRANS32_DEP_1)
	v_sub_f32_e32 v23, v23, v30
	v_rcp_f32_e32 v27, v24
	v_mul_f32_e32 v29, v28, v27
	s_delay_alu instid0(VALU_DEP_1) | instskip(NEXT) | instid1(VALU_DEP_1)
	v_mul_f32_e32 v31, v24, v29
	v_fma_f32 v24, v29, v24, -v31
	s_delay_alu instid0(VALU_DEP_1) | instskip(NEXT) | instid1(VALU_DEP_1)
	v_fmac_f32_e32 v24, v29, v23
	v_add_f32_e32 v23, v31, v24
	s_delay_alu instid0(VALU_DEP_1) | instskip(NEXT) | instid1(VALU_DEP_1)
	v_sub_f32_e32 v30, v28, v23
	v_dual_sub_f32 v28, v28, v30 :: v_dual_sub_f32 v31, v23, v31
	s_delay_alu instid0(VALU_DEP_1) | instskip(NEXT) | instid1(VALU_DEP_1)
	v_dual_sub_f32 v23, v28, v23 :: v_dual_sub_f32 v24, v31, v24
	v_add_f32_e32 v23, v24, v23
	s_delay_alu instid0(VALU_DEP_1) | instskip(NEXT) | instid1(VALU_DEP_1)
	v_add_f32_e32 v23, v30, v23
	v_mul_f32_e32 v23, v27, v23
	s_delay_alu instid0(VALU_DEP_1) | instskip(NEXT) | instid1(VALU_DEP_1)
	v_add_f32_e32 v27, v29, v23
	v_sub_f32_e32 v24, v27, v29
	s_delay_alu instid0(VALU_DEP_1) | instskip(NEXT) | instid1(VALU_DEP_1)
	v_sub_f32_e32 v29, v23, v24
	v_dual_mul_f32 v28, v27, v27 :: v_dual_add_f32 v23, v29, v29
	s_delay_alu instid0(VALU_DEP_1) | instskip(NEXT) | instid1(VALU_DEP_1)
	v_fma_f32 v30, v27, v27, -v28
	v_fmac_f32_e32 v30, v27, v23
	v_cvt_f64_f32_e64 v[23:24], |v26|
	s_delay_alu instid0(VALU_DEP_2) | instskip(NEXT) | instid1(VALU_DEP_1)
	v_add_f32_e32 v31, v28, v30
	v_fmaak_f32 v32, s25, v31, 0x3e91f4c4
	v_sub_f32_e32 v28, v31, v28
	s_delay_alu instid0(VALU_DEP_2) | instskip(NEXT) | instid1(VALU_DEP_2)
	v_fmaak_f32 v32, v31, v32, 0x3ecccdef
	v_sub_f32_e32 v28, v30, v28
	s_delay_alu instid0(VALU_DEP_2) | instskip(NEXT) | instid1(VALU_DEP_1)
	v_mul_f32_e32 v33, v31, v32
	v_fma_f32 v30, v31, v32, -v33
	s_delay_alu instid0(VALU_DEP_1) | instskip(NEXT) | instid1(VALU_DEP_1)
	v_dual_fmac_f32 v30, v28, v32 :: v_dual_mul_f32 v35, v27, v31
	v_add_f32_e32 v32, v33, v30
	v_frexp_exp_i32_f64_e32 v23, v[23:24]
	s_delay_alu instid0(VALU_DEP_2) | instskip(NEXT) | instid1(VALU_DEP_1)
	v_sub_f32_e32 v33, v32, v33
	v_sub_f32_e32 v24, v30, v33
	v_fma_f32 v33, v31, v27, -v35
	s_delay_alu instid0(VALU_DEP_1) | instskip(SKIP_2) | instid1(VALU_DEP_2)
	v_dual_add_f32 v24, 0x31739010, v24 :: v_dual_fmac_f32 v33, v31, v29
	v_add_f32_e32 v34, 0x3f2aaaaa, v32
	v_ldexp_f32 v29, v29, 1
	v_dual_fmac_f32 v33, v28, v27 :: v_dual_add_f32 v30, 0xbf2aaaaa, v34
	s_delay_alu instid0(VALU_DEP_1) | instskip(NEXT) | instid1(VALU_DEP_1)
	v_sub_f32_e32 v30, v32, v30
	v_add_f32_e32 v24, v24, v30
	s_delay_alu instid0(VALU_DEP_1) | instskip(SKIP_1) | instid1(VALU_DEP_2)
	v_add_f32_e32 v28, v34, v24
	v_subrev_co_ci_u32_e64 v23, null, 0, v23, vcc_lo
	v_sub_f32_e32 v31, v34, v28
	s_delay_alu instid0(VALU_DEP_2) | instskip(SKIP_1) | instid1(VALU_DEP_3)
	v_cvt_f32_i32_e32 v23, v23
	v_add_f32_e32 v30, v35, v33
	v_add_f32_e32 v24, v24, v31
	s_delay_alu instid0(VALU_DEP_2) | instskip(SKIP_1) | instid1(VALU_DEP_2)
	v_mul_f32_e32 v32, v30, v28
	v_sub_f32_e32 v34, v30, v35
	v_fma_f32 v31, v30, v28, -v32
	s_delay_alu instid0(VALU_DEP_2) | instskip(NEXT) | instid1(VALU_DEP_2)
	v_sub_f32_e32 v33, v33, v34
	v_fmac_f32_e32 v31, v30, v24
	v_ldexp_f32 v24, v27, 1
	s_delay_alu instid0(VALU_DEP_2) | instskip(NEXT) | instid1(VALU_DEP_1)
	v_fmac_f32_e32 v31, v33, v28
	v_add_f32_e32 v27, v32, v31
	s_delay_alu instid0(VALU_DEP_1) | instskip(SKIP_2) | instid1(VALU_DEP_3)
	v_add_f32_e32 v28, v24, v27
	v_sub_f32_e32 v30, v27, v32
	v_mul_f32_e32 v32, 0x3f317218, v23
	v_sub_f32_e32 v24, v28, v24
	s_delay_alu instid0(VALU_DEP_3) | instskip(NEXT) | instid1(VALU_DEP_3)
	v_sub_f32_e32 v30, v31, v30
	v_fma_f32 v31, 0x3f317218, v23, -v32
	s_delay_alu instid0(VALU_DEP_2) | instskip(NEXT) | instid1(VALU_DEP_2)
	v_dual_sub_f32 v24, v27, v24 :: v_dual_add_f32 v27, v29, v30
	v_fmac_f32_e32 v31, 0xb102e308, v23
	s_delay_alu instid0(VALU_DEP_2) | instskip(NEXT) | instid1(VALU_DEP_1)
	v_add_f32_e32 v23, v27, v24
	v_add_f32_e32 v27, v28, v23
	s_delay_alu instid0(VALU_DEP_1) | instskip(NEXT) | instid1(VALU_DEP_1)
	v_sub_f32_e32 v28, v27, v28
	v_dual_sub_f32 v23, v23, v28 :: v_dual_add_f32 v24, v32, v31
	s_delay_alu instid0(VALU_DEP_1) | instskip(NEXT) | instid1(VALU_DEP_1)
	v_sub_f32_e32 v32, v24, v32
	v_sub_f32_e32 v31, v31, v32
	v_add_f32_e32 v29, v24, v27
	s_delay_alu instid0(VALU_DEP_2) | instskip(NEXT) | instid1(VALU_DEP_2)
	v_add_f32_e32 v28, v31, v23
	v_sub_f32_e32 v30, v29, v24
	s_delay_alu instid0(VALU_DEP_1) | instskip(NEXT) | instid1(VALU_DEP_1)
	v_sub_f32_e32 v33, v29, v30
	v_dual_sub_f32 v27, v27, v30 :: v_dual_sub_f32 v24, v24, v33
	s_delay_alu instid0(VALU_DEP_1) | instskip(NEXT) | instid1(VALU_DEP_1)
	v_dual_add_f32 v24, v27, v24 :: v_dual_sub_f32 v27, v28, v31
	v_add_f32_e32 v24, v28, v24
	s_delay_alu instid0(VALU_DEP_2) | instskip(NEXT) | instid1(VALU_DEP_2)
	v_sub_f32_e32 v28, v28, v27
	v_dual_sub_f32 v23, v23, v27 :: v_dual_add_f32 v30, v29, v24
	s_delay_alu instid0(VALU_DEP_1) | instskip(NEXT) | instid1(VALU_DEP_1)
	v_dual_sub_f32 v27, v31, v28 :: v_dual_sub_f32 v28, v30, v29
	v_dual_add_f32 v23, v23, v27 :: v_dual_sub_f32 v24, v24, v28
	s_delay_alu instid0(VALU_DEP_1) | instskip(NEXT) | instid1(VALU_DEP_1)
	v_add_f32_e32 v23, v23, v24
	v_add_f32_e32 v24, v30, v23
	s_delay_alu instid0(VALU_DEP_1) | instskip(NEXT) | instid1(VALU_DEP_1)
	v_dual_sub_f32 v27, v24, v30 :: v_dual_mul_f32 v28, v25, v24
	v_sub_f32_e32 v23, v23, v27
	s_delay_alu instid0(VALU_DEP_2) | instskip(SKIP_1) | instid1(VALU_DEP_2)
	v_fma_f32 v24, v25, v24, -v28
	v_cmp_class_f32_e64 vcc_lo, v28, 0x204
	v_fmac_f32_e32 v24, v25, v23
	s_delay_alu instid0(VALU_DEP_1) | instskip(SKIP_1) | instid1(VALU_DEP_1)
	v_add_f32_e32 v23, v28, v24
	s_wait_alu 0xfffd
	v_cndmask_b32_e32 v27, v23, v28, vcc_lo
	s_delay_alu instid0(VALU_DEP_1) | instskip(SKIP_3) | instid1(VALU_DEP_2)
	v_cmp_eq_f32_e32 vcc_lo, 0x42b17218, v27
	s_wait_alu 0xfffd
	v_cndmask_b32_e64 v29, 0, 0x37000000, vcc_lo
	v_cmp_neq_f32_e64 vcc_lo, 0x7f800000, |v27|
	v_sub_f32_e32 v30, v27, v29
	v_sub_f32_e32 v23, v23, v28
	v_trunc_f32_e32 v27, v25
	s_delay_alu instid0(VALU_DEP_3) | instskip(NEXT) | instid1(VALU_DEP_3)
	v_mul_f32_e32 v31, 0x3fb8aa3b, v30
	v_sub_f32_e32 v23, v24, v23
	s_delay_alu instid0(VALU_DEP_2) | instskip(SKIP_2) | instid1(VALU_DEP_3)
	v_fma_f32 v32, 0x3fb8aa3b, v30, -v31
	v_rndne_f32_e32 v33, v31
	s_wait_alu 0xfffd
	v_cndmask_b32_e32 v23, 0, v23, vcc_lo
	v_cmp_ngt_f32_e32 vcc_lo, 0xc2ce8ed0, v30
	s_delay_alu instid0(VALU_DEP_3) | instskip(SKIP_1) | instid1(VALU_DEP_4)
	v_dual_fmac_f32 v32, 0x32a5705f, v30 :: v_dual_sub_f32 v31, v31, v33
	v_cvt_i32_f32_e32 v28, v33
	v_add_f32_e32 v23, v29, v23
	s_delay_alu instid0(VALU_DEP_3) | instskip(NEXT) | instid1(VALU_DEP_1)
	v_add_f32_e32 v31, v31, v32
	v_exp_f32_e32 v31, v31
	s_delay_alu instid0(TRANS32_DEP_1) | instskip(SKIP_2) | instid1(VALU_DEP_2)
	v_ldexp_f32 v24, v31, v28
	v_mul_f32_e32 v28, 0.5, v25
	s_wait_alu 0xfffd
	v_cndmask_b32_e32 v24, 0, v24, vcc_lo
	v_cmp_nlt_f32_e32 vcc_lo, 0x42b17218, v30
	s_delay_alu instid0(VALU_DEP_3) | instskip(SKIP_1) | instid1(VALU_DEP_3)
	v_trunc_f32_e32 v31, v28
	s_wait_alu 0xfffd
	v_cndmask_b32_e32 v24, 0x7f800000, v24, vcc_lo
	v_cmp_eq_f32_e32 vcc_lo, v27, v25
	s_delay_alu instid0(VALU_DEP_3) | instskip(NEXT) | instid1(VALU_DEP_3)
	v_cmp_neq_f32_e64 s2, v31, v28
	v_fma_f32 v23, v24, v23, v24
	v_cmp_class_f32_e64 s3, v24, 0x204
	s_and_b32 s2, vcc_lo, s2
	s_wait_alu 0xfffe
	v_cndmask_b32_e64 v27, 1.0, v26, s2
	v_cndmask_b32_e64 v29, 0, v26, s2
	v_cndmask_b32_e64 v23, v23, v24, s3
	;; [unrolled: 1-line block ×3, first 2 shown]
	v_cmp_gt_f32_e64 s3, 0, v25
	v_cmp_class_f32_e64 s2, v26, 0x204
	s_delay_alu instid0(VALU_DEP_4) | instskip(SKIP_3) | instid1(VALU_DEP_2)
	v_bfi_b32 v23, 0x7fffffff, v23, v27
	s_xor_b32 s3, s3, s4
	s_wait_alu 0xfffe
	v_cndmask_b32_e64 v27, 0x7f800000, 0, s3
	v_cndmask_b32_e32 v28, 0x7fc00000, v23, vcc_lo
	v_cmp_neq_f32_e64 vcc_lo, |v26|, 1.0
	s_delay_alu instid0(VALU_DEP_3)
	v_bfi_b32 v27, 0x7fffffff, v27, v29
	s_wait_alu 0xfffd
	v_cndmask_b32_e32 v24, 1.0, v24, vcc_lo
	v_cmp_gt_f32_e32 vcc_lo, 0, v26
	s_wait_alu 0xfffd
	v_cndmask_b32_e32 v23, v23, v28, vcc_lo
	v_cmp_class_f32_e64 vcc_lo, v25, 0x204
	s_wait_alu 0xfffd
	s_delay_alu instid0(VALU_DEP_2) | instskip(SKIP_2) | instid1(VALU_DEP_1)
	v_cndmask_b32_e32 v23, v23, v24, vcc_lo
	s_or_b32 vcc_lo, s4, s2
	s_wait_alu 0xfffe
	v_cndmask_b32_e32 v23, v23, v27, vcc_lo
	v_cmp_o_f32_e32 vcc_lo, v26, v25
	s_wait_alu 0xfffd
	s_delay_alu instid0(VALU_DEP_2) | instskip(NEXT) | instid1(VALU_DEP_1)
	v_cndmask_b32_e32 v23, 0x7fc00000, v23, vcc_lo
	v_bfe_u32 v24, v23, 16, 1
	v_cmp_o_f32_e32 vcc_lo, v23, v23
	s_delay_alu instid0(VALU_DEP_2) | instskip(NEXT) | instid1(VALU_DEP_1)
	v_add3_u32 v24, v23, v24, 0x7fff
	v_lshrrev_b32_e32 v24, 16, v24
	s_wait_alu 0xfffd
	s_delay_alu instid0(VALU_DEP_1)
	v_cndmask_b32_e32 v25, 0x7fc0, v24, vcc_lo
	v_add_co_u32 v23, vcc_lo, v7, s8
	s_wait_alu 0xfffd
	v_add_co_ci_u32_e64 v24, null, s9, v8, vcc_lo
	global_store_b16 v[23:24], v25, off
	s_branch .LBB71_3
.LBB71_20:
	s_mov_b32 s2, 0
.LBB71_21:
	s_wait_alu 0xfffe
	s_and_not1_b32 vcc_lo, exec_lo, s2
	s_wait_alu 0xfffe
	s_cbranch_vccnz .LBB71_25
; %bb.22:
	v_cmp_gt_i64_e64 s2, 0x10000, s[10:11]
	v_dual_mov_b32 v2, 0 :: v_dual_lshlrev_b32 v1, 2, v0
	s_mov_b32 s25, 0
	s_and_b32 s2, s2, exec_lo
	s_cselect_b32 s23, s11, 0
	s_cselect_b32 s22, s10, 0x10000
	s_mov_b32 s2, exec_lo
	s_wait_alu 0xfffe
	v_cmpx_gt_i64_e64 s[22:23], v[1:2]
	s_cbranch_execz .LBB71_25
; %bb.23:
	s_load_b32 s0, s[0:1], 0xc5c
	v_lshlrev_b32_e32 v3, 3, v0
	v_mov_b32_e32 v1, v2
	s_mov_b32 s28, 0x3e76c4e1
	s_delay_alu instid0(VALU_DEP_2) | instskip(NEXT) | instid1(VALU_DEP_1)
	v_add_co_u32 v8, s1, s8, v3
	v_add_co_ci_u32_e64 v9, null, s9, 0, s1
	s_wait_kmcnt 0x0
	s_and_b32 s26, s0, 0xffff
	s_wait_alu 0xfffe
	s_lshl_b32 s27, s26, 3
.LBB71_24:                              ; =>This Inner Loop Header: Depth=1
	v_add_co_u32 v2, vcc_lo, s18, v8
	s_wait_alu 0xfffd
	v_add_co_ci_u32_e64 v3, null, s19, v9, vcc_lo
	v_add_co_u32 v0, vcc_lo, v0, s26
	s_wait_alu 0xfffd
	v_add_co_ci_u32_e64 v1, null, 0, v1, vcc_lo
	global_load_b64 v[2:3], v[2:3], off
	v_add_co_u32 v4, vcc_lo, s20, v8
	s_wait_alu 0xfffd
	v_add_co_ci_u32_e64 v5, null, s21, v9, vcc_lo
	v_lshlrev_b64_e32 v[6:7], 2, v[0:1]
	s_wait_loadcnt 0x0
	v_and_b32_e32 v12, 0xffff0000, v2
	v_lshlrev_b32_e32 v10, 16, v2
	v_alignbit_b32 v13, v3, v2, 16
	s_delay_alu instid0(VALU_DEP_2) | instskip(SKIP_4) | instid1(VALU_DEP_3)
	v_cmp_neq_f32_e32 vcc_lo, 1.0, v10
	s_wait_alu 0xfffd
	v_cndmask_b32_e64 v2, 1.0, s24, vcc_lo
	v_and_b32_e32 v14, 0xffff0000, v3
	v_cmp_neq_f32_e32 vcc_lo, 1.0, v12
	v_mul_f32_e32 v17, 0.5, v2
	v_trunc_f32_e32 v16, v2
	s_wait_alu 0xfffd
	v_cndmask_b32_e64 v11, 1.0, s24, vcc_lo
	v_cmp_neq_f32_e32 vcc_lo, 1.0, v14
	v_cmp_gt_f32_e64 s5, 0, v2
	v_cmp_neq_f32_e64 s11, v2, |v2|
	v_cmp_eq_f32_e64 s1, v16, v2
	v_mul_f32_e32 v19, 0.5, v11
	s_wait_alu 0xfffd
	v_cndmask_b32_e64 v3, 1.0, s24, vcc_lo
	v_cmp_neq_f32_e32 vcc_lo, 0, v2
	v_and_b32_e32 v15, 0xffff0000, v13
	v_trunc_f32_e32 v18, v11
	v_cmp_neq_f32_e64 s14, v11, |v11|
	v_trunc_f32_e32 v20, v3
	s_wait_alu 0xfffd
	v_cndmask_b32_e32 v10, 1.0, v10, vcc_lo
	v_cmp_neq_f32_e32 vcc_lo, 0, v11
	v_cmp_gt_f32_e64 s6, 0, v11
	v_cmp_eq_f32_e64 s3, v18, v11
	v_trunc_f32_e32 v18, v19
	v_frexp_mant_f32_e64 v22, |v10|
	s_wait_alu 0xfffd
	v_cndmask_b32_e32 v13, 1.0, v12, vcc_lo
	v_cmp_neq_f32_e32 vcc_lo, 1.0, v15
	v_cmp_lt_f32_e64 s12, |v10|, 1.0
	v_mul_f32_e32 v21, 0.5, v3
	v_cmp_gt_f32_e64 s9, 0x3f2aaaab, v22
	v_cmp_lt_f32_e64 s15, |v13|, 1.0
	s_wait_alu 0xfffd
	v_cndmask_b32_e64 v12, 1.0, s24, vcc_lo
	v_cmp_neq_f32_e32 vcc_lo, 0, v3
	v_cmp_eq_f32_e64 s0, 0, v13
	v_trunc_f32_e32 v16, v17
	v_frexp_mant_f32_e64 v23, |v13|
	v_cmp_neq_f32_e64 s2, 0, v12
	s_wait_alu 0xfffd
	v_cndmask_b32_e32 v14, 1.0, v14, vcc_lo
	v_cmp_eq_f32_e32 vcc_lo, 0, v10
	v_cvt_f64_f32_e64 v[28:29], |v10|
	v_cvt_f64_f32_e64 v[30:31], |v13|
	s_wait_alu 0xf1ff
	v_cndmask_b32_e64 v15, 1.0, v15, s2
	v_frexp_mant_f32_e64 v26, |v14|
	s_xor_b32 s5, s5, vcc_lo
	v_cmp_neq_f32_e64 s17, v3, |v3|
	s_wait_alu 0xfffe
	v_cndmask_b32_e64 v36, 0x7f800000, 0, s5
	s_xor_b32 s5, s14, s15
	v_trunc_f32_e32 v24, v12
	v_cmp_eq_f32_e64 s4, v20, v3
	v_trunc_f32_e32 v20, v21
	v_cmp_lt_f32_e64 s35, |v14|, 1.0
	v_cndmask_b32_e64 v27, 1.0, 2.0, s9
	v_mul_f32_e32 v25, 0.5, v12
	s_xor_b32 s11, s11, s12
	v_cmp_neq_f32_e64 s13, v18, v19
	s_wait_alu 0xfffe
	v_cndmask_b32_e64 v18, 0x7f800000, 0, s5
	s_xor_b32 s5, s6, s0
	v_cmp_neq_f32_e64 s10, v16, v17
	v_cndmask_b32_e64 v16, 0x7f800000, 0, s11
	v_cmp_neq_f32_e64 s11, |v10|, 1.0
	v_cmp_gt_f32_e64 s12, 0x3f2aaaab, v23
	v_frexp_mant_f32_e64 v19, |v15|
	v_cmp_gt_f32_e64 s15, 0x3f2aaaab, v26
	v_cmp_gt_f32_e64 s7, 0, v3
	;; [unrolled: 1-line block ×3, first 2 shown]
	v_cmp_eq_f32_e64 s2, 0, v14
	s_wait_alu 0xfffe
	v_cndmask_b32_e64 v37, 0x7f800000, 0, s5
	v_cmp_eq_f32_e64 s5, 0, v15
	v_cvt_f64_f32_e64 v[32:33], |v14|
	v_cmp_eq_f32_e64 s6, v24, v12
	v_cmp_neq_f32_e64 s16, v20, v21
	s_xor_b32 s17, s17, s35
	v_mul_f32_e32 v40, v22, v27
	v_trunc_f32_e32 v24, v25
	v_cndmask_b32_e64 v17, 1.0, 2.0, s12
	v_cmp_neq_f32_e64 s14, |v13|, 1.0
	v_cndmask_b32_e64 v38, 1.0, 2.0, s15
	s_wait_alu 0xfffe
	v_cndmask_b32_e64 v21, 0x7f800000, 0, s17
	v_cmp_neq_f32_e64 s17, |v14|, 1.0
	v_cndmask_b32_e64 v16, 1.0, v16, s11
	v_cmp_gt_f32_e64 s11, 0x3f2aaaab, v19
	s_xor_b32 s7, s7, s2
	s_xor_b32 s8, s8, s5
	v_cmp_neq_f32_e64 s34, v12, |v12|
	v_cmp_lt_f32_e64 s36, |v15|, 1.0
	s_wait_alu 0xfffe
	v_cndmask_b32_e64 v39, 0x7f800000, 0, s7
	s_and_b32 s7, s1, s10
	s_and_b32 s10, s3, s13
	v_cmp_neq_f32_e64 s13, v24, v25
	v_cndmask_b32_e64 v25, 0x7f800000, 0, s8
	s_and_b32 s8, s4, s16
	v_dual_mul_f32 v41, v23, v17 :: v_dual_mul_f32 v38, v26, v38
	v_cndmask_b32_e64 v17, 1.0, v18, s14
	v_cndmask_b32_e64 v23, 1.0, 2.0, s11
	v_cndmask_b32_e64 v18, 1.0, v21, s17
	s_wait_alu 0xfffe
	v_cndmask_b32_e64 v21, 0, v10, s7
	v_cndmask_b32_e64 v43, 0, v14, s8
	v_dual_add_f32 v45, 1.0, v40 :: v_dual_add_f32 v46, -1.0, v41
	s_xor_b32 s14, s34, s36
	v_cndmask_b32_e64 v42, 0, v13, s10
	s_wait_alu 0xfffe
	v_cndmask_b32_e64 v24, 0x7f800000, 0, s14
	v_cmp_neq_f32_e64 s14, |v15|, 1.0
	v_dual_add_f32 v44, -1.0, v40 :: v_dual_add_f32 v47, 1.0, v41
	v_dual_mul_f32 v48, v19, v23 :: v_dual_add_f32 v49, -1.0, v38
	v_add_f32_e32 v50, 1.0, v38
	v_bfi_b32 v23, 0x7fffffff, v36, v21
	v_bfi_b32 v21, 0x7fffffff, v39, v43
	v_rcp_f32_e32 v39, v45
	v_cvt_f64_f32_e64 v[34:35], |v15|
	v_cndmask_b32_e64 v20, 1.0, v10, s7
	s_and_b32 s7, s6, s13
	v_cndmask_b32_e64 v19, 1.0, v24, s14
	v_bfi_b32 v24, 0x7fffffff, v37, v42
	s_wait_alu 0xfffe
	v_cndmask_b32_e64 v36, 0, v15, s7
	v_dual_add_f32 v37, -1.0, v45 :: v_dual_add_f32 v42, -1.0, v47
	v_add_f32_e32 v51, -1.0, v48
	v_rcp_f32_e32 v43, v47
	v_dual_add_f32 v52, 1.0, v48 :: v_dual_add_f32 v53, -1.0, v50
	v_rcp_f32_e32 v54, v50
	v_bfi_b32 v25, 0x7fffffff, v25, v36
	v_dual_sub_f32 v36, v40, v37 :: v_dual_sub_f32 v37, v41, v42
	s_delay_alu instid0(VALU_DEP_3) | instskip(SKIP_4) | instid1(TRANS32_DEP_2)
	v_dual_add_f32 v41, -1.0, v52 :: v_dual_sub_f32 v38, v38, v53
	v_mul_f32_e32 v42, v44, v39
	v_rcp_f32_e32 v40, v52
	v_frexp_exp_i32_f64_e32 v28, v[28:29]
	v_frexp_exp_i32_f64_e32 v29, v[30:31]
	v_mul_f32_e32 v55, v49, v54
	v_mul_f32_e32 v53, v46, v43
	v_dual_sub_f32 v41, v48, v41 :: v_dual_mul_f32 v48, v45, v42
	v_frexp_exp_i32_f64_e32 v30, v[32:33]
	s_delay_alu instid0(VALU_DEP_4)
	v_mul_f32_e32 v58, v50, v55
	v_cmp_class_f32_e64 s29, v10, 0x204
	v_cndmask_b32_e64 v26, 1.0, v14, s8
	v_fma_f32 v31, v42, v45, -v48
	v_mul_f32_e32 v56, v47, v53
	v_fma_f32 v45, v55, v50, -v58
	s_or_b32 vcc_lo, vcc_lo, s29
	v_cndmask_b32_e64 v27, 1.0, v15, s7
	v_fmac_f32_e32 v31, v42, v36
	v_fma_f32 v32, v53, v47, -v56
	v_mul_f32_e32 v57, v51, v40
	v_fmac_f32_e32 v45, v55, v38
	v_frexp_exp_i32_f64_e32 v34, v[34:35]
	v_add_f32_e32 v36, v48, v31
	v_fmac_f32_e32 v32, v53, v37
	v_cndmask_b32_e64 v22, 1.0, v13, s10
	v_add_f32_e32 v38, v58, v45
	v_cmp_class_f32_e64 s30, v13, 0x204
	v_cmp_class_f32_e64 s31, v14, 0x204
	v_add_f32_e32 v37, v56, v32
	v_mul_f32_e32 v33, v52, v57
	v_cmp_class_f32_e64 s33, v15, 0x204
	s_or_b32 s0, s0, s30
	s_or_b32 s2, s2, s31
	v_sub_f32_e32 v50, v46, v37
	v_fma_f32 v35, v57, v52, -v33
	s_delay_alu instid0(VALU_DEP_1) | instskip(SKIP_3) | instid1(VALU_DEP_4)
	v_fmac_f32_e32 v35, v57, v41
	v_sub_f32_e32 v41, v36, v48
	v_sub_f32_e32 v48, v37, v56
	v_dual_sub_f32 v56, v38, v58 :: v_dual_sub_f32 v47, v44, v36
	v_add_f32_e32 v52, v33, v35
	v_sub_f32_e32 v58, v49, v38
	s_delay_alu instid0(VALU_DEP_4) | instskip(NEXT) | instid1(VALU_DEP_4)
	v_dual_sub_f32 v31, v41, v31 :: v_dual_sub_f32 v32, v48, v32
	v_dual_sub_f32 v44, v44, v47 :: v_dual_sub_f32 v41, v46, v50
	s_delay_alu instid0(VALU_DEP_4) | instskip(SKIP_1) | instid1(VALU_DEP_3)
	v_dual_sub_f32 v33, v52, v33 :: v_dual_sub_f32 v46, v51, v52
	v_sub_f32_e32 v45, v56, v45
	v_dual_sub_f32 v36, v44, v36 :: v_dual_sub_f32 v37, v41, v37
	v_sub_f32_e32 v48, v49, v58
	s_delay_alu instid0(VALU_DEP_4) | instskip(SKIP_1) | instid1(VALU_DEP_4)
	v_sub_f32_e32 v41, v51, v46
	v_sub_f32_e32 v33, v33, v35
	v_dual_add_f32 v31, v31, v36 :: v_dual_add_f32 v32, v32, v37
	s_delay_alu instid0(VALU_DEP_4) | instskip(SKIP_1) | instid1(VALU_DEP_3)
	v_sub_f32_e32 v38, v48, v38
	v_subrev_co_ci_u32_e64 v29, null, 0, v29, s12
	v_add_f32_e32 v31, v47, v31
	v_subrev_co_ci_u32_e64 v28, null, 0, v28, s9
	s_delay_alu instid0(VALU_DEP_4) | instskip(NEXT) | instid1(VALU_DEP_4)
	v_add_f32_e32 v36, v45, v38
	v_cvt_f32_i32_e32 v29, v29
	s_delay_alu instid0(VALU_DEP_4) | instskip(SKIP_4) | instid1(VALU_DEP_4)
	v_mul_f32_e32 v31, v39, v31
	v_sub_f32_e32 v35, v41, v52
	v_add_f32_e32 v32, v50, v32
	v_cvt_f32_i32_e32 v28, v28
	v_subrev_co_ci_u32_e64 v30, null, 0, v30, s15
	v_add_f32_e32 v33, v33, v35
	v_add_f32_e32 v35, v58, v36
	v_mul_f32_e32 v32, v43, v32
	v_subrev_co_ci_u32_e64 v34, null, 0, v34, s11
	s_delay_alu instid0(VALU_DEP_4) | instskip(SKIP_1) | instid1(VALU_DEP_4)
	v_add_f32_e32 v33, v46, v33
	v_cvt_f32_i32_e32 v30, v30
	v_dual_add_f32 v37, v53, v32 :: v_dual_add_f32 v36, v42, v31
	s_delay_alu instid0(VALU_DEP_4) | instskip(NEXT) | instid1(VALU_DEP_4)
	v_cvt_f32_i32_e32 v34, v34
	v_mul_f32_e32 v33, v40, v33
	v_dual_mul_f32 v40, 0x3f317218, v29 :: v_dual_mul_f32 v35, v54, v35
	s_delay_alu instid0(VALU_DEP_4) | instskip(SKIP_2) | instid1(VALU_DEP_4)
	v_mul_f32_e32 v46, v37, v37
	v_sub_f32_e32 v42, v36, v42
	v_dual_mul_f32 v43, v36, v36 :: v_dual_mul_f32 v54, 0x3f317218, v34
	v_add_f32_e32 v38, v55, v35
	v_ldexp_f32 v44, v36, 1
	v_ldexp_f32 v47, v37, 1
	s_delay_alu instid0(VALU_DEP_3) | instskip(SKIP_2) | instid1(VALU_DEP_3)
	v_dual_mul_f32 v50, v38, v38 :: v_dual_mul_f32 v39, 0x3f317218, v28
	v_dual_add_f32 v48, v57, v33 :: v_dual_sub_f32 v49, v38, v55
	v_ldexp_f32 v51, v38, 1
	v_fma_f32 v52, 0x3f317218, v28, -v39
	v_sub_f32_e32 v45, v37, v53
	v_fma_f32 v53, 0x3f317218, v29, -v40
	v_sub_f32_e32 v56, v48, v57
	v_ldexp_f32 v58, v48, 1
	v_fmac_f32_e32 v52, 0xb102e308, v28
	v_dual_mul_f32 v41, 0x3f317218, v30 :: v_dual_sub_f32 v32, v32, v45
	v_fma_f32 v45, v37, v37, -v46
	v_fmac_f32_e32 v53, 0xb102e308, v29
	v_sub_f32_e32 v31, v31, v42
	s_delay_alu instid0(VALU_DEP_4)
	v_fma_f32 v55, 0x3f317218, v30, -v41
	v_add_f32_e32 v59, v32, v32
	v_fma_f32 v42, v36, v36, -v43
	v_add_f32_e32 v64, v40, v53
	v_fma_f32 v28, 0x3f317218, v34, -v54
	v_mul_f32_e32 v57, v48, v48
	v_fmac_f32_e32 v45, v37, v59
	s_delay_alu instid0(VALU_DEP_4) | instskip(NEXT) | instid1(VALU_DEP_4)
	v_dual_add_f32 v29, v31, v31 :: v_dual_sub_f32 v40, v64, v40
	v_dual_fmac_f32 v28, 0xb102e308, v34 :: v_dual_sub_f32 v33, v33, v56
	s_delay_alu instid0(VALU_DEP_3) | instskip(NEXT) | instid1(VALU_DEP_3)
	v_dual_add_f32 v66, v46, v45 :: v_dual_fmac_f32 v55, 0xb102e308, v30
	v_fmac_f32_e32 v42, v36, v29
	v_sub_f32_e32 v35, v35, v49
	v_fma_f32 v49, v38, v38, -v50
	v_sub_f32_e32 v40, v53, v40
	s_delay_alu instid0(VALU_DEP_4) | instskip(NEXT) | instid1(VALU_DEP_4)
	v_dual_add_f32 v34, v41, v55 :: v_dual_add_f32 v65, v43, v42
	v_add_f32_e32 v61, v35, v35
	v_dual_add_f32 v63, v39, v52 :: v_dual_sub_f32 v46, v66, v46
	v_mul_f32_e32 v67, v37, v66
	s_delay_alu instid0(VALU_DEP_4) | instskip(NEXT) | instid1(VALU_DEP_4)
	v_fmaak_f32 v53, s28, v65, 0x3e91f4c4
	v_fmac_f32_e32 v49, v38, v61
	s_delay_alu instid0(VALU_DEP_4) | instskip(SKIP_4) | instid1(VALU_DEP_4)
	v_sub_f32_e32 v39, v63, v39
	v_add_f32_e32 v61, v54, v28
	v_fma_f32 v56, v48, v48, -v57
	v_sub_f32_e32 v45, v45, v46
	v_fma_f32 v46, v66, v37, -v67
	v_dual_sub_f32 v39, v52, v39 :: v_dual_sub_f32 v52, v61, v54
	v_add_f32_e32 v29, v33, v33
	v_ldexp_f32 v30, v31, 1
	s_delay_alu instid0(VALU_DEP_4)
	v_fmac_f32_e32 v46, v66, v32
	v_ldexp_f32 v60, v32, 1
	v_sub_f32_e32 v28, v28, v52
	v_fmac_f32_e32 v56, v48, v29
	v_ldexp_f32 v62, v35, 1
	v_ldexp_f32 v59, v33, 1
	s_delay_alu instid0(VALU_DEP_3) | instskip(NEXT) | instid1(VALU_DEP_1)
	v_dual_add_f32 v68, v57, v56 :: v_dual_add_f32 v29, v50, v49
	v_dual_sub_f32 v57, v68, v57 :: v_dual_sub_f32 v50, v29, v50
	v_dual_mul_f32 v70, v38, v29 :: v_dual_sub_f32 v43, v65, v43
	v_mul_f32_e32 v54, v36, v65
	s_delay_alu instid0(VALU_DEP_3) | instskip(NEXT) | instid1(VALU_DEP_3)
	v_dual_sub_f32 v56, v56, v57 :: v_dual_sub_f32 v49, v49, v50
	v_fma_f32 v50, v29, v38, -v70
	v_sub_f32_e32 v41, v34, v41
	v_sub_f32_e32 v42, v42, v43
	v_fma_f32 v43, v65, v36, -v54
	s_delay_alu instid0(VALU_DEP_3) | instskip(SKIP_1) | instid1(VALU_DEP_3)
	v_dual_fmac_f32 v50, v29, v35 :: v_dual_sub_f32 v41, v55, v41
	v_fmaak_f32 v55, s28, v66, 0x3e91f4c4
	v_fmac_f32_e32 v43, v65, v31
	s_delay_alu instid0(VALU_DEP_1) | instskip(NEXT) | instid1(VALU_DEP_1)
	v_dual_fmac_f32 v50, v49, v38 :: v_dual_fmac_f32 v43, v42, v36
	v_add_f32_e32 v38, v54, v43
	v_fmaak_f32 v52, v65, v53, 0x3ecccdef
	s_delay_alu instid0(VALU_DEP_1) | instskip(NEXT) | instid1(VALU_DEP_1)
	v_mul_f32_e32 v31, v65, v52
	v_fma_f32 v36, v65, v52, -v31
	s_delay_alu instid0(VALU_DEP_1) | instskip(NEXT) | instid1(VALU_DEP_1)
	v_fmac_f32_e32 v36, v42, v52
	v_dual_add_f32 v52, v31, v36 :: v_dual_fmaak_f32 v53, v66, v55, 0x3ecccdef
	v_fmac_f32_e32 v46, v45, v37
	v_fmaak_f32 v69, s28, v29, 0x3e91f4c4
	s_delay_alu instid0(VALU_DEP_3) | instskip(NEXT) | instid1(VALU_DEP_2)
	v_dual_fmaak_f32 v55, s28, v68, 0x3e91f4c4 :: v_dual_mul_f32 v32, v66, v53
	v_dual_add_f32 v42, v67, v46 :: v_dual_fmaak_f32 v69, v29, v69, 0x3ecccdef
	s_delay_alu instid0(VALU_DEP_2) | instskip(NEXT) | instid1(VALU_DEP_2)
	v_fma_f32 v37, v66, v53, -v32
	v_mul_f32_e32 v35, v29, v69
	s_delay_alu instid0(VALU_DEP_2) | instskip(NEXT) | instid1(VALU_DEP_4)
	v_fmac_f32_e32 v37, v45, v53
	v_sub_f32_e32 v53, v42, v67
	s_delay_alu instid0(VALU_DEP_3) | instskip(NEXT) | instid1(VALU_DEP_2)
	v_fma_f32 v29, v29, v69, -v35
	v_sub_f32_e32 v46, v46, v53
	s_delay_alu instid0(VALU_DEP_2) | instskip(SKIP_2) | instid1(VALU_DEP_2)
	v_fmac_f32_e32 v29, v49, v69
	v_mul_f32_e32 v71, v48, v68
	v_dual_sub_f32 v49, v38, v54 :: v_dual_add_f32 v54, v32, v37
	v_fma_f32 v57, v68, v48, -v71
	s_delay_alu instid0(VALU_DEP_2) | instskip(NEXT) | instid1(VALU_DEP_1)
	v_dual_add_f32 v53, 0x3f2aaaaa, v54 :: v_dual_sub_f32 v32, v54, v32
	v_dual_fmac_f32 v57, v68, v33 :: v_dual_sub_f32 v32, v37, v32
	s_delay_alu instid0(VALU_DEP_2) | instskip(NEXT) | instid1(VALU_DEP_2)
	v_add_f32_e32 v37, 0xbf2aaaaa, v53
	v_dual_fmac_f32 v57, v56, v48 :: v_dual_add_f32 v48, v70, v50
	v_fmaak_f32 v55, v68, v55, 0x3ecccdef
	s_delay_alu instid0(VALU_DEP_3) | instskip(NEXT) | instid1(VALU_DEP_2)
	v_dual_add_f32 v32, 0x31739010, v32 :: v_dual_sub_f32 v37, v54, v37
	v_mul_f32_e32 v33, v68, v55
	s_delay_alu instid0(VALU_DEP_2) | instskip(NEXT) | instid1(VALU_DEP_2)
	v_add_f32_e32 v32, v32, v37
	v_fma_f32 v45, v68, v55, -v33
	s_delay_alu instid0(VALU_DEP_2) | instskip(NEXT) | instid1(VALU_DEP_2)
	v_add_f32_e32 v37, v53, v32
	v_dual_fmac_f32 v45, v56, v55 :: v_dual_add_f32 v56, v35, v29
	v_add_f32_e32 v65, v71, v57
	s_delay_alu instid0(VALU_DEP_1) | instskip(SKIP_1) | instid1(VALU_DEP_2)
	v_dual_sub_f32 v66, v65, v71 :: v_dual_sub_f32 v43, v43, v49
	v_add_f32_e32 v49, 0x3f2aaaaa, v52
	v_sub_f32_e32 v57, v57, v66
	v_sub_f32_e32 v31, v52, v31
	s_delay_alu instid0(VALU_DEP_1) | instskip(NEXT) | instid1(VALU_DEP_1)
	v_dual_sub_f32 v31, v36, v31 :: v_dual_add_f32 v36, 0xbf2aaaaa, v49
	v_dual_add_f32 v31, 0x31739010, v31 :: v_dual_sub_f32 v36, v52, v36
	v_sub_f32_e32 v52, v53, v37
	v_add_f32_e32 v67, v33, v45
	v_mul_f32_e32 v53, v42, v37
	s_delay_alu instid0(VALU_DEP_4) | instskip(NEXT) | instid1(VALU_DEP_4)
	v_add_f32_e32 v31, v31, v36
	v_add_f32_e32 v32, v32, v52
	s_delay_alu instid0(VALU_DEP_4) | instskip(NEXT) | instid1(VALU_DEP_4)
	v_dual_add_f32 v66, 0x3f2aaaaa, v67 :: v_dual_sub_f32 v33, v67, v33
	v_fma_f32 v52, v42, v37, -v53
	s_delay_alu instid0(VALU_DEP_2) | instskip(NEXT) | instid1(VALU_DEP_2)
	v_sub_f32_e32 v33, v45, v33
	v_dual_add_f32 v45, 0xbf2aaaaa, v66 :: v_dual_fmac_f32 v52, v42, v32
	s_delay_alu instid0(VALU_DEP_2) | instskip(NEXT) | instid1(VALU_DEP_2)
	v_add_f32_e32 v33, 0x31739010, v33
	v_sub_f32_e32 v36, v67, v45
	s_delay_alu instid0(VALU_DEP_1) | instskip(NEXT) | instid1(VALU_DEP_1)
	v_dual_fmac_f32 v52, v46, v37 :: v_dual_add_f32 v33, v33, v36
	v_dual_sub_f32 v55, v48, v70 :: v_dual_add_f32 v54, v66, v33
	s_delay_alu instid0(VALU_DEP_1) | instskip(NEXT) | instid1(VALU_DEP_2)
	v_dual_sub_f32 v50, v50, v55 :: v_dual_add_f32 v55, 0x3f2aaaaa, v56
	v_sub_f32_e32 v66, v66, v54
	v_mul_f32_e32 v67, v65, v54
	v_sub_f32_e32 v35, v56, v35
	s_delay_alu instid0(VALU_DEP_2) | instskip(NEXT) | instid1(VALU_DEP_2)
	v_fma_f32 v32, v65, v54, -v67
	v_sub_f32_e32 v29, v29, v35
	v_add_f32_e32 v35, 0xbf2aaaaa, v55
	s_delay_alu instid0(VALU_DEP_2) | instskip(NEXT) | instid1(VALU_DEP_2)
	v_add_f32_e32 v29, 0x31739010, v29
	v_sub_f32_e32 v35, v56, v35
	s_delay_alu instid0(VALU_DEP_1) | instskip(NEXT) | instid1(VALU_DEP_1)
	v_add_f32_e32 v29, v29, v35
	v_dual_add_f32 v35, v49, v31 :: v_dual_add_f32 v36, v55, v29
	s_delay_alu instid0(VALU_DEP_1) | instskip(SKIP_1) | instid1(VALU_DEP_3)
	v_sub_f32_e32 v45, v49, v35
	v_mul_f32_e32 v49, v38, v35
	v_sub_f32_e32 v55, v55, v36
	s_delay_alu instid0(VALU_DEP_3) | instskip(NEXT) | instid1(VALU_DEP_3)
	v_add_f32_e32 v31, v31, v45
	v_fma_f32 v45, v38, v35, -v49
	s_delay_alu instid0(VALU_DEP_3) | instskip(NEXT) | instid1(VALU_DEP_2)
	v_dual_mul_f32 v56, v48, v36 :: v_dual_add_f32 v29, v29, v55
	v_fmac_f32_e32 v45, v38, v31
	s_delay_alu instid0(VALU_DEP_2) | instskip(SKIP_1) | instid1(VALU_DEP_3)
	v_fma_f32 v55, v48, v36, -v56
	v_add_f32_e32 v31, v33, v66
	v_fmac_f32_e32 v45, v43, v35
	s_delay_alu instid0(VALU_DEP_2) | instskip(SKIP_1) | instid1(VALU_DEP_3)
	v_dual_fmac_f32 v55, v48, v29 :: v_dual_fmac_f32 v32, v65, v31
	v_add_f32_e32 v31, v53, v52
	v_add_f32_e32 v29, v49, v45
	s_delay_alu instid0(VALU_DEP_3) | instskip(NEXT) | instid1(VALU_DEP_3)
	v_fmac_f32_e32 v55, v50, v36
	v_sub_f32_e32 v37, v31, v53
	s_delay_alu instid0(VALU_DEP_3) | instskip(SKIP_1) | instid1(VALU_DEP_4)
	v_dual_add_f32 v38, v47, v31 :: v_dual_sub_f32 v35, v29, v49
	v_add_f32_e32 v36, v44, v29
	v_add_f32_e32 v33, v56, v55
	s_delay_alu instid0(VALU_DEP_4) | instskip(NEXT) | instid1(VALU_DEP_3)
	v_sub_f32_e32 v37, v52, v37
	v_dual_sub_f32 v35, v45, v35 :: v_dual_sub_f32 v44, v36, v44
	s_delay_alu instid0(VALU_DEP_3) | instskip(NEXT) | instid1(VALU_DEP_2)
	v_dual_sub_f32 v45, v38, v47 :: v_dual_add_f32 v46, v51, v33
	v_add_f32_e32 v30, v30, v35
	v_fmac_f32_e32 v32, v57, v54
	s_delay_alu instid0(VALU_DEP_4) | instskip(NEXT) | instid1(VALU_DEP_4)
	v_sub_f32_e32 v29, v29, v44
	v_sub_f32_e32 v31, v31, v45
	s_delay_alu instid0(VALU_DEP_3) | instskip(NEXT) | instid1(VALU_DEP_1)
	v_dual_add_f32 v35, v60, v37 :: v_dual_add_f32 v42, v67, v32
	v_dual_add_f32 v29, v30, v29 :: v_dual_add_f32 v30, v35, v31
	s_delay_alu instid0(VALU_DEP_2) | instskip(NEXT) | instid1(VALU_DEP_2)
	v_sub_f32_e32 v47, v42, v67
	v_dual_add_f32 v48, v58, v42 :: v_dual_add_f32 v35, v36, v29
	s_delay_alu instid0(VALU_DEP_2) | instskip(NEXT) | instid1(VALU_DEP_2)
	v_sub_f32_e32 v32, v32, v47
	v_dual_sub_f32 v37, v48, v58 :: v_dual_sub_f32 v36, v35, v36
	s_delay_alu instid0(VALU_DEP_1)
	v_dual_add_f32 v32, v59, v32 :: v_dual_sub_f32 v31, v42, v37
	v_add_f32_e32 v42, v63, v35
	v_sub_f32_e32 v49, v46, v51
	v_add_f32_e32 v37, v38, v30
	v_sub_f32_e32 v29, v29, v36
	;; [unrolled: 2-line block ×3, first 2 shown]
	s_delay_alu instid0(VALU_DEP_4) | instskip(NEXT) | instid1(VALU_DEP_2)
	v_sub_f32_e32 v38, v37, v38
	v_dual_add_f32 v44, v48, v31 :: v_dual_sub_f32 v35, v35, v36
	s_delay_alu instid0(VALU_DEP_1) | instskip(NEXT) | instid1(VALU_DEP_1)
	v_dual_sub_f32 v30, v30, v38 :: v_dual_sub_f32 v47, v44, v48
	v_dual_add_f32 v48, v61, v44 :: v_dual_sub_f32 v31, v31, v47
	s_delay_alu instid0(VALU_DEP_1) | instskip(NEXT) | instid1(VALU_DEP_1)
	v_sub_f32_e32 v47, v48, v61
	v_sub_f32_e32 v54, v48, v47
	;; [unrolled: 1-line block ×3, first 2 shown]
	s_delay_alu instid0(VALU_DEP_4) | instskip(SKIP_3) | instid1(VALU_DEP_3)
	v_add_f32_e32 v47, v28, v31
	v_sub_f32_e32 v43, v33, v56
	v_sub_f32_e32 v33, v33, v49
	v_dual_sub_f32 v49, v42, v36 :: v_dual_add_f32 v36, v39, v29
	v_sub_f32_e32 v43, v55, v43
	s_delay_alu instid0(VALU_DEP_2) | instskip(NEXT) | instid1(VALU_DEP_2)
	v_dual_sub_f32 v49, v63, v49 :: v_dual_sub_f32 v52, v36, v39
	v_add_f32_e32 v43, v62, v43
	s_delay_alu instid0(VALU_DEP_2) | instskip(NEXT) | instid1(VALU_DEP_3)
	v_add_f32_e32 v35, v35, v49
	v_sub_f32_e32 v49, v36, v52
	v_sub_f32_e32 v29, v29, v52
	s_delay_alu instid0(VALU_DEP_4) | instskip(NEXT) | instid1(VALU_DEP_4)
	v_dual_add_f32 v33, v43, v33 :: v_dual_sub_f32 v52, v61, v54
	v_add_f32_e32 v35, v36, v35
	s_delay_alu instid0(VALU_DEP_4) | instskip(NEXT) | instid1(VALU_DEP_1)
	v_sub_f32_e32 v39, v39, v49
	v_dual_add_f32 v32, v46, v33 :: v_dual_add_f32 v29, v29, v39
	s_delay_alu instid0(VALU_DEP_3) | instskip(NEXT) | instid1(VALU_DEP_2)
	v_add_f32_e32 v39, v42, v35
	v_dual_sub_f32 v45, v32, v46 :: v_dual_add_f32 v46, v34, v32
	s_delay_alu instid0(VALU_DEP_1) | instskip(NEXT) | instid1(VALU_DEP_2)
	v_sub_f32_e32 v33, v33, v45
	v_sub_f32_e32 v45, v46, v34
	s_delay_alu instid0(VALU_DEP_1) | instskip(SKIP_1) | instid1(VALU_DEP_2)
	v_sub_f32_e32 v51, v46, v45
	v_sub_f32_e32 v32, v32, v45
	v_dual_add_f32 v45, v41, v33 :: v_dual_sub_f32 v34, v34, v51
	s_delay_alu instid0(VALU_DEP_1) | instskip(NEXT) | instid1(VALU_DEP_1)
	v_dual_sub_f32 v51, v45, v41 :: v_dual_add_f32 v32, v32, v34
	v_sub_f32_e32 v34, v45, v51
	v_sub_f32_e32 v33, v33, v51
	s_delay_alu instid0(VALU_DEP_3) | instskip(NEXT) | instid1(VALU_DEP_3)
	v_add_f32_e32 v32, v45, v32
	v_sub_f32_e32 v34, v41, v34
	s_delay_alu instid0(VALU_DEP_1) | instskip(SKIP_1) | instid1(VALU_DEP_1)
	v_dual_add_f32 v33, v33, v34 :: v_dual_add_f32 v34, v46, v32
	v_add_f32_e32 v43, v64, v37
	v_sub_f32_e32 v38, v43, v64
	s_delay_alu instid0(VALU_DEP_1) | instskip(SKIP_2) | instid1(VALU_DEP_1)
	v_sub_f32_e32 v50, v43, v38
	v_sub_f32_e32 v37, v37, v38
	v_add_f32_e32 v38, v40, v30
	v_dual_sub_f32 v50, v64, v50 :: v_dual_sub_f32 v53, v38, v40
	s_delay_alu instid0(VALU_DEP_1) | instskip(SKIP_1) | instid1(VALU_DEP_2)
	v_dual_add_f32 v37, v37, v50 :: v_dual_sub_f32 v50, v38, v53
	v_dual_sub_f32 v30, v30, v53 :: v_dual_sub_f32 v53, v47, v28
	v_dual_add_f32 v37, v38, v37 :: v_dual_add_f32 v38, v44, v52
	s_delay_alu instid0(VALU_DEP_3) | instskip(NEXT) | instid1(VALU_DEP_3)
	v_sub_f32_e32 v36, v40, v50
	v_sub_f32_e32 v40, v47, v53
	;; [unrolled: 1-line block ×3, first 2 shown]
	s_delay_alu instid0(VALU_DEP_4) | instskip(NEXT) | instid1(VALU_DEP_4)
	v_add_f32_e32 v38, v47, v38
	v_add_f32_e32 v30, v30, v36
	s_delay_alu instid0(VALU_DEP_4) | instskip(SKIP_2) | instid1(VALU_DEP_3)
	v_sub_f32_e32 v28, v28, v40
	v_sub_f32_e32 v40, v39, v42
	;; [unrolled: 1-line block ×3, first 2 shown]
	v_dual_add_f32 v28, v31, v28 :: v_dual_add_f32 v31, v48, v38
	s_delay_alu instid0(VALU_DEP_2) | instskip(NEXT) | instid1(VALU_DEP_1)
	v_dual_sub_f32 v35, v35, v40 :: v_dual_sub_f32 v32, v32, v42
	v_dual_sub_f32 v40, v31, v48 :: v_dual_add_f32 v29, v29, v35
	s_delay_alu instid0(VALU_DEP_2) | instskip(NEXT) | instid1(VALU_DEP_2)
	v_add_f32_e32 v32, v33, v32
	v_sub_f32_e32 v35, v38, v40
	s_delay_alu instid0(VALU_DEP_1) | instskip(NEXT) | instid1(VALU_DEP_1)
	v_dual_add_f32 v33, v39, v29 :: v_dual_add_f32 v28, v28, v35
	v_dual_add_f32 v35, v34, v32 :: v_dual_sub_f32 v38, v33, v39
	s_delay_alu instid0(VALU_DEP_1) | instskip(SKIP_1) | instid1(VALU_DEP_3)
	v_dual_mul_f32 v39, v2, v33 :: v_dual_sub_f32 v34, v35, v34
	v_add_f32_e32 v36, v43, v37
	v_dual_mul_f32 v42, v3, v35 :: v_dual_sub_f32 v29, v29, v38
	s_delay_alu instid0(VALU_DEP_3) | instskip(NEXT) | instid1(VALU_DEP_4)
	v_fma_f32 v33, v2, v33, -v39
	v_sub_f32_e32 v32, v32, v34
	s_delay_alu instid0(VALU_DEP_4) | instskip(NEXT) | instid1(VALU_DEP_4)
	v_sub_f32_e32 v41, v36, v43
	v_fma_f32 v34, v3, v35, -v42
	v_cmp_class_f32_e64 s7, v39, 0x204
	v_fmac_f32_e32 v33, v2, v29
	v_cmp_class_f32_e64 s9, v42, 0x204
	v_sub_f32_e32 v37, v37, v41
	v_add_f32_e32 v41, v31, v28
	v_fmac_f32_e32 v34, v3, v32
	s_delay_alu instid0(VALU_DEP_2) | instskip(NEXT) | instid1(VALU_DEP_1)
	v_dual_add_f32 v30, v30, v37 :: v_dual_sub_f32 v31, v41, v31
	v_add_f32_e32 v37, v36, v30
	s_delay_alu instid0(VALU_DEP_2) | instskip(NEXT) | instid1(VALU_DEP_2)
	v_sub_f32_e32 v28, v28, v31
	v_sub_f32_e32 v36, v37, v36
	v_mul_f32_e32 v40, v11, v37
	s_delay_alu instid0(VALU_DEP_2) | instskip(NEXT) | instid1(VALU_DEP_2)
	v_sub_f32_e32 v30, v30, v36
	v_fma_f32 v36, v11, v37, -v40
	v_mul_f32_e32 v37, v12, v41
	v_cmp_class_f32_e64 s8, v40, 0x204
	s_delay_alu instid0(VALU_DEP_3) | instskip(NEXT) | instid1(VALU_DEP_3)
	v_fmac_f32_e32 v36, v11, v30
	v_fma_f32 v29, v12, v41, -v37
	s_delay_alu instid0(VALU_DEP_2) | instskip(NEXT) | instid1(VALU_DEP_2)
	v_dual_add_f32 v30, v39, v33 :: v_dual_add_f32 v31, v40, v36
	v_dual_fmac_f32 v29, v12, v28 :: v_dual_add_f32 v28, v42, v34
	s_delay_alu instid0(VALU_DEP_2)
	v_sub_f32_e32 v32, v30, v39
	s_wait_alu 0xf1ff
	v_cndmask_b32_e64 v30, v30, v39, s7
	v_sub_f32_e32 v35, v31, v40
	v_cndmask_b32_e64 v31, v31, v40, s8
	v_sub_f32_e32 v39, v28, v42
	v_cndmask_b32_e64 v28, v28, v42, s9
	v_add_f32_e32 v38, v37, v29
	v_cmp_class_f32_e64 s7, v37, 0x204
	v_cmp_eq_f32_e64 s9, 0x42b17218, v31
	v_dual_sub_f32 v35, v36, v35 :: v_dual_sub_f32 v32, v33, v32
	v_cmp_eq_f32_e64 s8, 0x42b17218, v30
	v_sub_f32_e32 v40, v38, v37
	s_wait_alu 0xf1ff
	v_cndmask_b32_e64 v36, 0, 0x37000000, s9
	v_cmp_eq_f32_e64 s9, 0x42b17218, v28
	v_cndmask_b32_e64 v37, v38, v37, s7
	v_cndmask_b32_e64 v33, 0, 0x37000000, s8
	v_cmp_neq_f32_e64 s8, 0x7f800000, |v31|
	v_sub_f32_e32 v34, v34, v39
	s_wait_alu 0xf1ff
	v_cndmask_b32_e64 v38, 0, 0x37000000, s9
	v_cmp_neq_f32_e64 s9, 0x7f800000, |v30|
	v_cmp_neq_f32_e64 s7, 0x7f800000, |v28|
	v_sub_f32_e32 v30, v30, v33
	v_cndmask_b32_e64 v35, 0, v35, s8
	v_sub_f32_e32 v31, v31, v36
	s_wait_alu 0xf1ff
	v_cndmask_b32_e64 v32, 0, v32, s9
	v_cmp_eq_f32_e64 s9, 0x42b17218, v37
	v_sub_f32_e32 v29, v29, v40
	v_cmp_neq_f32_e64 s8, 0x7f800000, |v37|
	v_cndmask_b32_e64 v34, 0, v34, s7
	v_sub_f32_e32 v28, v28, v38
	s_wait_alu 0xf1ff
	v_cndmask_b32_e64 v39, 0, 0x37000000, s9
	v_dual_add_f32 v32, v33, v32 :: v_dual_mul_f32 v33, 0x3fb8aa3b, v30
	v_add_f32_e32 v35, v36, v35
	v_mul_f32_e32 v36, 0x3fb8aa3b, v31
	v_cndmask_b32_e64 v29, 0, v29, s8
	v_dual_sub_f32 v37, v37, v39 :: v_dual_add_f32 v34, v38, v34
	v_mul_f32_e32 v38, 0x3fb8aa3b, v28
	v_fma_f32 v40, 0x3fb8aa3b, v30, -v33
	v_rndne_f32_e32 v41, v33
	v_fma_f32 v42, 0x3fb8aa3b, v31, -v36
	v_rndne_f32_e32 v43, v36
	v_add_f32_e32 v29, v39, v29
	v_mul_f32_e32 v39, 0x3fb8aa3b, v37
	v_fma_f32 v44, 0x3fb8aa3b, v28, -v38
	v_rndne_f32_e32 v45, v38
	v_dual_fmac_f32 v40, 0x32a5705f, v30 :: v_dual_sub_f32 v33, v33, v41
	v_fmac_f32_e32 v42, 0x32a5705f, v31
	v_sub_f32_e32 v36, v36, v43
	v_fma_f32 v46, 0x3fb8aa3b, v37, -v39
	v_rndne_f32_e32 v47, v39
	v_fmac_f32_e32 v44, 0x32a5705f, v28
	v_dual_sub_f32 v38, v38, v45 :: v_dual_add_f32 v33, v33, v40
	v_add_f32_e32 v36, v36, v42
	s_delay_alu instid0(VALU_DEP_4) | instskip(NEXT) | instid1(VALU_DEP_3)
	v_dual_fmac_f32 v46, 0x32a5705f, v37 :: v_dual_sub_f32 v39, v39, v47
	v_add_f32_e32 v38, v38, v44
	s_delay_alu instid0(VALU_DEP_4) | instskip(NEXT) | instid1(VALU_DEP_3)
	v_exp_f32_e32 v33, v33
	v_exp_f32_e32 v36, v36
	v_cvt_i32_f32_e32 v41, v41
	v_add_f32_e32 v39, v39, v46
	v_exp_f32_e32 v38, v38
	v_cvt_i32_f32_e32 v43, v43
	v_cvt_i32_f32_e32 v45, v45
	;; [unrolled: 1-line block ×3, first 2 shown]
	v_exp_f32_e32 v39, v39
	v_cmp_ngt_f32_e64 s7, 0xc2ce8ed0, v31
	v_ldexp_f32 v33, v33, v41
	v_ldexp_f32 v36, v36, v43
	v_cmp_ngt_f32_e64 s8, 0xc2ce8ed0, v28
	v_cmp_ngt_f32_e64 s9, 0xc2ce8ed0, v30
	v_ldexp_f32 v38, v38, v45
	v_cmp_nlt_f32_e64 s10, 0x42b17218, v30
	s_wait_alu 0xf1ff
	v_cndmask_b32_e64 v36, 0, v36, s7
	v_cmp_nlt_f32_e64 s7, 0x42b17218, v31
	v_cndmask_b32_e64 v33, 0, v33, s9
	v_ldexp_f32 v31, v39, v40
	v_cmp_ngt_f32_e64 s9, 0xc2ce8ed0, v37
	v_cndmask_b32_e64 v38, 0, v38, s8
	v_cmp_nlt_f32_e64 s8, 0x42b17218, v28
	v_cndmask_b32_e64 v28, 0x7f800000, v33, s10
	s_wait_alu 0xf1ff
	v_cndmask_b32_e64 v30, 0x7f800000, v36, s7
	v_cndmask_b32_e64 v31, 0, v31, s9
	v_cmp_nlt_f32_e64 s7, 0x42b17218, v37
	v_cndmask_b32_e64 v33, 0x7f800000, v38, s8
	v_fma_f32 v32, v28, v32, v28
	v_fma_f32 v35, v30, v35, v30
	v_cmp_class_f32_e64 s8, v30, 0x204
	s_wait_alu 0xf1ff
	v_cndmask_b32_e64 v31, 0x7f800000, v31, s7
	v_fma_f32 v34, v33, v34, v33
	v_cmp_class_f32_e64 s7, v33, 0x204
	v_cmp_class_f32_e64 s9, v28, 0x204
	v_cndmask_b32_e64 v30, v35, v30, s8
	v_fma_f32 v29, v31, v29, v31
	v_cmp_class_f32_e64 s8, v31, 0x204
	s_wait_alu 0xf1ff
	v_cndmask_b32_e64 v28, v32, v28, s9
	v_cndmask_b32_e64 v32, v34, v33, s7
	v_bfi_b32 v22, 0x7fffffff, v30, v22
	s_delay_alu instid0(VALU_DEP_3) | instskip(SKIP_1) | instid1(VALU_DEP_4)
	v_bfi_b32 v20, 0x7fffffff, v28, v20
	v_cndmask_b32_e64 v28, v29, v31, s8
	v_bfi_b32 v26, 0x7fffffff, v32, v26
	s_delay_alu instid0(VALU_DEP_4)
	v_cndmask_b32_e64 v30, 0x7fc00000, v22, s3
	v_cmp_gt_f32_e64 s3, 0, v14
	v_cndmask_b32_e64 v29, 0x7fc00000, v20, s1
	v_cmp_gt_f32_e64 s1, 0, v13
	v_bfi_b32 v27, 0x7fffffff, v28, v27
	v_cndmask_b32_e64 v28, 0x7fc00000, v26, s4
	v_cmp_gt_f32_e64 s4, 0, v10
	s_wait_alu 0xf1ff
	v_cndmask_b32_e64 v22, v22, v30, s1
	v_cmp_class_f32_e64 s1, v11, 0x204
	v_cndmask_b32_e64 v26, v26, v28, s3
	v_cndmask_b32_e64 v20, v20, v29, s4
	;; [unrolled: 1-line block ×3, first 2 shown]
	v_cmp_gt_f32_e64 s4, 0, v15
	v_cmp_class_f32_e64 s3, v3, 0x204
	v_cmp_class_f32_e64 s6, v2, 0x204
	s_wait_alu 0xf1ff
	v_cndmask_b32_e64 v17, v22, v17, s1
	v_cmp_class_f32_e64 s1, v12, 0x204
	v_cndmask_b32_e64 v18, v26, v18, s3
	v_cndmask_b32_e64 v16, v20, v16, s6
	;; [unrolled: 1-line block ×3, first 2 shown]
	s_wait_alu 0xfffe
	v_cndmask_b32_e64 v17, v17, v24, s0
	s_or_b32 s0, s5, s33
	v_cndmask_b32_e32 v16, v16, v23, vcc_lo
	v_cmp_o_f32_e32 vcc_lo, v13, v11
	v_cndmask_b32_e64 v11, v20, v19, s1
	v_cndmask_b32_e64 v13, v18, v21, s2
	v_cmp_o_f32_e64 s1, v14, v3
	v_cmp_o_f32_e64 s2, v10, v2
	s_wait_alu 0xfffd
	v_cndmask_b32_e32 v3, 0x7fc00000, v17, vcc_lo
	s_wait_alu 0xfffe
	v_cndmask_b32_e64 v10, v11, v25, s0
	v_cmp_o_f32_e32 vcc_lo, v15, v12
	s_wait_alu 0xf1ff
	v_cndmask_b32_e64 v11, 0x7fc00000, v13, s1
	v_cndmask_b32_e64 v2, 0x7fc00000, v16, s2
	v_bfe_u32 v13, v3, 16, 1
	v_cmp_o_f32_e64 s0, v3, v3
	s_wait_alu 0xfffd
	v_cndmask_b32_e32 v10, 0x7fc00000, v10, vcc_lo
	v_bfe_u32 v14, v11, 16, 1
	v_bfe_u32 v12, v2, 16, 1
	v_add3_u32 v13, v3, v13, 0x7fff
	v_cmp_o_f32_e32 vcc_lo, v11, v11
	v_bfe_u32 v15, v10, 16, 1
	v_add3_u32 v14, v11, v14, 0x7fff
	v_add3_u32 v12, v2, v12, 0x7fff
	v_and_b32_e32 v13, 0xffff0000, v13
	v_cmp_o_f32_e64 s1, v2, v2
	v_add3_u32 v15, v10, v15, 0x7fff
	v_and_b32_e32 v14, 0xffff0000, v14
	v_lshrrev_b32_e32 v12, 16, v12
	s_wait_alu 0xf1ff
	v_cndmask_b32_e64 v3, 0x7fc00000, v13, s0
	v_cmp_le_i64_e64 s0, s[22:23], v[6:7]
	v_lshrrev_b32_e32 v2, 16, v15
	v_cndmask_b32_e64 v11, 0x7fc0, v12, s1
	s_wait_alu 0xfffd
	v_cndmask_b32_e32 v12, 0x7fc00000, v14, vcc_lo
	v_cmp_o_f32_e32 vcc_lo, v10, v10
	s_or_b32 s25, s0, s25
	v_or_b32_e32 v10, v11, v3
	s_wait_alu 0xfffd
	v_cndmask_b32_e32 v2, 0x7fc0, v2, vcc_lo
	v_add_co_u32 v8, vcc_lo, v8, s27
	s_wait_alu 0xfffd
	v_add_co_ci_u32_e64 v9, null, 0, v9, vcc_lo
	s_delay_alu instid0(VALU_DEP_3)
	v_or3_b32 v3, 0, v2, v12
	v_or3_b32 v2, v10, 0, 0
	global_store_b64 v[4:5], v[2:3], off
	s_wait_alu 0xfffe
	s_and_not1_b32 exec_lo, exec_lo, s25
	s_cbranch_execnz .LBB71_24
.LBB71_25:
	s_endpgm
	.section	.rodata,"a",@progbits
	.p2align	6, 0x0
	.amdhsa_kernel _ZN2at6native12_GLOBAL__N_125multi_tensor_apply_kernelINS1_18TensorListMetadataILi2EEENS1_21BinaryOpScalarFunctorIN3c108BFloat16ELi2ELi1ELi1EEEJNS1_13power_functorIfEEfEEEvT_T0_DpT1_
		.amdhsa_group_segment_fixed_size 0
		.amdhsa_private_segment_fixed_size 0
		.amdhsa_kernarg_size 3408
		.amdhsa_user_sgpr_count 2
		.amdhsa_user_sgpr_dispatch_ptr 0
		.amdhsa_user_sgpr_queue_ptr 0
		.amdhsa_user_sgpr_kernarg_segment_ptr 1
		.amdhsa_user_sgpr_dispatch_id 0
		.amdhsa_user_sgpr_private_segment_size 0
		.amdhsa_wavefront_size32 1
		.amdhsa_uses_dynamic_stack 0
		.amdhsa_enable_private_segment 0
		.amdhsa_system_sgpr_workgroup_id_x 1
		.amdhsa_system_sgpr_workgroup_id_y 0
		.amdhsa_system_sgpr_workgroup_id_z 0
		.amdhsa_system_sgpr_workgroup_info 0
		.amdhsa_system_vgpr_workitem_id 0
		.amdhsa_next_free_vgpr 72
		.amdhsa_next_free_sgpr 37
		.amdhsa_reserve_vcc 1
		.amdhsa_float_round_mode_32 0
		.amdhsa_float_round_mode_16_64 0
		.amdhsa_float_denorm_mode_32 3
		.amdhsa_float_denorm_mode_16_64 3
		.amdhsa_fp16_overflow 0
		.amdhsa_workgroup_processor_mode 1
		.amdhsa_memory_ordered 1
		.amdhsa_forward_progress 1
		.amdhsa_inst_pref_size 91
		.amdhsa_round_robin_scheduling 0
		.amdhsa_exception_fp_ieee_invalid_op 0
		.amdhsa_exception_fp_denorm_src 0
		.amdhsa_exception_fp_ieee_div_zero 0
		.amdhsa_exception_fp_ieee_overflow 0
		.amdhsa_exception_fp_ieee_underflow 0
		.amdhsa_exception_fp_ieee_inexact 0
		.amdhsa_exception_int_div_zero 0
	.end_amdhsa_kernel
	.section	.text._ZN2at6native12_GLOBAL__N_125multi_tensor_apply_kernelINS1_18TensorListMetadataILi2EEENS1_21BinaryOpScalarFunctorIN3c108BFloat16ELi2ELi1ELi1EEEJNS1_13power_functorIfEEfEEEvT_T0_DpT1_,"axG",@progbits,_ZN2at6native12_GLOBAL__N_125multi_tensor_apply_kernelINS1_18TensorListMetadataILi2EEENS1_21BinaryOpScalarFunctorIN3c108BFloat16ELi2ELi1ELi1EEEJNS1_13power_functorIfEEfEEEvT_T0_DpT1_,comdat
.Lfunc_end71:
	.size	_ZN2at6native12_GLOBAL__N_125multi_tensor_apply_kernelINS1_18TensorListMetadataILi2EEENS1_21BinaryOpScalarFunctorIN3c108BFloat16ELi2ELi1ELi1EEEJNS1_13power_functorIfEEfEEEvT_T0_DpT1_, .Lfunc_end71-_ZN2at6native12_GLOBAL__N_125multi_tensor_apply_kernelINS1_18TensorListMetadataILi2EEENS1_21BinaryOpScalarFunctorIN3c108BFloat16ELi2ELi1ELi1EEEJNS1_13power_functorIfEEfEEEvT_T0_DpT1_
                                        ; -- End function
	.set _ZN2at6native12_GLOBAL__N_125multi_tensor_apply_kernelINS1_18TensorListMetadataILi2EEENS1_21BinaryOpScalarFunctorIN3c108BFloat16ELi2ELi1ELi1EEEJNS1_13power_functorIfEEfEEEvT_T0_DpT1_.num_vgpr, 72
	.set _ZN2at6native12_GLOBAL__N_125multi_tensor_apply_kernelINS1_18TensorListMetadataILi2EEENS1_21BinaryOpScalarFunctorIN3c108BFloat16ELi2ELi1ELi1EEEJNS1_13power_functorIfEEfEEEvT_T0_DpT1_.num_agpr, 0
	.set _ZN2at6native12_GLOBAL__N_125multi_tensor_apply_kernelINS1_18TensorListMetadataILi2EEENS1_21BinaryOpScalarFunctorIN3c108BFloat16ELi2ELi1ELi1EEEJNS1_13power_functorIfEEfEEEvT_T0_DpT1_.numbered_sgpr, 37
	.set _ZN2at6native12_GLOBAL__N_125multi_tensor_apply_kernelINS1_18TensorListMetadataILi2EEENS1_21BinaryOpScalarFunctorIN3c108BFloat16ELi2ELi1ELi1EEEJNS1_13power_functorIfEEfEEEvT_T0_DpT1_.num_named_barrier, 0
	.set _ZN2at6native12_GLOBAL__N_125multi_tensor_apply_kernelINS1_18TensorListMetadataILi2EEENS1_21BinaryOpScalarFunctorIN3c108BFloat16ELi2ELi1ELi1EEEJNS1_13power_functorIfEEfEEEvT_T0_DpT1_.private_seg_size, 0
	.set _ZN2at6native12_GLOBAL__N_125multi_tensor_apply_kernelINS1_18TensorListMetadataILi2EEENS1_21BinaryOpScalarFunctorIN3c108BFloat16ELi2ELi1ELi1EEEJNS1_13power_functorIfEEfEEEvT_T0_DpT1_.uses_vcc, 1
	.set _ZN2at6native12_GLOBAL__N_125multi_tensor_apply_kernelINS1_18TensorListMetadataILi2EEENS1_21BinaryOpScalarFunctorIN3c108BFloat16ELi2ELi1ELi1EEEJNS1_13power_functorIfEEfEEEvT_T0_DpT1_.uses_flat_scratch, 0
	.set _ZN2at6native12_GLOBAL__N_125multi_tensor_apply_kernelINS1_18TensorListMetadataILi2EEENS1_21BinaryOpScalarFunctorIN3c108BFloat16ELi2ELi1ELi1EEEJNS1_13power_functorIfEEfEEEvT_T0_DpT1_.has_dyn_sized_stack, 0
	.set _ZN2at6native12_GLOBAL__N_125multi_tensor_apply_kernelINS1_18TensorListMetadataILi2EEENS1_21BinaryOpScalarFunctorIN3c108BFloat16ELi2ELi1ELi1EEEJNS1_13power_functorIfEEfEEEvT_T0_DpT1_.has_recursion, 0
	.set _ZN2at6native12_GLOBAL__N_125multi_tensor_apply_kernelINS1_18TensorListMetadataILi2EEENS1_21BinaryOpScalarFunctorIN3c108BFloat16ELi2ELi1ELi1EEEJNS1_13power_functorIfEEfEEEvT_T0_DpT1_.has_indirect_call, 0
	.section	.AMDGPU.csdata,"",@progbits
; Kernel info:
; codeLenInByte = 11528
; TotalNumSgprs: 39
; NumVgprs: 72
; ScratchSize: 0
; MemoryBound: 0
; FloatMode: 240
; IeeeMode: 1
; LDSByteSize: 0 bytes/workgroup (compile time only)
; SGPRBlocks: 0
; VGPRBlocks: 8
; NumSGPRsForWavesPerEU: 39
; NumVGPRsForWavesPerEU: 72
; Occupancy: 16
; WaveLimiterHint : 0
; COMPUTE_PGM_RSRC2:SCRATCH_EN: 0
; COMPUTE_PGM_RSRC2:USER_SGPR: 2
; COMPUTE_PGM_RSRC2:TRAP_HANDLER: 0
; COMPUTE_PGM_RSRC2:TGID_X_EN: 1
; COMPUTE_PGM_RSRC2:TGID_Y_EN: 0
; COMPUTE_PGM_RSRC2:TGID_Z_EN: 0
; COMPUTE_PGM_RSRC2:TIDIG_COMP_CNT: 0
	.section	.text._ZN2at6native12_GLOBAL__N_125multi_tensor_apply_kernelINS1_18TensorListMetadataILi2EEENS1_21BinaryOpScalarFunctorIhLi2ELi1ELi1EEEJNS1_21reverse_power_functorIhEEhEEEvT_T0_DpT1_,"axG",@progbits,_ZN2at6native12_GLOBAL__N_125multi_tensor_apply_kernelINS1_18TensorListMetadataILi2EEENS1_21BinaryOpScalarFunctorIhLi2ELi1ELi1EEEJNS1_21reverse_power_functorIhEEhEEEvT_T0_DpT1_,comdat
	.globl	_ZN2at6native12_GLOBAL__N_125multi_tensor_apply_kernelINS1_18TensorListMetadataILi2EEENS1_21BinaryOpScalarFunctorIhLi2ELi1ELi1EEEJNS1_21reverse_power_functorIhEEhEEEvT_T0_DpT1_ ; -- Begin function _ZN2at6native12_GLOBAL__N_125multi_tensor_apply_kernelINS1_18TensorListMetadataILi2EEENS1_21BinaryOpScalarFunctorIhLi2ELi1ELi1EEEJNS1_21reverse_power_functorIhEEhEEEvT_T0_DpT1_
	.p2align	8
	.type	_ZN2at6native12_GLOBAL__N_125multi_tensor_apply_kernelINS1_18TensorListMetadataILi2EEENS1_21BinaryOpScalarFunctorIhLi2ELi1ELi1EEEJNS1_21reverse_power_functorIhEEhEEEvT_T0_DpT1_,@function
_ZN2at6native12_GLOBAL__N_125multi_tensor_apply_kernelINS1_18TensorListMetadataILi2EEENS1_21BinaryOpScalarFunctorIhLi2ELi1ELi1EEEJNS1_21reverse_power_functorIhEEhEEEvT_T0_DpT1_: ; @_ZN2at6native12_GLOBAL__N_125multi_tensor_apply_kernelINS1_18TensorListMetadataILi2EEENS1_21BinaryOpScalarFunctorIhLi2ELi1ELi1EEEJNS1_21reverse_power_functorIhEEhEEEvT_T0_DpT1_
; %bb.0:
	s_load_u8 s6, s[0:1], ttmp9 offset:0x600
	s_mov_b32 s2, ttmp9
	s_mov_b32 s3, 0
	s_delay_alu instid0(SALU_CYCLE_1) | instskip(SKIP_1) | instid1(SALU_CYCLE_1)
	s_mul_u64 s[4:5], s[2:3], 3
	s_add_nc_u64 s[2:3], s[0:1], s[2:3]
	s_add_nc_u64 s[2:3], s[2:3], s[4:5]
	s_load_b32 s2, s[2:3], 0x740
	s_wait_kmcnt 0x0
	s_lshl_b32 s3, s6, 3
	s_clause 0x3
	s_load_b64 s[4:5], s[0:1], s3 offset:0x200
	s_load_b64 s[8:9], s[0:1], s3 offset:0x0
	;; [unrolled: 1-line block ×3, first 2 shown]
	s_load_b32 s12, s[0:1], 0xc48
	s_ashr_i32 s3, s2, 31
	s_delay_alu instid0(SALU_CYCLE_1)
	s_lshl_b64 s[2:3], s[2:3], 16
	s_wait_kmcnt 0x0
	s_add_nc_u64 s[6:7], s[4:5], s[2:3]
	s_add_nc_u64 s[8:9], s[8:9], s[2:3]
	s_or_b32 s4, s10, s6
	s_lshr_b32 s20, s12, 16
	s_or_b32 s4, s4, s8
	s_sub_nc_u64 s[10:11], s[10:11], s[2:3]
	s_and_b32 s4, s4, 3
	s_mov_b32 s2, -1
	s_cmp_eq_u32 s4, 0
	s_cbranch_scc1 .LBB72_37
; %bb.1:
	v_cmp_lt_i64_e64 s2, s[10:11], 1
	s_and_b32 vcc_lo, exec_lo, s2
	s_cbranch_vccnz .LBB72_36
; %bb.2:
	s_load_b32 s2, s[0:1], 0xc5c
	v_cmp_gt_i64_e64 s3, 0x10000, s[10:11]
	v_cmp_gt_u64_e64 s4, 0x10000, s[10:11]
	s_mov_b32 s13, 0
	s_mov_b64 s[18:19], 0
	s_and_b32 s3, s3, exec_lo
	s_cselect_b32 s15, s11, 0
	s_cselect_b32 s14, s10, 0x10000
	s_wait_kmcnt 0x0
	s_and_b32 s21, s2, 0xffff
	s_and_b32 s2, s4, exec_lo
	s_cselect_b32 s17, s11, 0
	s_cselect_b32 s16, s10, 0x10000
	s_lshl_b32 s22, s21, 1
	s_mul_i32 s23, s21, 3
	s_lshl_b32 s12, s21, 2
	s_branch .LBB72_4
.LBB72_3:                               ;   in Loop: Header=BB72_4 Depth=1
	s_wait_alu 0xfffe
	s_or_b32 exec_lo, exec_lo, s2
	s_add_nc_u64 s[18:19], s[18:19], s[12:13]
	s_wait_alu 0xfffe
	v_cmp_ge_i64_e64 s2, s[18:19], s[14:15]
	s_and_b32 vcc_lo, exec_lo, s2
	s_wait_alu 0xfffe
	s_cbranch_vccnz .LBB72_36
.LBB72_4:                               ; =>This Loop Header: Depth=1
                                        ;     Child Loop BB72_14 Depth 2
                                        ;     Child Loop BB72_18 Depth 2
	;; [unrolled: 1-line block ×4, first 2 shown]
	v_add_co_u32 v1, s2, s18, v0
	s_wait_alu 0xf1ff
	v_add_co_ci_u32_e64 v2, null, s19, 0, s2
	v_mov_b32_e32 v12, 0
	s_delay_alu instid0(VALU_DEP_2)
	v_cmp_gt_u64_e32 vcc_lo, s[16:17], v[1:2]
	s_and_saveexec_b32 s3, vcc_lo
	s_cbranch_execz .LBB72_6
; %bb.5:                                ;   in Loop: Header=BB72_4 Depth=1
	v_add_co_u32 v3, s2, s8, v1
	s_wait_alu 0xf1ff
	v_add_co_ci_u32_e64 v4, null, s9, v2, s2
	global_load_u8 v12, v[3:4], off
.LBB72_6:                               ;   in Loop: Header=BB72_4 Depth=1
	s_wait_alu 0xfffe
	s_or_b32 exec_lo, exec_lo, s3
	v_add_co_u32 v3, s2, v1, s21
	s_wait_alu 0xf1ff
	v_add_co_ci_u32_e64 v4, null, 0, v2, s2
	v_mov_b32_e32 v11, 0
	v_mov_b32_e32 v13, 0
	s_delay_alu instid0(VALU_DEP_3)
	v_cmp_gt_u64_e64 s2, s[16:17], v[3:4]
	s_and_saveexec_b32 s4, s2
	s_cbranch_execz .LBB72_8
; %bb.7:                                ;   in Loop: Header=BB72_4 Depth=1
	v_add_co_u32 v5, s3, s8, v3
	s_wait_alu 0xf1ff
	v_add_co_ci_u32_e64 v6, null, s9, v4, s3
	global_load_u8 v13, v[5:6], off
.LBB72_8:                               ;   in Loop: Header=BB72_4 Depth=1
	s_wait_alu 0xfffe
	s_or_b32 exec_lo, exec_lo, s4
	v_add_co_u32 v5, s3, v1, s22
	s_wait_alu 0xf1ff
	v_add_co_ci_u32_e64 v6, null, 0, v2, s3
	s_delay_alu instid0(VALU_DEP_1)
	v_cmp_gt_u64_e64 s3, s[16:17], v[5:6]
	s_and_saveexec_b32 s5, s3
	s_cbranch_execz .LBB72_10
; %bb.9:                                ;   in Loop: Header=BB72_4 Depth=1
	v_add_co_u32 v7, s4, s8, v5
	s_wait_alu 0xf1ff
	v_add_co_ci_u32_e64 v8, null, s9, v6, s4
	global_load_u8 v11, v[7:8], off
.LBB72_10:                              ;   in Loop: Header=BB72_4 Depth=1
	s_wait_alu 0xfffe
	s_or_b32 exec_lo, exec_lo, s5
	v_add_co_u32 v7, s4, v1, s23
	s_wait_alu 0xf1ff
	v_add_co_ci_u32_e64 v8, null, 0, v2, s4
	v_mov_b32_e32 v10, 0
	s_delay_alu instid0(VALU_DEP_2)
	v_cmp_gt_u64_e64 s4, s[16:17], v[7:8]
	s_and_saveexec_b32 s24, s4
	s_cbranch_execz .LBB72_12
; %bb.11:                               ;   in Loop: Header=BB72_4 Depth=1
	v_add_co_u32 v9, s5, s8, v7
	s_wait_alu 0xf1ff
	v_add_co_ci_u32_e64 v10, null, s9, v8, s5
	global_load_u8 v10, v[9:10], off
.LBB72_12:                              ;   in Loop: Header=BB72_4 Depth=1
	s_or_b32 exec_lo, exec_lo, s24
	s_wait_loadcnt 0x0
	v_and_b32_e32 v9, 0xff, v12
	s_delay_alu instid0(VALU_DEP_1)
	v_cmp_ne_u16_e64 s5, 0, v9
	v_mov_b32_e32 v9, 1
	s_and_saveexec_b32 s24, s5
	s_cbranch_execz .LBB72_16
; %bb.13:                               ;   in Loop: Header=BB72_4 Depth=1
	v_mov_b32_e32 v9, 1
	s_mov_b32 s25, 0
	s_mov_b32 s26, s20
.LBB72_14:                              ;   Parent Loop BB72_4 Depth=1
                                        ; =>  This Inner Loop Header: Depth=2
	v_and_b32_e32 v14, 1, v12
	v_and_b32_e32 v12, 0xff, v12
	s_delay_alu instid0(VALU_DEP_2) | instskip(SKIP_1) | instid1(VALU_DEP_1)
	v_cmp_eq_u32_e64 s5, 1, v14
	s_wait_alu 0xf1fe
	v_cndmask_b32_e64 v14, 1, s26, s5
	s_delay_alu instid0(VALU_DEP_3) | instskip(SKIP_4) | instid1(SALU_CYCLE_1)
	v_cmp_gt_u16_e64 s5, 2, v12
	v_lshrrev_b16 v12, 1, v12
	s_mul_i32 s26, s26, s26
	v_mul_lo_u16 v9, v14, v9
	s_or_b32 s25, s5, s25
	s_and_not1_b32 exec_lo, exec_lo, s25
	s_cbranch_execnz .LBB72_14
; %bb.15:                               ;   in Loop: Header=BB72_4 Depth=1
	s_or_b32 exec_lo, exec_lo, s25
.LBB72_16:                              ;   in Loop: Header=BB72_4 Depth=1
	s_delay_alu instid0(SALU_CYCLE_1) | instskip(SKIP_1) | instid1(VALU_DEP_1)
	s_or_b32 exec_lo, exec_lo, s24
	v_and_b32_e32 v12, 0xff, v13
	v_cmp_ne_u16_e64 s5, 0, v12
	v_mov_b32_e32 v12, 1
	s_and_saveexec_b32 s24, s5
	s_cbranch_execz .LBB72_20
; %bb.17:                               ;   in Loop: Header=BB72_4 Depth=1
	v_mov_b32_e32 v12, 1
	s_mov_b32 s25, 0
	s_mov_b32 s26, s20
.LBB72_18:                              ;   Parent Loop BB72_4 Depth=1
                                        ; =>  This Inner Loop Header: Depth=2
	v_and_b32_e32 v14, 1, v13
	v_and_b32_e32 v13, 0xff, v13
	s_delay_alu instid0(VALU_DEP_2) | instskip(SKIP_1) | instid1(VALU_DEP_1)
	v_cmp_eq_u32_e64 s5, 1, v14
	s_wait_alu 0xf1fe
	v_cndmask_b32_e64 v14, 1, s26, s5
	s_delay_alu instid0(VALU_DEP_3) | instskip(SKIP_4) | instid1(SALU_CYCLE_1)
	v_cmp_gt_u16_e64 s5, 2, v13
	v_lshrrev_b16 v13, 1, v13
	s_mul_i32 s26, s26, s26
	v_mul_lo_u16 v12, v14, v12
	s_or_b32 s25, s5, s25
	s_and_not1_b32 exec_lo, exec_lo, s25
	s_cbranch_execnz .LBB72_18
; %bb.19:                               ;   in Loop: Header=BB72_4 Depth=1
	s_or_b32 exec_lo, exec_lo, s25
.LBB72_20:                              ;   in Loop: Header=BB72_4 Depth=1
	s_delay_alu instid0(SALU_CYCLE_1) | instskip(SKIP_1) | instid1(VALU_DEP_1)
	s_or_b32 exec_lo, exec_lo, s24
	v_and_b32_e32 v13, 0xff, v11
	;; [unrolled: 30-line block ×3, first 2 shown]
	v_cmp_ne_u16_e64 s5, 0, v11
	v_mov_b32_e32 v11, 1
	s_and_saveexec_b32 s24, s5
	s_cbranch_execnz .LBB72_29
; %bb.25:                               ;   in Loop: Header=BB72_4 Depth=1
	s_or_b32 exec_lo, exec_lo, s24
	s_and_saveexec_b32 s5, vcc_lo
	s_wait_alu 0xfffe
	s_xor_b32 s5, exec_lo, s5
	s_cbranch_execnz .LBB72_32
.LBB72_26:                              ;   in Loop: Header=BB72_4 Depth=1
	s_wait_alu 0xfffe
	s_or_b32 exec_lo, exec_lo, s5
	s_and_saveexec_b32 s5, s2
	s_cbranch_execnz .LBB72_33
.LBB72_27:                              ;   in Loop: Header=BB72_4 Depth=1
	s_wait_alu 0xfffe
	s_or_b32 exec_lo, exec_lo, s5
	s_and_saveexec_b32 s2, s3
	s_cbranch_execnz .LBB72_34
.LBB72_28:                              ;   in Loop: Header=BB72_4 Depth=1
	s_wait_alu 0xfffe
	s_or_b32 exec_lo, exec_lo, s2
	s_and_saveexec_b32 s2, s4
	s_cbranch_execz .LBB72_3
	s_branch .LBB72_35
.LBB72_29:                              ;   in Loop: Header=BB72_4 Depth=1
	v_mov_b32_e32 v11, 1
	s_mov_b32 s25, 0
	s_mov_b32 s26, s20
.LBB72_30:                              ;   Parent Loop BB72_4 Depth=1
                                        ; =>  This Inner Loop Header: Depth=2
	v_and_b32_e32 v14, 1, v10
	v_and_b32_e32 v10, 0xff, v10
	s_delay_alu instid0(VALU_DEP_2) | instskip(SKIP_1) | instid1(VALU_DEP_1)
	v_cmp_eq_u32_e64 s5, 1, v14
	s_wait_alu 0xf1fe
	v_cndmask_b32_e64 v14, 1, s26, s5
	s_delay_alu instid0(VALU_DEP_3) | instskip(SKIP_4) | instid1(SALU_CYCLE_1)
	v_cmp_gt_u16_e64 s5, 2, v10
	v_lshrrev_b16 v10, 1, v10
	s_mul_i32 s26, s26, s26
	v_mul_lo_u16 v11, v14, v11
	s_or_b32 s25, s5, s25
	s_and_not1_b32 exec_lo, exec_lo, s25
	s_cbranch_execnz .LBB72_30
; %bb.31:                               ;   in Loop: Header=BB72_4 Depth=1
	s_or_b32 exec_lo, exec_lo, s25
	s_delay_alu instid0(SALU_CYCLE_1)
	s_or_b32 exec_lo, exec_lo, s24
	s_and_saveexec_b32 s5, vcc_lo
	s_wait_alu 0xfffe
	s_xor_b32 s5, exec_lo, s5
	s_cbranch_execz .LBB72_26
.LBB72_32:                              ;   in Loop: Header=BB72_4 Depth=1
	v_add_co_u32 v1, vcc_lo, s6, v1
	s_wait_alu 0xfffd
	v_add_co_ci_u32_e64 v2, null, s7, v2, vcc_lo
	global_store_b8 v[1:2], v9, off
	s_wait_alu 0xfffe
	s_or_b32 exec_lo, exec_lo, s5
	s_and_saveexec_b32 s5, s2
	s_cbranch_execz .LBB72_27
.LBB72_33:                              ;   in Loop: Header=BB72_4 Depth=1
	v_add_co_u32 v1, vcc_lo, s6, v3
	s_wait_alu 0xfffd
	v_add_co_ci_u32_e64 v2, null, s7, v4, vcc_lo
	global_store_b8 v[1:2], v12, off
	s_wait_alu 0xfffe
	s_or_b32 exec_lo, exec_lo, s5
	s_and_saveexec_b32 s2, s3
	s_cbranch_execz .LBB72_28
.LBB72_34:                              ;   in Loop: Header=BB72_4 Depth=1
	v_add_co_u32 v1, vcc_lo, s6, v5
	s_wait_alu 0xfffd
	v_add_co_ci_u32_e64 v2, null, s7, v6, vcc_lo
	global_store_b8 v[1:2], v13, off
	s_wait_alu 0xfffe
	s_or_b32 exec_lo, exec_lo, s2
	s_and_saveexec_b32 s2, s4
	s_cbranch_execz .LBB72_3
.LBB72_35:                              ;   in Loop: Header=BB72_4 Depth=1
	v_add_co_u32 v1, vcc_lo, s6, v7
	s_wait_alu 0xfffd
	v_add_co_ci_u32_e64 v2, null, s7, v8, vcc_lo
	global_store_b8 v[1:2], v11, off
	s_branch .LBB72_3
.LBB72_36:
	s_mov_b32 s2, 0
.LBB72_37:
	s_wait_alu 0xfffe
	s_and_not1_b32 vcc_lo, exec_lo, s2
	s_wait_alu 0xfffe
	s_cbranch_vccnz .LBB72_57
; %bb.38:
	v_cmp_gt_i64_e64 s2, 0x10000, s[10:11]
	v_dual_mov_b32 v2, 0 :: v_dual_lshlrev_b32 v1, 2, v0
	s_mov_b32 s4, 0
	s_mov_b32 s5, exec_lo
	s_and_b32 s2, s2, exec_lo
	s_cselect_b32 s3, s11, 0
	s_cselect_b32 s2, s10, 0x10000
	s_wait_alu 0xfffe
	v_cmpx_gt_i64_e64 s[2:3], v[1:2]
	s_cbranch_execz .LBB72_57
; %bb.39:
	s_load_b32 s0, s[0:1], 0xc5c
	v_mov_b32_e32 v1, v2
	s_wait_kmcnt 0x0
	s_and_b32 s1, s0, 0xffff
	s_branch .LBB72_41
.LBB72_40:                              ;   in Loop: Header=BB72_41 Depth=1
	s_wait_alu 0xfffe
	s_or_b32 exec_lo, exec_lo, s0
	v_add_co_u32 v0, vcc_lo, v0, s1
	s_wait_alu 0xfffd
	v_add_co_ci_u32_e64 v1, null, 0, v1, vcc_lo
	v_perm_b32 v6, v4, v6, 0xc0c0004
	v_perm_b32 v7, v7, v8, 0xc0c0004
	v_add_co_u32 v2, s0, s6, v2
	s_delay_alu instid0(VALU_DEP_4) | instskip(SKIP_3) | instid1(VALU_DEP_3)
	v_lshlrev_b64_e32 v[4:5], 2, v[0:1]
	s_wait_alu 0xf1ff
	v_add_co_ci_u32_e64 v3, null, s7, v3, s0
	v_lshl_or_b32 v6, v7, 16, v6
	v_cmp_le_i64_e32 vcc_lo, s[2:3], v[4:5]
	global_store_b32 v[2:3], v6, off
	s_or_b32 s4, vcc_lo, s4
	s_wait_alu 0xfffe
	s_and_not1_b32 exec_lo, exec_lo, s4
	s_cbranch_execz .LBB72_57
.LBB72_41:                              ; =>This Loop Header: Depth=1
                                        ;     Child Loop BB72_43 Depth 2
                                        ;     Child Loop BB72_47 Depth 2
	;; [unrolled: 1-line block ×4, first 2 shown]
	s_delay_alu instid0(VALU_DEP_1) | instskip(NEXT) | instid1(VALU_DEP_1)
	v_lshlrev_b64_e32 v[2:3], 2, v[0:1]
	v_add_co_u32 v4, vcc_lo, s8, v2
	s_wait_alu 0xfffd
	s_delay_alu instid0(VALU_DEP_2) | instskip(SKIP_3) | instid1(VALU_DEP_1)
	v_add_co_ci_u32_e64 v5, null, s9, v3, vcc_lo
	global_load_b32 v5, v[4:5], off
	s_wait_loadcnt 0x0
	v_and_b32_e32 v4, 0xff, v5
	v_cmp_ne_u16_e32 vcc_lo, 0, v4
	v_mov_b32_e32 v4, 1
	s_and_saveexec_b32 s0, vcc_lo
	s_cbranch_execz .LBB72_45
; %bb.42:                               ;   in Loop: Header=BB72_41 Depth=1
	v_mov_b32_e32 v4, 1
	v_mov_b32_e32 v6, v5
	s_mov_b32 s5, 0
	s_mov_b32 s10, s20
.LBB72_43:                              ;   Parent Loop BB72_41 Depth=1
                                        ; =>  This Inner Loop Header: Depth=2
	s_delay_alu instid0(VALU_DEP_1) | instskip(SKIP_1) | instid1(VALU_DEP_2)
	v_and_b32_e32 v7, 1, v6
	v_and_b32_e32 v6, 0xff, v6
	v_cmp_eq_u32_e32 vcc_lo, 1, v7
	s_wait_alu 0xfffc
	v_cndmask_b32_e64 v7, 1, s10, vcc_lo
	s_delay_alu instid0(VALU_DEP_3) | instskip(SKIP_2) | instid1(VALU_DEP_3)
	v_cmp_gt_u16_e32 vcc_lo, 2, v6
	v_lshrrev_b16 v6, 1, v6
	s_mul_i32 s10, s10, s10
	v_mul_lo_u16 v4, v7, v4
	s_or_b32 s5, vcc_lo, s5
	s_wait_alu 0xfffe
	s_and_not1_b32 exec_lo, exec_lo, s5
	s_cbranch_execnz .LBB72_43
; %bb.44:                               ;   in Loop: Header=BB72_41 Depth=1
	s_or_b32 exec_lo, exec_lo, s5
.LBB72_45:                              ;   in Loop: Header=BB72_41 Depth=1
	s_wait_alu 0xfffe
	s_or_b32 exec_lo, exec_lo, s0
	v_lshrrev_b32_e32 v7, 8, v5
	s_delay_alu instid0(VALU_DEP_1) | instskip(NEXT) | instid1(VALU_DEP_1)
	v_and_b32_e32 v6, 0xff, v7
	v_cmp_ne_u16_e32 vcc_lo, 0, v6
	v_mov_b32_e32 v6, 1
	s_and_saveexec_b32 s0, vcc_lo
	s_cbranch_execz .LBB72_49
; %bb.46:                               ;   in Loop: Header=BB72_41 Depth=1
	v_mov_b32_e32 v6, 1
	s_mov_b32 s5, 0
	s_mov_b32 s10, s20
.LBB72_47:                              ;   Parent Loop BB72_41 Depth=1
                                        ; =>  This Inner Loop Header: Depth=2
	v_and_b32_e32 v8, 1, v7
	v_and_b32_e32 v7, 0xff, v7
	s_delay_alu instid0(VALU_DEP_2) | instskip(SKIP_2) | instid1(VALU_DEP_3)
	v_cmp_eq_u32_e32 vcc_lo, 1, v8
	s_wait_alu 0xfffc
	v_cndmask_b32_e64 v8, 1, s10, vcc_lo
	v_cmp_gt_u16_e32 vcc_lo, 2, v7
	v_lshrrev_b16 v7, 1, v7
	s_mul_i32 s10, s10, s10
	s_delay_alu instid0(VALU_DEP_3)
	v_mul_lo_u16 v6, v8, v6
	s_or_b32 s5, vcc_lo, s5
	s_wait_alu 0xfffe
	s_and_not1_b32 exec_lo, exec_lo, s5
	s_cbranch_execnz .LBB72_47
; %bb.48:                               ;   in Loop: Header=BB72_41 Depth=1
	s_or_b32 exec_lo, exec_lo, s5
.LBB72_49:                              ;   in Loop: Header=BB72_41 Depth=1
	s_wait_alu 0xfffe
	s_or_b32 exec_lo, exec_lo, s0
	v_lshrrev_b32_e32 v8, 16, v5
	s_delay_alu instid0(VALU_DEP_1) | instskip(NEXT) | instid1(VALU_DEP_1)
	v_and_b32_e32 v7, 0xff, v8
	v_cmp_ne_u16_e32 vcc_lo, 0, v7
	v_mov_b32_e32 v7, 1
	s_and_saveexec_b32 s0, vcc_lo
	s_cbranch_execz .LBB72_53
; %bb.50:                               ;   in Loop: Header=BB72_41 Depth=1
	v_mov_b32_e32 v7, 1
	s_mov_b32 s5, 0
	s_mov_b32 s10, s20
.LBB72_51:                              ;   Parent Loop BB72_41 Depth=1
                                        ; =>  This Inner Loop Header: Depth=2
	v_and_b32_e32 v9, 1, v8
	v_and_b32_e32 v8, 0xff, v8
	s_delay_alu instid0(VALU_DEP_2) | instskip(SKIP_2) | instid1(VALU_DEP_3)
	v_cmp_eq_u32_e32 vcc_lo, 1, v9
	s_wait_alu 0xfffc
	v_cndmask_b32_e64 v9, 1, s10, vcc_lo
	v_cmp_gt_u16_e32 vcc_lo, 2, v8
	v_lshrrev_b16 v8, 1, v8
	s_mul_i32 s10, s10, s10
	s_delay_alu instid0(VALU_DEP_3)
	v_mul_lo_u16 v7, v9, v7
	s_or_b32 s5, vcc_lo, s5
	s_wait_alu 0xfffe
	s_and_not1_b32 exec_lo, exec_lo, s5
	s_cbranch_execnz .LBB72_51
; %bb.52:                               ;   in Loop: Header=BB72_41 Depth=1
	s_or_b32 exec_lo, exec_lo, s5
.LBB72_53:                              ;   in Loop: Header=BB72_41 Depth=1
	s_wait_alu 0xfffe
	s_or_b32 exec_lo, exec_lo, s0
	v_mov_b32_e32 v8, 1
	s_mov_b32 s0, exec_lo
	v_cmpx_lt_u32_e32 0xffffff, v5
	s_cbranch_execz .LBB72_40
; %bb.54:                               ;   in Loop: Header=BB72_41 Depth=1
	v_lshrrev_b32_e32 v5, 24, v5
	v_mov_b32_e32 v8, 1
	s_mov_b32 s5, 0
	s_mov_b32 s10, s20
.LBB72_55:                              ;   Parent Loop BB72_41 Depth=1
                                        ; =>  This Inner Loop Header: Depth=2
	s_delay_alu instid0(VALU_DEP_2) | instskip(SKIP_1) | instid1(VALU_DEP_2)
	v_and_b32_e32 v9, 1, v5
	v_and_b32_e32 v5, 0xff, v5
	v_cmp_eq_u32_e32 vcc_lo, 1, v9
	s_wait_alu 0xfffc
	v_cndmask_b32_e64 v9, 1, s10, vcc_lo
	s_delay_alu instid0(VALU_DEP_3) | instskip(SKIP_2) | instid1(VALU_DEP_3)
	v_cmp_gt_u16_e32 vcc_lo, 2, v5
	v_lshrrev_b16 v5, 1, v5
	s_mul_i32 s10, s10, s10
	v_mul_lo_u16 v8, v9, v8
	s_or_b32 s5, vcc_lo, s5
	s_wait_alu 0xfffe
	s_and_not1_b32 exec_lo, exec_lo, s5
	s_cbranch_execnz .LBB72_55
; %bb.56:                               ;   in Loop: Header=BB72_41 Depth=1
	s_or_b32 exec_lo, exec_lo, s5
	s_branch .LBB72_40
.LBB72_57:
	s_endpgm
	.section	.rodata,"a",@progbits
	.p2align	6, 0x0
	.amdhsa_kernel _ZN2at6native12_GLOBAL__N_125multi_tensor_apply_kernelINS1_18TensorListMetadataILi2EEENS1_21BinaryOpScalarFunctorIhLi2ELi1ELi1EEEJNS1_21reverse_power_functorIhEEhEEEvT_T0_DpT1_
		.amdhsa_group_segment_fixed_size 0
		.amdhsa_private_segment_fixed_size 0
		.amdhsa_kernarg_size 3408
		.amdhsa_user_sgpr_count 2
		.amdhsa_user_sgpr_dispatch_ptr 0
		.amdhsa_user_sgpr_queue_ptr 0
		.amdhsa_user_sgpr_kernarg_segment_ptr 1
		.amdhsa_user_sgpr_dispatch_id 0
		.amdhsa_user_sgpr_private_segment_size 0
		.amdhsa_wavefront_size32 1
		.amdhsa_uses_dynamic_stack 0
		.amdhsa_enable_private_segment 0
		.amdhsa_system_sgpr_workgroup_id_x 1
		.amdhsa_system_sgpr_workgroup_id_y 0
		.amdhsa_system_sgpr_workgroup_id_z 0
		.amdhsa_system_sgpr_workgroup_info 0
		.amdhsa_system_vgpr_workitem_id 0
		.amdhsa_next_free_vgpr 15
		.amdhsa_next_free_sgpr 27
		.amdhsa_reserve_vcc 1
		.amdhsa_float_round_mode_32 0
		.amdhsa_float_round_mode_16_64 0
		.amdhsa_float_denorm_mode_32 3
		.amdhsa_float_denorm_mode_16_64 3
		.amdhsa_fp16_overflow 0
		.amdhsa_workgroup_processor_mode 1
		.amdhsa_memory_ordered 1
		.amdhsa_forward_progress 1
		.amdhsa_inst_pref_size 18
		.amdhsa_round_robin_scheduling 0
		.amdhsa_exception_fp_ieee_invalid_op 0
		.amdhsa_exception_fp_denorm_src 0
		.amdhsa_exception_fp_ieee_div_zero 0
		.amdhsa_exception_fp_ieee_overflow 0
		.amdhsa_exception_fp_ieee_underflow 0
		.amdhsa_exception_fp_ieee_inexact 0
		.amdhsa_exception_int_div_zero 0
	.end_amdhsa_kernel
	.section	.text._ZN2at6native12_GLOBAL__N_125multi_tensor_apply_kernelINS1_18TensorListMetadataILi2EEENS1_21BinaryOpScalarFunctorIhLi2ELi1ELi1EEEJNS1_21reverse_power_functorIhEEhEEEvT_T0_DpT1_,"axG",@progbits,_ZN2at6native12_GLOBAL__N_125multi_tensor_apply_kernelINS1_18TensorListMetadataILi2EEENS1_21BinaryOpScalarFunctorIhLi2ELi1ELi1EEEJNS1_21reverse_power_functorIhEEhEEEvT_T0_DpT1_,comdat
.Lfunc_end72:
	.size	_ZN2at6native12_GLOBAL__N_125multi_tensor_apply_kernelINS1_18TensorListMetadataILi2EEENS1_21BinaryOpScalarFunctorIhLi2ELi1ELi1EEEJNS1_21reverse_power_functorIhEEhEEEvT_T0_DpT1_, .Lfunc_end72-_ZN2at6native12_GLOBAL__N_125multi_tensor_apply_kernelINS1_18TensorListMetadataILi2EEENS1_21BinaryOpScalarFunctorIhLi2ELi1ELi1EEEJNS1_21reverse_power_functorIhEEhEEEvT_T0_DpT1_
                                        ; -- End function
	.set _ZN2at6native12_GLOBAL__N_125multi_tensor_apply_kernelINS1_18TensorListMetadataILi2EEENS1_21BinaryOpScalarFunctorIhLi2ELi1ELi1EEEJNS1_21reverse_power_functorIhEEhEEEvT_T0_DpT1_.num_vgpr, 15
	.set _ZN2at6native12_GLOBAL__N_125multi_tensor_apply_kernelINS1_18TensorListMetadataILi2EEENS1_21BinaryOpScalarFunctorIhLi2ELi1ELi1EEEJNS1_21reverse_power_functorIhEEhEEEvT_T0_DpT1_.num_agpr, 0
	.set _ZN2at6native12_GLOBAL__N_125multi_tensor_apply_kernelINS1_18TensorListMetadataILi2EEENS1_21BinaryOpScalarFunctorIhLi2ELi1ELi1EEEJNS1_21reverse_power_functorIhEEhEEEvT_T0_DpT1_.numbered_sgpr, 27
	.set _ZN2at6native12_GLOBAL__N_125multi_tensor_apply_kernelINS1_18TensorListMetadataILi2EEENS1_21BinaryOpScalarFunctorIhLi2ELi1ELi1EEEJNS1_21reverse_power_functorIhEEhEEEvT_T0_DpT1_.num_named_barrier, 0
	.set _ZN2at6native12_GLOBAL__N_125multi_tensor_apply_kernelINS1_18TensorListMetadataILi2EEENS1_21BinaryOpScalarFunctorIhLi2ELi1ELi1EEEJNS1_21reverse_power_functorIhEEhEEEvT_T0_DpT1_.private_seg_size, 0
	.set _ZN2at6native12_GLOBAL__N_125multi_tensor_apply_kernelINS1_18TensorListMetadataILi2EEENS1_21BinaryOpScalarFunctorIhLi2ELi1ELi1EEEJNS1_21reverse_power_functorIhEEhEEEvT_T0_DpT1_.uses_vcc, 1
	.set _ZN2at6native12_GLOBAL__N_125multi_tensor_apply_kernelINS1_18TensorListMetadataILi2EEENS1_21BinaryOpScalarFunctorIhLi2ELi1ELi1EEEJNS1_21reverse_power_functorIhEEhEEEvT_T0_DpT1_.uses_flat_scratch, 0
	.set _ZN2at6native12_GLOBAL__N_125multi_tensor_apply_kernelINS1_18TensorListMetadataILi2EEENS1_21BinaryOpScalarFunctorIhLi2ELi1ELi1EEEJNS1_21reverse_power_functorIhEEhEEEvT_T0_DpT1_.has_dyn_sized_stack, 0
	.set _ZN2at6native12_GLOBAL__N_125multi_tensor_apply_kernelINS1_18TensorListMetadataILi2EEENS1_21BinaryOpScalarFunctorIhLi2ELi1ELi1EEEJNS1_21reverse_power_functorIhEEhEEEvT_T0_DpT1_.has_recursion, 0
	.set _ZN2at6native12_GLOBAL__N_125multi_tensor_apply_kernelINS1_18TensorListMetadataILi2EEENS1_21BinaryOpScalarFunctorIhLi2ELi1ELi1EEEJNS1_21reverse_power_functorIhEEhEEEvT_T0_DpT1_.has_indirect_call, 0
	.section	.AMDGPU.csdata,"",@progbits
; Kernel info:
; codeLenInByte = 2216
; TotalNumSgprs: 29
; NumVgprs: 15
; ScratchSize: 0
; MemoryBound: 0
; FloatMode: 240
; IeeeMode: 1
; LDSByteSize: 0 bytes/workgroup (compile time only)
; SGPRBlocks: 0
; VGPRBlocks: 1
; NumSGPRsForWavesPerEU: 29
; NumVGPRsForWavesPerEU: 15
; Occupancy: 16
; WaveLimiterHint : 0
; COMPUTE_PGM_RSRC2:SCRATCH_EN: 0
; COMPUTE_PGM_RSRC2:USER_SGPR: 2
; COMPUTE_PGM_RSRC2:TRAP_HANDLER: 0
; COMPUTE_PGM_RSRC2:TGID_X_EN: 1
; COMPUTE_PGM_RSRC2:TGID_Y_EN: 0
; COMPUTE_PGM_RSRC2:TGID_Z_EN: 0
; COMPUTE_PGM_RSRC2:TIDIG_COMP_CNT: 0
	.section	.text._ZN2at6native12_GLOBAL__N_125multi_tensor_apply_kernelINS1_18TensorListMetadataILi2EEENS1_21BinaryOpScalarFunctorIaLi2ELi1ELi1EEEJNS1_21reverse_power_functorIaEEaEEEvT_T0_DpT1_,"axG",@progbits,_ZN2at6native12_GLOBAL__N_125multi_tensor_apply_kernelINS1_18TensorListMetadataILi2EEENS1_21BinaryOpScalarFunctorIaLi2ELi1ELi1EEEJNS1_21reverse_power_functorIaEEaEEEvT_T0_DpT1_,comdat
	.globl	_ZN2at6native12_GLOBAL__N_125multi_tensor_apply_kernelINS1_18TensorListMetadataILi2EEENS1_21BinaryOpScalarFunctorIaLi2ELi1ELi1EEEJNS1_21reverse_power_functorIaEEaEEEvT_T0_DpT1_ ; -- Begin function _ZN2at6native12_GLOBAL__N_125multi_tensor_apply_kernelINS1_18TensorListMetadataILi2EEENS1_21BinaryOpScalarFunctorIaLi2ELi1ELi1EEEJNS1_21reverse_power_functorIaEEaEEEvT_T0_DpT1_
	.p2align	8
	.type	_ZN2at6native12_GLOBAL__N_125multi_tensor_apply_kernelINS1_18TensorListMetadataILi2EEENS1_21BinaryOpScalarFunctorIaLi2ELi1ELi1EEEJNS1_21reverse_power_functorIaEEaEEEvT_T0_DpT1_,@function
_ZN2at6native12_GLOBAL__N_125multi_tensor_apply_kernelINS1_18TensorListMetadataILi2EEENS1_21BinaryOpScalarFunctorIaLi2ELi1ELi1EEEJNS1_21reverse_power_functorIaEEaEEEvT_T0_DpT1_: ; @_ZN2at6native12_GLOBAL__N_125multi_tensor_apply_kernelINS1_18TensorListMetadataILi2EEENS1_21BinaryOpScalarFunctorIaLi2ELi1ELi1EEEJNS1_21reverse_power_functorIaEEaEEEvT_T0_DpT1_
; %bb.0:
	s_load_u8 s6, s[0:1], ttmp9 offset:0x600
	s_mov_b32 s2, ttmp9
	s_mov_b32 s3, 0
	s_delay_alu instid0(SALU_CYCLE_1) | instskip(SKIP_1) | instid1(SALU_CYCLE_1)
	s_mul_u64 s[4:5], s[2:3], 3
	s_add_nc_u64 s[2:3], s[0:1], s[2:3]
	s_add_nc_u64 s[2:3], s[2:3], s[4:5]
	s_load_b32 s2, s[2:3], 0x740
	s_wait_kmcnt 0x0
	s_lshl_b32 s3, s6, 3
	s_clause 0x3
	s_load_b64 s[4:5], s[0:1], s3 offset:0x200
	s_load_b64 s[8:9], s[0:1], s3 offset:0x0
	;; [unrolled: 1-line block ×3, first 2 shown]
	s_load_b32 s12, s[0:1], 0xc48
	s_ashr_i32 s3, s2, 31
	s_delay_alu instid0(SALU_CYCLE_1)
	s_lshl_b64 s[2:3], s[2:3], 16
	s_wait_kmcnt 0x0
	s_add_nc_u64 s[6:7], s[4:5], s[2:3]
	s_add_nc_u64 s[8:9], s[8:9], s[2:3]
	s_or_b32 s4, s10, s6
	s_lshr_b32 s20, s12, 16
	s_or_b32 s4, s4, s8
	s_sub_nc_u64 s[10:11], s[10:11], s[2:3]
	s_and_b32 s4, s4, 3
	s_mov_b32 s2, -1
	s_cmp_eq_u32 s4, 0
	s_cbranch_scc1 .LBB73_73
; %bb.1:
	v_cmp_lt_i64_e64 s2, s[10:11], 1
	s_and_b32 vcc_lo, exec_lo, s2
	s_cbranch_vccnz .LBB73_72
; %bb.2:
	s_load_b32 s2, s[0:1], 0xc5c
	v_cmp_gt_i64_e64 s3, 0x10000, s[10:11]
	v_cmp_gt_u64_e64 s4, 0x10000, s[10:11]
	s_mov_b32 s13, 0
	s_mov_b64 s[18:19], 0
	s_and_b32 s3, s3, exec_lo
	s_cselect_b32 s15, s11, 0
	s_cselect_b32 s14, s10, 0x10000
	s_wait_kmcnt 0x0
	s_and_b32 s21, s2, 0xffff
	s_and_b32 s2, s4, exec_lo
	s_cselect_b32 s17, s11, 0
	s_cselect_b32 s16, s10, 0x10000
	s_and_b32 s24, s20, 0xff
	s_lshl_b32 s22, s21, 1
	s_mul_i32 s23, s21, 3
	s_lshl_b32 s12, s21, 2
	s_and_b32 s25, 0xffff, s24
	s_branch .LBB73_4
.LBB73_3:                               ;   in Loop: Header=BB73_4 Depth=1
	s_wait_alu 0xfffe
	s_or_b32 exec_lo, exec_lo, s2
	s_add_nc_u64 s[18:19], s[18:19], s[12:13]
	s_wait_alu 0xfffe
	v_cmp_ge_i64_e64 s2, s[18:19], s[14:15]
	s_and_b32 vcc_lo, exec_lo, s2
	s_wait_alu 0xfffe
	s_cbranch_vccnz .LBB73_72
.LBB73_4:                               ; =>This Loop Header: Depth=1
                                        ;     Child Loop BB73_15 Depth 2
                                        ;     Child Loop BB73_28 Depth 2
	;; [unrolled: 1-line block ×4, first 2 shown]
	v_add_co_u32 v1, s2, s18, v0
	s_wait_alu 0xf1ff
	v_add_co_ci_u32_e64 v2, null, s19, 0, s2
	v_mov_b32_e32 v12, 0
	s_delay_alu instid0(VALU_DEP_2)
	v_cmp_gt_u64_e64 s2, s[16:17], v[1:2]
	s_and_saveexec_b32 s3, s2
	s_cbranch_execz .LBB73_6
; %bb.5:                                ;   in Loop: Header=BB73_4 Depth=1
	v_add_co_u32 v3, vcc_lo, s8, v1
	s_wait_alu 0xfffd
	v_add_co_ci_u32_e64 v4, null, s9, v2, vcc_lo
	global_load_u8 v12, v[3:4], off
.LBB73_6:                               ;   in Loop: Header=BB73_4 Depth=1
	s_wait_alu 0xfffe
	s_or_b32 exec_lo, exec_lo, s3
	v_add_co_u32 v3, vcc_lo, v1, s21
	s_wait_alu 0xfffd
	v_add_co_ci_u32_e64 v4, null, 0, v2, vcc_lo
	v_mov_b32_e32 v11, 0
	v_mov_b32_e32 v13, 0
	s_delay_alu instid0(VALU_DEP_3)
	v_cmp_gt_u64_e64 s3, s[16:17], v[3:4]
	s_and_saveexec_b32 s4, s3
	s_cbranch_execz .LBB73_8
; %bb.7:                                ;   in Loop: Header=BB73_4 Depth=1
	v_add_co_u32 v5, vcc_lo, s8, v3
	s_wait_alu 0xfffd
	v_add_co_ci_u32_e64 v6, null, s9, v4, vcc_lo
	global_load_u8 v13, v[5:6], off
.LBB73_8:                               ;   in Loop: Header=BB73_4 Depth=1
	s_or_b32 exec_lo, exec_lo, s4
	v_add_co_u32 v5, vcc_lo, v1, s22
	s_wait_alu 0xfffd
	v_add_co_ci_u32_e64 v6, null, 0, v2, vcc_lo
	s_delay_alu instid0(VALU_DEP_1)
	v_cmp_gt_u64_e64 s4, s[16:17], v[5:6]
	s_and_saveexec_b32 s5, s4
	s_cbranch_execz .LBB73_10
; %bb.9:                                ;   in Loop: Header=BB73_4 Depth=1
	v_add_co_u32 v7, vcc_lo, s8, v5
	s_wait_alu 0xfffd
	v_add_co_ci_u32_e64 v8, null, s9, v6, vcc_lo
	global_load_u8 v11, v[7:8], off
.LBB73_10:                              ;   in Loop: Header=BB73_4 Depth=1
	s_or_b32 exec_lo, exec_lo, s5
	v_add_co_u32 v7, vcc_lo, v1, s23
	s_wait_alu 0xfffd
	v_add_co_ci_u32_e64 v8, null, 0, v2, vcc_lo
	v_mov_b32_e32 v10, 0
	s_delay_alu instid0(VALU_DEP_2)
	v_cmp_gt_u64_e64 s5, s[16:17], v[7:8]
	s_and_saveexec_b32 s26, s5
	s_cbranch_execz .LBB73_12
; %bb.11:                               ;   in Loop: Header=BB73_4 Depth=1
	v_add_co_u32 v9, vcc_lo, s8, v7
	s_wait_alu 0xfffd
	v_add_co_ci_u32_e64 v10, null, s9, v8, vcc_lo
	global_load_u8 v10, v[9:10], off
.LBB73_12:                              ;   in Loop: Header=BB73_4 Depth=1
	s_wait_alu 0xfffe
	s_or_b32 exec_lo, exec_lo, s26
	s_wait_loadcnt 0x0
	v_bfe_i32 v9, v12, 0, 8
	s_delay_alu instid0(VALU_DEP_1)
	v_cmp_lt_i16_e32 vcc_lo, -1, v9
                                        ; implicit-def: $vgpr9
	s_and_saveexec_b32 s26, vcc_lo
	s_wait_alu 0xfffe
	s_xor_b32 s26, exec_lo, s26
	s_cbranch_execz .LBB73_18
; %bb.13:                               ;   in Loop: Header=BB73_4 Depth=1
	v_and_b32_e32 v9, 0xff, v12
	s_delay_alu instid0(VALU_DEP_1)
	v_cmp_ne_u16_e32 vcc_lo, 0, v9
	v_mov_b32_e32 v9, 1
	s_and_saveexec_b32 s27, vcc_lo
	s_cbranch_execz .LBB73_17
; %bb.14:                               ;   in Loop: Header=BB73_4 Depth=1
	v_mov_b32_e32 v9, 1
	s_mov_b32 s28, 0
	s_mov_b32 s29, s20
.LBB73_15:                              ;   Parent Loop BB73_4 Depth=1
                                        ; =>  This Inner Loop Header: Depth=2
	v_and_b32_e32 v14, 1, v12
	v_bfe_i32 v15, v12, 0, 8
	v_lshrrev_b16 v12, 1, v12
	s_delay_alu instid0(VALU_DEP_3) | instskip(NEXT) | instid1(VALU_DEP_2)
	v_cmp_eq_u32_e32 vcc_lo, 1, v14
	v_and_b32_e32 v12, 0x7f, v12
	s_wait_alu 0xfffc
	v_cndmask_b32_e64 v14, 1, s29, vcc_lo
	v_cmp_gt_i16_e32 vcc_lo, 2, v15
	s_mul_i32 s29, s29, s29
	s_delay_alu instid0(VALU_DEP_2)
	v_mul_lo_u16 v9, v14, v9
	s_or_b32 s28, vcc_lo, s28
	s_wait_alu 0xfffe
	s_and_not1_b32 exec_lo, exec_lo, s28
	s_cbranch_execnz .LBB73_15
; %bb.16:                               ;   in Loop: Header=BB73_4 Depth=1
	s_or_b32 exec_lo, exec_lo, s28
.LBB73_17:                              ;   in Loop: Header=BB73_4 Depth=1
	s_wait_alu 0xfffe
	s_or_b32 exec_lo, exec_lo, s27
                                        ; implicit-def: $vgpr12
.LBB73_18:                              ;   in Loop: Header=BB73_4 Depth=1
	s_wait_alu 0xfffe
	s_and_not1_saveexec_b32 s26, s26
	s_cbranch_execz .LBB73_25
; %bb.19:                               ;   in Loop: Header=BB73_4 Depth=1
	s_cmp_gt_i32 s24, 0xfe
	s_mov_b32 s27, -1
                                        ; implicit-def: $vgpr9
	s_cbranch_scc0 .LBB73_21
; %bb.20:                               ;   in Loop: Header=BB73_4 Depth=1
	v_and_b32_e32 v9, 1, v12
	s_mov_b32 s27, 0
	s_delay_alu instid0(VALU_DEP_1)
	v_cmp_eq_u16_e32 vcc_lo, 0, v9
	s_wait_alu 0xfffd
	v_cndmask_b32_e64 v9, -1, 1, vcc_lo
.LBB73_21:                              ;   in Loop: Header=BB73_4 Depth=1
	s_wait_alu 0xfffe
	s_and_not1_b32 vcc_lo, exec_lo, s27
	s_wait_alu 0xfffe
	s_cbranch_vccnz .LBB73_25
; %bb.22:                               ;   in Loop: Header=BB73_4 Depth=1
	s_cmp_lg_u32 s25, 1
	s_mov_b32 s27, 1
	s_cbranch_scc0 .LBB73_24
; %bb.23:                               ;   in Loop: Header=BB73_4 Depth=1
	s_mov_b32 s27, 0
.LBB73_24:                              ;   in Loop: Header=BB73_4 Depth=1
	s_wait_alu 0xfffe
	v_mov_b32_e32 v9, s27
.LBB73_25:                              ;   in Loop: Header=BB73_4 Depth=1
	s_wait_alu 0xfffe
	s_or_b32 exec_lo, exec_lo, s26
	v_bfe_i32 v12, v13, 0, 8
	s_delay_alu instid0(VALU_DEP_1)
	v_cmp_lt_i16_e32 vcc_lo, -1, v12
                                        ; implicit-def: $vgpr12
	s_and_saveexec_b32 s26, vcc_lo
	s_wait_alu 0xfffe
	s_xor_b32 s26, exec_lo, s26
	s_cbranch_execz .LBB73_31
; %bb.26:                               ;   in Loop: Header=BB73_4 Depth=1
	v_and_b32_e32 v12, 0xff, v13
	s_delay_alu instid0(VALU_DEP_1)
	v_cmp_ne_u16_e32 vcc_lo, 0, v12
	v_mov_b32_e32 v12, 1
	s_and_saveexec_b32 s27, vcc_lo
	s_cbranch_execz .LBB73_30
; %bb.27:                               ;   in Loop: Header=BB73_4 Depth=1
	v_mov_b32_e32 v12, 1
	s_mov_b32 s28, 0
	s_mov_b32 s29, s20
.LBB73_28:                              ;   Parent Loop BB73_4 Depth=1
                                        ; =>  This Inner Loop Header: Depth=2
	v_and_b32_e32 v14, 1, v13
	v_bfe_i32 v15, v13, 0, 8
	v_lshrrev_b16 v13, 1, v13
	s_delay_alu instid0(VALU_DEP_3) | instskip(NEXT) | instid1(VALU_DEP_2)
	v_cmp_eq_u32_e32 vcc_lo, 1, v14
	v_and_b32_e32 v13, 0x7f, v13
	s_wait_alu 0xfffc
	v_cndmask_b32_e64 v14, 1, s29, vcc_lo
	v_cmp_gt_i16_e32 vcc_lo, 2, v15
	s_mul_i32 s29, s29, s29
	s_delay_alu instid0(VALU_DEP_2)
	v_mul_lo_u16 v12, v14, v12
	s_or_b32 s28, vcc_lo, s28
	s_wait_alu 0xfffe
	s_and_not1_b32 exec_lo, exec_lo, s28
	s_cbranch_execnz .LBB73_28
; %bb.29:                               ;   in Loop: Header=BB73_4 Depth=1
	s_or_b32 exec_lo, exec_lo, s28
.LBB73_30:                              ;   in Loop: Header=BB73_4 Depth=1
	s_wait_alu 0xfffe
	s_or_b32 exec_lo, exec_lo, s27
                                        ; implicit-def: $vgpr13
.LBB73_31:                              ;   in Loop: Header=BB73_4 Depth=1
	s_wait_alu 0xfffe
	s_and_not1_saveexec_b32 s26, s26
	s_cbranch_execz .LBB73_38
; %bb.32:                               ;   in Loop: Header=BB73_4 Depth=1
	s_cmp_gt_i32 s24, 0xfe
	s_mov_b32 s27, -1
                                        ; implicit-def: $vgpr12
	s_cbranch_scc0 .LBB73_34
; %bb.33:                               ;   in Loop: Header=BB73_4 Depth=1
	v_and_b32_e32 v12, 1, v13
	s_mov_b32 s27, 0
	s_delay_alu instid0(VALU_DEP_1)
	v_cmp_eq_u16_e32 vcc_lo, 0, v12
	s_wait_alu 0xfffd
	v_cndmask_b32_e64 v12, -1, 1, vcc_lo
.LBB73_34:                              ;   in Loop: Header=BB73_4 Depth=1
	s_wait_alu 0xfffe
	s_and_not1_b32 vcc_lo, exec_lo, s27
	s_wait_alu 0xfffe
	s_cbranch_vccnz .LBB73_38
; %bb.35:                               ;   in Loop: Header=BB73_4 Depth=1
	s_cmp_lg_u32 s25, 1
	s_mov_b32 s27, 1
	s_cbranch_scc0 .LBB73_37
; %bb.36:                               ;   in Loop: Header=BB73_4 Depth=1
	s_mov_b32 s27, 0
.LBB73_37:                              ;   in Loop: Header=BB73_4 Depth=1
	s_wait_alu 0xfffe
	v_mov_b32_e32 v12, s27
.LBB73_38:                              ;   in Loop: Header=BB73_4 Depth=1
	s_wait_alu 0xfffe
	s_or_b32 exec_lo, exec_lo, s26
	v_bfe_i32 v13, v11, 0, 8
	s_delay_alu instid0(VALU_DEP_1)
	v_cmp_lt_i16_e32 vcc_lo, -1, v13
                                        ; implicit-def: $vgpr13
	s_and_saveexec_b32 s26, vcc_lo
	s_wait_alu 0xfffe
	s_xor_b32 s26, exec_lo, s26
	s_cbranch_execz .LBB73_44
; %bb.39:                               ;   in Loop: Header=BB73_4 Depth=1
	v_and_b32_e32 v13, 0xff, v11
	s_delay_alu instid0(VALU_DEP_1)
	v_cmp_ne_u16_e32 vcc_lo, 0, v13
	v_mov_b32_e32 v13, 1
	s_and_saveexec_b32 s27, vcc_lo
	s_cbranch_execz .LBB73_43
; %bb.40:                               ;   in Loop: Header=BB73_4 Depth=1
	v_mov_b32_e32 v13, 1
	s_mov_b32 s28, 0
	s_mov_b32 s29, s20
.LBB73_41:                              ;   Parent Loop BB73_4 Depth=1
                                        ; =>  This Inner Loop Header: Depth=2
	v_and_b32_e32 v14, 1, v11
	v_bfe_i32 v15, v11, 0, 8
	v_lshrrev_b16 v11, 1, v11
	s_delay_alu instid0(VALU_DEP_3) | instskip(NEXT) | instid1(VALU_DEP_2)
	v_cmp_eq_u32_e32 vcc_lo, 1, v14
	v_and_b32_e32 v11, 0x7f, v11
	s_wait_alu 0xfffc
	v_cndmask_b32_e64 v14, 1, s29, vcc_lo
	v_cmp_gt_i16_e32 vcc_lo, 2, v15
	s_mul_i32 s29, s29, s29
	s_delay_alu instid0(VALU_DEP_2)
	v_mul_lo_u16 v13, v14, v13
	s_or_b32 s28, vcc_lo, s28
	s_wait_alu 0xfffe
	s_and_not1_b32 exec_lo, exec_lo, s28
	s_cbranch_execnz .LBB73_41
; %bb.42:                               ;   in Loop: Header=BB73_4 Depth=1
	s_or_b32 exec_lo, exec_lo, s28
.LBB73_43:                              ;   in Loop: Header=BB73_4 Depth=1
	s_wait_alu 0xfffe
	s_or_b32 exec_lo, exec_lo, s27
                                        ; implicit-def: $vgpr11
.LBB73_44:                              ;   in Loop: Header=BB73_4 Depth=1
	s_wait_alu 0xfffe
	s_and_not1_saveexec_b32 s26, s26
	s_cbranch_execz .LBB73_51
; %bb.45:                               ;   in Loop: Header=BB73_4 Depth=1
	s_cmp_gt_i32 s24, 0xfe
	s_mov_b32 s27, -1
                                        ; implicit-def: $vgpr13
	s_cbranch_scc0 .LBB73_47
; %bb.46:                               ;   in Loop: Header=BB73_4 Depth=1
	v_and_b32_e32 v11, 1, v11
	s_mov_b32 s27, 0
	s_delay_alu instid0(VALU_DEP_1)
	v_cmp_eq_u16_e32 vcc_lo, 0, v11
	s_wait_alu 0xfffd
	v_cndmask_b32_e64 v13, -1, 1, vcc_lo
.LBB73_47:                              ;   in Loop: Header=BB73_4 Depth=1
	s_wait_alu 0xfffe
	s_and_not1_b32 vcc_lo, exec_lo, s27
	s_wait_alu 0xfffe
	s_cbranch_vccnz .LBB73_51
; %bb.48:                               ;   in Loop: Header=BB73_4 Depth=1
	s_cmp_lg_u32 s25, 1
	s_mov_b32 s27, 1
	s_cbranch_scc0 .LBB73_50
; %bb.49:                               ;   in Loop: Header=BB73_4 Depth=1
	s_mov_b32 s27, 0
.LBB73_50:                              ;   in Loop: Header=BB73_4 Depth=1
	s_wait_alu 0xfffe
	v_mov_b32_e32 v13, s27
.LBB73_51:                              ;   in Loop: Header=BB73_4 Depth=1
	s_wait_alu 0xfffe
	s_or_b32 exec_lo, exec_lo, s26
	v_bfe_i32 v11, v10, 0, 8
	s_delay_alu instid0(VALU_DEP_1)
	v_cmp_lt_i16_e32 vcc_lo, -1, v11
                                        ; implicit-def: $vgpr11
	s_and_saveexec_b32 s26, vcc_lo
	s_wait_alu 0xfffe
	s_xor_b32 s26, exec_lo, s26
	s_cbranch_execz .LBB73_57
; %bb.52:                               ;   in Loop: Header=BB73_4 Depth=1
	v_and_b32_e32 v11, 0xff, v10
	s_delay_alu instid0(VALU_DEP_1)
	v_cmp_ne_u16_e32 vcc_lo, 0, v11
	v_mov_b32_e32 v11, 1
	s_and_saveexec_b32 s27, vcc_lo
	s_cbranch_execz .LBB73_56
; %bb.53:                               ;   in Loop: Header=BB73_4 Depth=1
	v_mov_b32_e32 v11, 1
	s_mov_b32 s28, 0
	s_mov_b32 s29, s20
.LBB73_54:                              ;   Parent Loop BB73_4 Depth=1
                                        ; =>  This Inner Loop Header: Depth=2
	v_and_b32_e32 v14, 1, v10
	v_bfe_i32 v15, v10, 0, 8
	v_lshrrev_b16 v10, 1, v10
	s_delay_alu instid0(VALU_DEP_3) | instskip(NEXT) | instid1(VALU_DEP_2)
	v_cmp_eq_u32_e32 vcc_lo, 1, v14
	v_and_b32_e32 v10, 0x7f, v10
	s_wait_alu 0xfffc
	v_cndmask_b32_e64 v14, 1, s29, vcc_lo
	v_cmp_gt_i16_e32 vcc_lo, 2, v15
	s_mul_i32 s29, s29, s29
	s_delay_alu instid0(VALU_DEP_2)
	v_mul_lo_u16 v11, v14, v11
	s_or_b32 s28, vcc_lo, s28
	s_wait_alu 0xfffe
	s_and_not1_b32 exec_lo, exec_lo, s28
	s_cbranch_execnz .LBB73_54
; %bb.55:                               ;   in Loop: Header=BB73_4 Depth=1
	s_or_b32 exec_lo, exec_lo, s28
.LBB73_56:                              ;   in Loop: Header=BB73_4 Depth=1
	s_wait_alu 0xfffe
	s_or_b32 exec_lo, exec_lo, s27
                                        ; implicit-def: $vgpr10
.LBB73_57:                              ;   in Loop: Header=BB73_4 Depth=1
	s_wait_alu 0xfffe
	s_and_not1_saveexec_b32 s26, s26
	s_cbranch_execz .LBB73_64
; %bb.58:                               ;   in Loop: Header=BB73_4 Depth=1
	s_cmp_gt_i32 s24, 0xfe
	s_mov_b32 s27, -1
                                        ; implicit-def: $vgpr11
	s_cbranch_scc0 .LBB73_60
; %bb.59:                               ;   in Loop: Header=BB73_4 Depth=1
	v_and_b32_e32 v10, 1, v10
	s_mov_b32 s27, 0
	s_delay_alu instid0(VALU_DEP_1)
	v_cmp_eq_u16_e32 vcc_lo, 0, v10
	s_wait_alu 0xfffd
	v_cndmask_b32_e64 v11, -1, 1, vcc_lo
.LBB73_60:                              ;   in Loop: Header=BB73_4 Depth=1
	s_wait_alu 0xfffe
	s_and_not1_b32 vcc_lo, exec_lo, s27
	s_wait_alu 0xfffe
	s_cbranch_vccnz .LBB73_64
; %bb.61:                               ;   in Loop: Header=BB73_4 Depth=1
	s_cmp_lg_u32 s25, 1
	s_mov_b32 s27, 1
	s_cbranch_scc0 .LBB73_63
; %bb.62:                               ;   in Loop: Header=BB73_4 Depth=1
	s_mov_b32 s27, 0
.LBB73_63:                              ;   in Loop: Header=BB73_4 Depth=1
	s_wait_alu 0xfffe
	v_mov_b32_e32 v11, s27
.LBB73_64:                              ;   in Loop: Header=BB73_4 Depth=1
	s_wait_alu 0xfffe
	s_or_b32 exec_lo, exec_lo, s26
	s_and_saveexec_b32 s26, s2
	s_wait_alu 0xfffe
	s_xor_b32 s2, exec_lo, s26
	s_cbranch_execnz .LBB73_68
; %bb.65:                               ;   in Loop: Header=BB73_4 Depth=1
	s_wait_alu 0xfffe
	s_or_b32 exec_lo, exec_lo, s2
	s_and_saveexec_b32 s2, s3
	s_cbranch_execnz .LBB73_69
.LBB73_66:                              ;   in Loop: Header=BB73_4 Depth=1
	s_wait_alu 0xfffe
	s_or_b32 exec_lo, exec_lo, s2
	s_and_saveexec_b32 s2, s4
	s_cbranch_execnz .LBB73_70
.LBB73_67:                              ;   in Loop: Header=BB73_4 Depth=1
	s_wait_alu 0xfffe
	s_or_b32 exec_lo, exec_lo, s2
	s_and_saveexec_b32 s2, s5
	s_cbranch_execz .LBB73_3
	s_branch .LBB73_71
.LBB73_68:                              ;   in Loop: Header=BB73_4 Depth=1
	v_add_co_u32 v1, vcc_lo, s6, v1
	s_wait_alu 0xfffd
	v_add_co_ci_u32_e64 v2, null, s7, v2, vcc_lo
	global_store_b8 v[1:2], v9, off
	s_wait_alu 0xfffe
	s_or_b32 exec_lo, exec_lo, s2
	s_and_saveexec_b32 s2, s3
	s_cbranch_execz .LBB73_66
.LBB73_69:                              ;   in Loop: Header=BB73_4 Depth=1
	v_add_co_u32 v1, vcc_lo, s6, v3
	s_wait_alu 0xfffd
	v_add_co_ci_u32_e64 v2, null, s7, v4, vcc_lo
	global_store_b8 v[1:2], v12, off
	s_wait_alu 0xfffe
	s_or_b32 exec_lo, exec_lo, s2
	s_and_saveexec_b32 s2, s4
	s_cbranch_execz .LBB73_67
.LBB73_70:                              ;   in Loop: Header=BB73_4 Depth=1
	v_add_co_u32 v1, vcc_lo, s6, v5
	s_wait_alu 0xfffd
	v_add_co_ci_u32_e64 v2, null, s7, v6, vcc_lo
	global_store_b8 v[1:2], v13, off
	s_wait_alu 0xfffe
	s_or_b32 exec_lo, exec_lo, s2
	s_and_saveexec_b32 s2, s5
	s_cbranch_execz .LBB73_3
.LBB73_71:                              ;   in Loop: Header=BB73_4 Depth=1
	v_add_co_u32 v1, vcc_lo, s6, v7
	s_wait_alu 0xfffd
	v_add_co_ci_u32_e64 v2, null, s7, v8, vcc_lo
	global_store_b8 v[1:2], v11, off
	s_branch .LBB73_3
.LBB73_72:
	s_mov_b32 s2, 0
.LBB73_73:
	s_wait_alu 0xfffe
	s_and_not1_b32 vcc_lo, exec_lo, s2
	s_wait_alu 0xfffe
	s_cbranch_vccnz .LBB73_129
; %bb.74:
	v_cmp_gt_i64_e64 s2, 0x10000, s[10:11]
	v_dual_mov_b32 v2, 0 :: v_dual_lshlrev_b32 v1, 2, v0
	s_mov_b32 s4, 0
	s_mov_b32 s5, exec_lo
	s_and_b32 s2, s2, exec_lo
	s_cselect_b32 s3, s11, 0
	s_cselect_b32 s2, s10, 0x10000
	s_wait_alu 0xfffe
	v_cmpx_gt_i64_e64 s[2:3], v[1:2]
	s_cbranch_execz .LBB73_129
; %bb.75:
	s_load_b32 s0, s[0:1], 0xc5c
	v_mov_b32_e32 v1, v2
	s_and_b32 s1, s20, 0xff
	s_delay_alu instid0(SALU_CYCLE_1)
	s_and_b32 s10, 0xffff, s1
	s_wait_kmcnt 0x0
	s_and_b32 s5, s0, 0xffff
	s_branch .LBB73_78
.LBB73_76:                              ;   in Loop: Header=BB73_78 Depth=1
	s_wait_alu 0xfffe
	v_mov_b32_e32 v8, s11
.LBB73_77:                              ;   in Loop: Header=BB73_78 Depth=1
	s_wait_alu 0xfffe
	s_or_b32 exec_lo, exec_lo, s0
	v_add_co_u32 v0, vcc_lo, v0, s5
	s_wait_alu 0xfffd
	v_add_co_ci_u32_e64 v1, null, 0, v1, vcc_lo
	v_perm_b32 v6, v4, v6, 0xc0c0004
	v_perm_b32 v7, v7, v8, 0xc0c0004
	v_add_co_u32 v2, s0, s6, v2
	s_delay_alu instid0(VALU_DEP_4) | instskip(SKIP_3) | instid1(VALU_DEP_3)
	v_lshlrev_b64_e32 v[4:5], 2, v[0:1]
	s_wait_alu 0xf1ff
	v_add_co_ci_u32_e64 v3, null, s7, v3, s0
	v_lshl_or_b32 v6, v7, 16, v6
	v_cmp_le_i64_e32 vcc_lo, s[2:3], v[4:5]
	global_store_b32 v[2:3], v6, off
	s_or_b32 s4, vcc_lo, s4
	s_wait_alu 0xfffe
	s_and_not1_b32 exec_lo, exec_lo, s4
	s_cbranch_execz .LBB73_129
.LBB73_78:                              ; =>This Loop Header: Depth=1
                                        ;     Child Loop BB73_81 Depth 2
                                        ;     Child Loop BB73_94 Depth 2
	;; [unrolled: 1-line block ×4, first 2 shown]
	v_lshlrev_b64_e32 v[2:3], 2, v[0:1]
	s_mov_b32 s0, exec_lo
	s_delay_alu instid0(VALU_DEP_1) | instskip(SKIP_1) | instid1(VALU_DEP_2)
	v_add_co_u32 v4, vcc_lo, s8, v2
	s_wait_alu 0xfffd
	v_add_co_ci_u32_e64 v5, null, s9, v3, vcc_lo
	global_load_b32 v5, v[4:5], off
                                        ; implicit-def: $vgpr4
	s_wait_loadcnt 0x0
	v_bfe_i32 v6, v5, 0, 8
	s_delay_alu instid0(VALU_DEP_1)
	v_cmpx_lt_i16_e32 -1, v6
	s_wait_alu 0xfffe
	s_xor_b32 s0, exec_lo, s0
	s_cbranch_execz .LBB73_84
; %bb.79:                               ;   in Loop: Header=BB73_78 Depth=1
	v_mov_b32_e32 v4, 1
	s_mov_b32 s11, exec_lo
	v_cmpx_ne_u16_e32 0, v6
	s_cbranch_execz .LBB73_83
; %bb.80:                               ;   in Loop: Header=BB73_78 Depth=1
	v_mov_b32_e32 v4, 1
	s_mov_b32 s12, 0
	s_mov_b32 s13, s20
.LBB73_81:                              ;   Parent Loop BB73_78 Depth=1
                                        ; =>  This Inner Loop Header: Depth=2
	v_and_b32_e32 v7, 1, v6
	v_bfe_i32 v8, v6, 0, 8
	v_lshrrev_b16 v6, 1, v6
	s_delay_alu instid0(VALU_DEP_3) | instskip(NEXT) | instid1(VALU_DEP_2)
	v_cmp_eq_u32_e32 vcc_lo, 1, v7
	v_and_b32_e32 v6, 0x7f, v6
	s_wait_alu 0xfffc
	v_cndmask_b32_e64 v7, 1, s13, vcc_lo
	v_cmp_gt_i16_e32 vcc_lo, 2, v8
	s_mul_i32 s13, s13, s13
	s_delay_alu instid0(VALU_DEP_2)
	v_mul_lo_u16 v4, v7, v4
	s_or_b32 s12, vcc_lo, s12
	s_wait_alu 0xfffe
	s_and_not1_b32 exec_lo, exec_lo, s12
	s_cbranch_execnz .LBB73_81
; %bb.82:                               ;   in Loop: Header=BB73_78 Depth=1
	s_or_b32 exec_lo, exec_lo, s12
.LBB73_83:                              ;   in Loop: Header=BB73_78 Depth=1
	s_wait_alu 0xfffe
	s_or_b32 exec_lo, exec_lo, s11
                                        ; implicit-def: $vgpr6
.LBB73_84:                              ;   in Loop: Header=BB73_78 Depth=1
	s_wait_alu 0xfffe
	s_and_not1_saveexec_b32 s0, s0
	s_cbranch_execz .LBB73_91
; %bb.85:                               ;   in Loop: Header=BB73_78 Depth=1
	s_cmp_gt_i32 s1, 0xfe
	s_mov_b32 s11, -1
                                        ; implicit-def: $vgpr4
	s_cbranch_scc0 .LBB73_87
; %bb.86:                               ;   in Loop: Header=BB73_78 Depth=1
	v_and_b32_e32 v4, 1, v6
	s_mov_b32 s11, 0
	s_delay_alu instid0(VALU_DEP_1)
	v_cmp_eq_u16_e32 vcc_lo, 0, v4
	s_wait_alu 0xfffd
	v_cndmask_b32_e64 v4, -1, 1, vcc_lo
.LBB73_87:                              ;   in Loop: Header=BB73_78 Depth=1
	s_wait_alu 0xfffe
	s_and_not1_b32 vcc_lo, exec_lo, s11
	s_wait_alu 0xfffe
	s_cbranch_vccnz .LBB73_91
; %bb.88:                               ;   in Loop: Header=BB73_78 Depth=1
	s_cmp_lg_u32 s10, 1
	s_mov_b32 s11, 1
	s_cbranch_scc0 .LBB73_90
; %bb.89:                               ;   in Loop: Header=BB73_78 Depth=1
	s_mov_b32 s11, 0
.LBB73_90:                              ;   in Loop: Header=BB73_78 Depth=1
	s_wait_alu 0xfffe
	v_mov_b32_e32 v4, s11
.LBB73_91:                              ;   in Loop: Header=BB73_78 Depth=1
	s_wait_alu 0xfffe
	s_or_b32 exec_lo, exec_lo, s0
	v_lshrrev_b32_e32 v7, 8, v5
	s_delay_alu instid0(VALU_DEP_1) | instskip(NEXT) | instid1(VALU_DEP_1)
	v_bfe_i32 v6, v7, 0, 8
	v_cmp_lt_i16_e32 vcc_lo, -1, v6
                                        ; implicit-def: $vgpr6
	s_and_saveexec_b32 s0, vcc_lo
	s_wait_alu 0xfffe
	s_xor_b32 s0, exec_lo, s0
	s_cbranch_execz .LBB73_97
; %bb.92:                               ;   in Loop: Header=BB73_78 Depth=1
	v_and_b32_e32 v6, 0xff, v7
	s_delay_alu instid0(VALU_DEP_1)
	v_cmp_ne_u16_e32 vcc_lo, 0, v6
	v_mov_b32_e32 v6, 1
	s_and_saveexec_b32 s11, vcc_lo
	s_cbranch_execz .LBB73_96
; %bb.93:                               ;   in Loop: Header=BB73_78 Depth=1
	v_mov_b32_e32 v6, 1
	s_mov_b32 s12, 0
	s_mov_b32 s13, s20
.LBB73_94:                              ;   Parent Loop BB73_78 Depth=1
                                        ; =>  This Inner Loop Header: Depth=2
	v_and_b32_e32 v8, 1, v7
	v_bfe_i32 v9, v7, 0, 8
	v_lshrrev_b16 v7, 1, v7
	s_delay_alu instid0(VALU_DEP_3) | instskip(NEXT) | instid1(VALU_DEP_2)
	v_cmp_eq_u32_e32 vcc_lo, 1, v8
	v_and_b32_e32 v7, 0x7f, v7
	s_wait_alu 0xfffc
	v_cndmask_b32_e64 v8, 1, s13, vcc_lo
	v_cmp_gt_i16_e32 vcc_lo, 2, v9
	s_mul_i32 s13, s13, s13
	s_delay_alu instid0(VALU_DEP_2)
	v_mul_lo_u16 v6, v8, v6
	s_or_b32 s12, vcc_lo, s12
	s_wait_alu 0xfffe
	s_and_not1_b32 exec_lo, exec_lo, s12
	s_cbranch_execnz .LBB73_94
; %bb.95:                               ;   in Loop: Header=BB73_78 Depth=1
	s_or_b32 exec_lo, exec_lo, s12
.LBB73_96:                              ;   in Loop: Header=BB73_78 Depth=1
	s_wait_alu 0xfffe
	s_or_b32 exec_lo, exec_lo, s11
                                        ; implicit-def: $vgpr7
.LBB73_97:                              ;   in Loop: Header=BB73_78 Depth=1
	s_wait_alu 0xfffe
	s_and_not1_saveexec_b32 s0, s0
	s_cbranch_execz .LBB73_104
; %bb.98:                               ;   in Loop: Header=BB73_78 Depth=1
	s_cmp_gt_i32 s1, 0xfe
	s_mov_b32 s11, -1
                                        ; implicit-def: $vgpr6
	s_cbranch_scc0 .LBB73_100
; %bb.99:                               ;   in Loop: Header=BB73_78 Depth=1
	v_and_b32_e32 v6, 1, v7
	s_mov_b32 s11, 0
	s_delay_alu instid0(VALU_DEP_1)
	v_cmp_eq_u16_e32 vcc_lo, 0, v6
	s_wait_alu 0xfffd
	v_cndmask_b32_e64 v6, -1, 1, vcc_lo
.LBB73_100:                             ;   in Loop: Header=BB73_78 Depth=1
	s_wait_alu 0xfffe
	s_and_not1_b32 vcc_lo, exec_lo, s11
	s_wait_alu 0xfffe
	s_cbranch_vccnz .LBB73_104
; %bb.101:                              ;   in Loop: Header=BB73_78 Depth=1
	s_cmp_lg_u32 s10, 1
	s_mov_b32 s11, 1
	s_cbranch_scc0 .LBB73_103
; %bb.102:                              ;   in Loop: Header=BB73_78 Depth=1
	s_mov_b32 s11, 0
.LBB73_103:                             ;   in Loop: Header=BB73_78 Depth=1
	s_wait_alu 0xfffe
	v_mov_b32_e32 v6, s11
.LBB73_104:                             ;   in Loop: Header=BB73_78 Depth=1
	s_wait_alu 0xfffe
	s_or_b32 exec_lo, exec_lo, s0
	v_lshrrev_b32_e32 v8, 16, v5
	s_delay_alu instid0(VALU_DEP_1) | instskip(NEXT) | instid1(VALU_DEP_1)
	v_bfe_i32 v7, v8, 0, 8
	v_cmp_lt_i16_e32 vcc_lo, -1, v7
                                        ; implicit-def: $vgpr7
	s_and_saveexec_b32 s0, vcc_lo
	s_wait_alu 0xfffe
	s_xor_b32 s0, exec_lo, s0
	s_cbranch_execz .LBB73_110
; %bb.105:                              ;   in Loop: Header=BB73_78 Depth=1
	v_and_b32_e32 v7, 0xff, v8
	s_delay_alu instid0(VALU_DEP_1)
	v_cmp_ne_u16_e32 vcc_lo, 0, v7
	v_mov_b32_e32 v7, 1
	s_and_saveexec_b32 s11, vcc_lo
	s_cbranch_execz .LBB73_109
; %bb.106:                              ;   in Loop: Header=BB73_78 Depth=1
	v_mov_b32_e32 v7, 1
	s_mov_b32 s12, 0
	s_mov_b32 s13, s20
.LBB73_107:                             ;   Parent Loop BB73_78 Depth=1
                                        ; =>  This Inner Loop Header: Depth=2
	v_and_b32_e32 v9, 1, v8
	v_bfe_i32 v10, v8, 0, 8
	v_lshrrev_b16 v8, 1, v8
	s_delay_alu instid0(VALU_DEP_3) | instskip(NEXT) | instid1(VALU_DEP_2)
	v_cmp_eq_u32_e32 vcc_lo, 1, v9
	v_and_b32_e32 v8, 0x7f, v8
	s_wait_alu 0xfffc
	v_cndmask_b32_e64 v9, 1, s13, vcc_lo
	v_cmp_gt_i16_e32 vcc_lo, 2, v10
	s_mul_i32 s13, s13, s13
	s_delay_alu instid0(VALU_DEP_2)
	v_mul_lo_u16 v7, v9, v7
	s_or_b32 s12, vcc_lo, s12
	s_wait_alu 0xfffe
	s_and_not1_b32 exec_lo, exec_lo, s12
	s_cbranch_execnz .LBB73_107
; %bb.108:                              ;   in Loop: Header=BB73_78 Depth=1
	s_or_b32 exec_lo, exec_lo, s12
.LBB73_109:                             ;   in Loop: Header=BB73_78 Depth=1
	s_wait_alu 0xfffe
	s_or_b32 exec_lo, exec_lo, s11
                                        ; implicit-def: $vgpr8
.LBB73_110:                             ;   in Loop: Header=BB73_78 Depth=1
	s_wait_alu 0xfffe
	s_and_not1_saveexec_b32 s0, s0
	s_cbranch_execz .LBB73_117
; %bb.111:                              ;   in Loop: Header=BB73_78 Depth=1
	s_cmp_gt_i32 s1, 0xfe
	s_mov_b32 s11, -1
                                        ; implicit-def: $vgpr7
	s_cbranch_scc0 .LBB73_113
; %bb.112:                              ;   in Loop: Header=BB73_78 Depth=1
	v_and_b32_e32 v7, 1, v8
	s_mov_b32 s11, 0
	s_delay_alu instid0(VALU_DEP_1)
	v_cmp_eq_u16_e32 vcc_lo, 0, v7
	s_wait_alu 0xfffd
	v_cndmask_b32_e64 v7, -1, 1, vcc_lo
.LBB73_113:                             ;   in Loop: Header=BB73_78 Depth=1
	s_wait_alu 0xfffe
	s_and_not1_b32 vcc_lo, exec_lo, s11
	s_wait_alu 0xfffe
	s_cbranch_vccnz .LBB73_117
; %bb.114:                              ;   in Loop: Header=BB73_78 Depth=1
	s_cmp_lg_u32 s10, 1
	s_mov_b32 s11, 1
	s_cbranch_scc0 .LBB73_116
; %bb.115:                              ;   in Loop: Header=BB73_78 Depth=1
	s_mov_b32 s11, 0
.LBB73_116:                             ;   in Loop: Header=BB73_78 Depth=1
	s_wait_alu 0xfffe
	v_mov_b32_e32 v7, s11
.LBB73_117:                             ;   in Loop: Header=BB73_78 Depth=1
	s_wait_alu 0xfffe
	s_or_b32 exec_lo, exec_lo, s0
	s_delay_alu instid0(SALU_CYCLE_1)
	s_mov_b32 s0, exec_lo
                                        ; implicit-def: $vgpr8
	v_cmpx_lt_i32_e32 -1, v5
	s_wait_alu 0xfffe
	s_xor_b32 s0, exec_lo, s0
	s_cbranch_execz .LBB73_123
; %bb.118:                              ;   in Loop: Header=BB73_78 Depth=1
	v_mov_b32_e32 v8, 1
	s_mov_b32 s11, exec_lo
	v_cmpx_lt_u32_e32 0xffffff, v5
	s_cbranch_execz .LBB73_122
; %bb.119:                              ;   in Loop: Header=BB73_78 Depth=1
	v_lshrrev_b32_e32 v5, 24, v5
	v_mov_b32_e32 v8, 1
	s_mov_b32 s12, 0
	s_mov_b32 s13, s20
.LBB73_120:                             ;   Parent Loop BB73_78 Depth=1
                                        ; =>  This Inner Loop Header: Depth=2
	s_delay_alu instid0(VALU_DEP_2) | instskip(SKIP_2) | instid1(VALU_DEP_3)
	v_and_b32_e32 v9, 1, v5
	v_bfe_i32 v10, v5, 0, 8
	v_lshrrev_b16 v5, 1, v5
	v_cmp_eq_u32_e32 vcc_lo, 1, v9
	s_delay_alu instid0(VALU_DEP_2) | instskip(SKIP_4) | instid1(VALU_DEP_2)
	v_and_b32_e32 v5, 0x7f, v5
	s_wait_alu 0xfffc
	v_cndmask_b32_e64 v9, 1, s13, vcc_lo
	v_cmp_gt_i16_e32 vcc_lo, 2, v10
	s_mul_i32 s13, s13, s13
	v_mul_lo_u16 v8, v9, v8
	s_or_b32 s12, vcc_lo, s12
	s_wait_alu 0xfffe
	s_and_not1_b32 exec_lo, exec_lo, s12
	s_cbranch_execnz .LBB73_120
; %bb.121:                              ;   in Loop: Header=BB73_78 Depth=1
	s_or_b32 exec_lo, exec_lo, s12
.LBB73_122:                             ;   in Loop: Header=BB73_78 Depth=1
	s_wait_alu 0xfffe
	s_or_b32 exec_lo, exec_lo, s11
                                        ; implicit-def: $vgpr5
.LBB73_123:                             ;   in Loop: Header=BB73_78 Depth=1
	s_wait_alu 0xfffe
	s_and_not1_saveexec_b32 s0, s0
	s_cbranch_execz .LBB73_77
; %bb.124:                              ;   in Loop: Header=BB73_78 Depth=1
	s_cmp_gt_i32 s1, 0xfe
	s_mov_b32 s11, -1
                                        ; implicit-def: $vgpr8
	s_cbranch_scc0 .LBB73_126
; %bb.125:                              ;   in Loop: Header=BB73_78 Depth=1
	v_lshrrev_b32_e32 v5, 24, v5
	s_mov_b32 s11, 0
	s_delay_alu instid0(VALU_DEP_1) | instskip(NEXT) | instid1(VALU_DEP_1)
	v_and_b32_e32 v5, 1, v5
	v_cmp_eq_u16_e32 vcc_lo, 0, v5
	s_wait_alu 0xfffd
	v_cndmask_b32_e64 v8, -1, 1, vcc_lo
.LBB73_126:                             ;   in Loop: Header=BB73_78 Depth=1
	s_wait_alu 0xfffe
	s_and_not1_b32 vcc_lo, exec_lo, s11
	s_wait_alu 0xfffe
	s_cbranch_vccnz .LBB73_77
; %bb.127:                              ;   in Loop: Header=BB73_78 Depth=1
	s_cmp_lg_u32 s10, 1
	s_mov_b32 s11, 1
	s_cbranch_scc0 .LBB73_76
; %bb.128:                              ;   in Loop: Header=BB73_78 Depth=1
	s_mov_b32 s11, 0
	s_branch .LBB73_76
.LBB73_129:
	s_endpgm
	.section	.rodata,"a",@progbits
	.p2align	6, 0x0
	.amdhsa_kernel _ZN2at6native12_GLOBAL__N_125multi_tensor_apply_kernelINS1_18TensorListMetadataILi2EEENS1_21BinaryOpScalarFunctorIaLi2ELi1ELi1EEEJNS1_21reverse_power_functorIaEEaEEEvT_T0_DpT1_
		.amdhsa_group_segment_fixed_size 0
		.amdhsa_private_segment_fixed_size 0
		.amdhsa_kernarg_size 3408
		.amdhsa_user_sgpr_count 2
		.amdhsa_user_sgpr_dispatch_ptr 0
		.amdhsa_user_sgpr_queue_ptr 0
		.amdhsa_user_sgpr_kernarg_segment_ptr 1
		.amdhsa_user_sgpr_dispatch_id 0
		.amdhsa_user_sgpr_private_segment_size 0
		.amdhsa_wavefront_size32 1
		.amdhsa_uses_dynamic_stack 0
		.amdhsa_enable_private_segment 0
		.amdhsa_system_sgpr_workgroup_id_x 1
		.amdhsa_system_sgpr_workgroup_id_y 0
		.amdhsa_system_sgpr_workgroup_id_z 0
		.amdhsa_system_sgpr_workgroup_info 0
		.amdhsa_system_vgpr_workitem_id 0
		.amdhsa_next_free_vgpr 16
		.amdhsa_next_free_sgpr 30
		.amdhsa_reserve_vcc 1
		.amdhsa_float_round_mode_32 0
		.amdhsa_float_round_mode_16_64 0
		.amdhsa_float_denorm_mode_32 3
		.amdhsa_float_denorm_mode_16_64 3
		.amdhsa_fp16_overflow 0
		.amdhsa_workgroup_processor_mode 1
		.amdhsa_memory_ordered 1
		.amdhsa_forward_progress 1
		.amdhsa_inst_pref_size 27
		.amdhsa_round_robin_scheduling 0
		.amdhsa_exception_fp_ieee_invalid_op 0
		.amdhsa_exception_fp_denorm_src 0
		.amdhsa_exception_fp_ieee_div_zero 0
		.amdhsa_exception_fp_ieee_overflow 0
		.amdhsa_exception_fp_ieee_underflow 0
		.amdhsa_exception_fp_ieee_inexact 0
		.amdhsa_exception_int_div_zero 0
	.end_amdhsa_kernel
	.section	.text._ZN2at6native12_GLOBAL__N_125multi_tensor_apply_kernelINS1_18TensorListMetadataILi2EEENS1_21BinaryOpScalarFunctorIaLi2ELi1ELi1EEEJNS1_21reverse_power_functorIaEEaEEEvT_T0_DpT1_,"axG",@progbits,_ZN2at6native12_GLOBAL__N_125multi_tensor_apply_kernelINS1_18TensorListMetadataILi2EEENS1_21BinaryOpScalarFunctorIaLi2ELi1ELi1EEEJNS1_21reverse_power_functorIaEEaEEEvT_T0_DpT1_,comdat
.Lfunc_end73:
	.size	_ZN2at6native12_GLOBAL__N_125multi_tensor_apply_kernelINS1_18TensorListMetadataILi2EEENS1_21BinaryOpScalarFunctorIaLi2ELi1ELi1EEEJNS1_21reverse_power_functorIaEEaEEEvT_T0_DpT1_, .Lfunc_end73-_ZN2at6native12_GLOBAL__N_125multi_tensor_apply_kernelINS1_18TensorListMetadataILi2EEENS1_21BinaryOpScalarFunctorIaLi2ELi1ELi1EEEJNS1_21reverse_power_functorIaEEaEEEvT_T0_DpT1_
                                        ; -- End function
	.set _ZN2at6native12_GLOBAL__N_125multi_tensor_apply_kernelINS1_18TensorListMetadataILi2EEENS1_21BinaryOpScalarFunctorIaLi2ELi1ELi1EEEJNS1_21reverse_power_functorIaEEaEEEvT_T0_DpT1_.num_vgpr, 16
	.set _ZN2at6native12_GLOBAL__N_125multi_tensor_apply_kernelINS1_18TensorListMetadataILi2EEENS1_21BinaryOpScalarFunctorIaLi2ELi1ELi1EEEJNS1_21reverse_power_functorIaEEaEEEvT_T0_DpT1_.num_agpr, 0
	.set _ZN2at6native12_GLOBAL__N_125multi_tensor_apply_kernelINS1_18TensorListMetadataILi2EEENS1_21BinaryOpScalarFunctorIaLi2ELi1ELi1EEEJNS1_21reverse_power_functorIaEEaEEEvT_T0_DpT1_.numbered_sgpr, 30
	.set _ZN2at6native12_GLOBAL__N_125multi_tensor_apply_kernelINS1_18TensorListMetadataILi2EEENS1_21BinaryOpScalarFunctorIaLi2ELi1ELi1EEEJNS1_21reverse_power_functorIaEEaEEEvT_T0_DpT1_.num_named_barrier, 0
	.set _ZN2at6native12_GLOBAL__N_125multi_tensor_apply_kernelINS1_18TensorListMetadataILi2EEENS1_21BinaryOpScalarFunctorIaLi2ELi1ELi1EEEJNS1_21reverse_power_functorIaEEaEEEvT_T0_DpT1_.private_seg_size, 0
	.set _ZN2at6native12_GLOBAL__N_125multi_tensor_apply_kernelINS1_18TensorListMetadataILi2EEENS1_21BinaryOpScalarFunctorIaLi2ELi1ELi1EEEJNS1_21reverse_power_functorIaEEaEEEvT_T0_DpT1_.uses_vcc, 1
	.set _ZN2at6native12_GLOBAL__N_125multi_tensor_apply_kernelINS1_18TensorListMetadataILi2EEENS1_21BinaryOpScalarFunctorIaLi2ELi1ELi1EEEJNS1_21reverse_power_functorIaEEaEEEvT_T0_DpT1_.uses_flat_scratch, 0
	.set _ZN2at6native12_GLOBAL__N_125multi_tensor_apply_kernelINS1_18TensorListMetadataILi2EEENS1_21BinaryOpScalarFunctorIaLi2ELi1ELi1EEEJNS1_21reverse_power_functorIaEEaEEEvT_T0_DpT1_.has_dyn_sized_stack, 0
	.set _ZN2at6native12_GLOBAL__N_125multi_tensor_apply_kernelINS1_18TensorListMetadataILi2EEENS1_21BinaryOpScalarFunctorIaLi2ELi1ELi1EEEJNS1_21reverse_power_functorIaEEaEEEvT_T0_DpT1_.has_recursion, 0
	.set _ZN2at6native12_GLOBAL__N_125multi_tensor_apply_kernelINS1_18TensorListMetadataILi2EEENS1_21BinaryOpScalarFunctorIaLi2ELi1ELi1EEEJNS1_21reverse_power_functorIaEEaEEEvT_T0_DpT1_.has_indirect_call, 0
	.section	.AMDGPU.csdata,"",@progbits
; Kernel info:
; codeLenInByte = 3344
; TotalNumSgprs: 32
; NumVgprs: 16
; ScratchSize: 0
; MemoryBound: 0
; FloatMode: 240
; IeeeMode: 1
; LDSByteSize: 0 bytes/workgroup (compile time only)
; SGPRBlocks: 0
; VGPRBlocks: 1
; NumSGPRsForWavesPerEU: 32
; NumVGPRsForWavesPerEU: 16
; Occupancy: 16
; WaveLimiterHint : 0
; COMPUTE_PGM_RSRC2:SCRATCH_EN: 0
; COMPUTE_PGM_RSRC2:USER_SGPR: 2
; COMPUTE_PGM_RSRC2:TRAP_HANDLER: 0
; COMPUTE_PGM_RSRC2:TGID_X_EN: 1
; COMPUTE_PGM_RSRC2:TGID_Y_EN: 0
; COMPUTE_PGM_RSRC2:TGID_Z_EN: 0
; COMPUTE_PGM_RSRC2:TIDIG_COMP_CNT: 0
	.section	.text._ZN2at6native12_GLOBAL__N_125multi_tensor_apply_kernelINS1_18TensorListMetadataILi2EEENS1_21BinaryOpScalarFunctorIiLi2ELi1ELi1EEEJNS1_21reverse_power_functorIiEEiEEEvT_T0_DpT1_,"axG",@progbits,_ZN2at6native12_GLOBAL__N_125multi_tensor_apply_kernelINS1_18TensorListMetadataILi2EEENS1_21BinaryOpScalarFunctorIiLi2ELi1ELi1EEEJNS1_21reverse_power_functorIiEEiEEEvT_T0_DpT1_,comdat
	.globl	_ZN2at6native12_GLOBAL__N_125multi_tensor_apply_kernelINS1_18TensorListMetadataILi2EEENS1_21BinaryOpScalarFunctorIiLi2ELi1ELi1EEEJNS1_21reverse_power_functorIiEEiEEEvT_T0_DpT1_ ; -- Begin function _ZN2at6native12_GLOBAL__N_125multi_tensor_apply_kernelINS1_18TensorListMetadataILi2EEENS1_21BinaryOpScalarFunctorIiLi2ELi1ELi1EEEJNS1_21reverse_power_functorIiEEiEEEvT_T0_DpT1_
	.p2align	8
	.type	_ZN2at6native12_GLOBAL__N_125multi_tensor_apply_kernelINS1_18TensorListMetadataILi2EEENS1_21BinaryOpScalarFunctorIiLi2ELi1ELi1EEEJNS1_21reverse_power_functorIiEEiEEEvT_T0_DpT1_,@function
_ZN2at6native12_GLOBAL__N_125multi_tensor_apply_kernelINS1_18TensorListMetadataILi2EEENS1_21BinaryOpScalarFunctorIiLi2ELi1ELi1EEEJNS1_21reverse_power_functorIiEEiEEEvT_T0_DpT1_: ; @_ZN2at6native12_GLOBAL__N_125multi_tensor_apply_kernelINS1_18TensorListMetadataILi2EEENS1_21BinaryOpScalarFunctorIiLi2ELi1ELi1EEEJNS1_21reverse_power_functorIiEEiEEEvT_T0_DpT1_
; %bb.0:
	s_load_u8 s8, s[0:1], ttmp9 offset:0x600
	s_mov_b32 s2, ttmp9
	s_mov_b32 s3, 0
	s_delay_alu instid0(SALU_CYCLE_1)
	s_mul_u64 s[4:5], s[2:3], 3
	s_add_nc_u64 s[6:7], s[0:1], s[2:3]
	s_mov_b32 s15, s3
	s_add_nc_u64 s[4:5], s[6:7], s[4:5]
	s_load_b32 s4, s[4:5], 0x740
	s_wait_kmcnt 0x0
	s_lshl_b32 s2, s8, 3
	s_clause 0x3
	s_load_b64 s[6:7], s[0:1], s2 offset:0x0
	s_load_b64 s[8:9], s[0:1], s2 offset:0x200
	;; [unrolled: 1-line block ×3, first 2 shown]
	s_load_b32 s20, s[0:1], 0xc4c
	s_ashr_i32 s5, s4, 31
	s_delay_alu instid0(SALU_CYCLE_1)
	s_lshl_b64 s[12:13], s[4:5], 18
	s_lshl_b64 s[4:5], s[4:5], 16
	s_wait_kmcnt 0x0
	s_add_nc_u64 s[6:7], s[6:7], s[12:13]
	s_add_nc_u64 s[8:9], s[8:9], s[12:13]
	s_and_b32 s12, s10, 3
	s_and_b32 s14, s8, 15
	s_mov_b32 s13, s3
	s_and_b32 s2, s6, 15
	s_or_b64 s[12:13], s[14:15], s[12:13]
	s_sub_nc_u64 s[10:11], s[10:11], s[4:5]
	s_or_b64 s[2:3], s[12:13], s[2:3]
	s_delay_alu instid0(SALU_CYCLE_1)
	s_cmp_eq_u64 s[2:3], 0
	s_mov_b32 s2, -1
	s_cbranch_scc1 .LBB74_81
; %bb.1:
	v_cmp_lt_i64_e64 s2, s[10:11], 1
	s_and_b32 vcc_lo, exec_lo, s2
	s_cbranch_vccnz .LBB74_80
; %bb.2:
	s_load_b32 s2, s[0:1], 0xc5c
	v_cmp_gt_i64_e64 s3, 0x10000, s[10:11]
	v_cmp_gt_u64_e64 s4, 0x10000, s[10:11]
	s_mov_b32 s13, 0
	s_mov_b64 s[18:19], 0
	s_and_b32 s3, s3, exec_lo
	s_cselect_b32 s15, s11, 0
	s_cselect_b32 s14, s10, 0x10000
	s_wait_kmcnt 0x0
	s_and_b32 s21, s2, 0xffff
	s_and_b32 s2, s4, exec_lo
	s_cselect_b32 s17, s11, 0
	s_cselect_b32 s16, s10, 0x10000
	s_lshl_b32 s22, s21, 1
	s_mul_i32 s23, s21, 3
	s_lshl_b32 s12, s21, 2
	s_branch .LBB74_4
.LBB74_3:                               ;   in Loop: Header=BB74_4 Depth=1
	s_wait_alu 0xfffe
	s_or_b32 exec_lo, exec_lo, s2
	s_add_nc_u64 s[18:19], s[18:19], s[12:13]
	s_wait_alu 0xfffe
	v_cmp_ge_i64_e64 s2, s[18:19], s[14:15]
	s_and_b32 vcc_lo, exec_lo, s2
	s_wait_alu 0xfffe
	s_cbranch_vccnz .LBB74_80
.LBB74_4:                               ; =>This Loop Header: Depth=1
                                        ;     Child Loop BB74_15 Depth 2
                                        ;     Child Loop BB74_27 Depth 2
	;; [unrolled: 1-line block ×4, first 2 shown]
	v_add_co_u32 v7, s2, s18, v0
	s_wait_alu 0xf1ff
	v_add_co_ci_u32_e64 v8, null, s19, 0, s2
	v_mov_b32_e32 v12, 0
	s_delay_alu instid0(VALU_DEP_2)
	v_cmp_gt_u64_e64 s2, s[16:17], v[7:8]
	v_lshlrev_b64_e32 v[1:2], 2, v[7:8]
	s_and_saveexec_b32 s3, s2
	s_cbranch_execz .LBB74_6
; %bb.5:                                ;   in Loop: Header=BB74_4 Depth=1
	s_delay_alu instid0(VALU_DEP_1) | instskip(SKIP_1) | instid1(VALU_DEP_2)
	v_add_co_u32 v3, vcc_lo, s6, v1
	s_wait_alu 0xfffd
	v_add_co_ci_u32_e64 v4, null, s7, v2, vcc_lo
	global_load_b32 v12, v[3:4], off
.LBB74_6:                               ;   in Loop: Header=BB74_4 Depth=1
	s_wait_alu 0xfffe
	s_or_b32 exec_lo, exec_lo, s3
	v_add_co_u32 v3, vcc_lo, v7, s21
	s_wait_alu 0xfffd
	v_add_co_ci_u32_e64 v4, null, 0, v8, vcc_lo
	v_mov_b32_e32 v11, 0
	v_mov_b32_e32 v13, 0
	s_delay_alu instid0(VALU_DEP_3)
	v_cmp_gt_u64_e64 s3, s[16:17], v[3:4]
	v_lshlrev_b64_e32 v[3:4], 2, v[3:4]
	s_and_saveexec_b32 s4, s3
	s_cbranch_execz .LBB74_8
; %bb.7:                                ;   in Loop: Header=BB74_4 Depth=1
	s_delay_alu instid0(VALU_DEP_1) | instskip(SKIP_1) | instid1(VALU_DEP_2)
	v_add_co_u32 v5, vcc_lo, s6, v3
	s_wait_alu 0xfffd
	v_add_co_ci_u32_e64 v6, null, s7, v4, vcc_lo
	global_load_b32 v13, v[5:6], off
.LBB74_8:                               ;   in Loop: Header=BB74_4 Depth=1
	s_or_b32 exec_lo, exec_lo, s4
	v_add_co_u32 v5, vcc_lo, v7, s22
	s_wait_alu 0xfffd
	v_add_co_ci_u32_e64 v6, null, 0, v8, vcc_lo
	s_delay_alu instid0(VALU_DEP_1)
	v_cmp_gt_u64_e64 s4, s[16:17], v[5:6]
	v_lshlrev_b64_e32 v[5:6], 2, v[5:6]
	s_and_saveexec_b32 s5, s4
	s_cbranch_execz .LBB74_10
; %bb.9:                                ;   in Loop: Header=BB74_4 Depth=1
	s_delay_alu instid0(VALU_DEP_1) | instskip(SKIP_1) | instid1(VALU_DEP_2)
	v_add_co_u32 v9, vcc_lo, s6, v5
	s_wait_alu 0xfffd
	v_add_co_ci_u32_e64 v10, null, s7, v6, vcc_lo
	global_load_b32 v11, v[9:10], off
.LBB74_10:                              ;   in Loop: Header=BB74_4 Depth=1
	s_or_b32 exec_lo, exec_lo, s5
	v_add_co_u32 v7, vcc_lo, v7, s23
	s_wait_alu 0xfffd
	v_add_co_ci_u32_e64 v8, null, 0, v8, vcc_lo
	v_mov_b32_e32 v9, 0
	s_delay_alu instid0(VALU_DEP_2)
	v_cmp_gt_u64_e64 s5, s[16:17], v[7:8]
	v_lshlrev_b64_e32 v[7:8], 2, v[7:8]
	s_and_saveexec_b32 s24, s5
	s_cbranch_execz .LBB74_12
; %bb.11:                               ;   in Loop: Header=BB74_4 Depth=1
	s_delay_alu instid0(VALU_DEP_1) | instskip(SKIP_1) | instid1(VALU_DEP_2)
	v_add_co_u32 v9, vcc_lo, s6, v7
	s_wait_alu 0xfffd
	v_add_co_ci_u32_e64 v10, null, s7, v8, vcc_lo
	global_load_b32 v9, v[9:10], off
.LBB74_12:                              ;   in Loop: Header=BB74_4 Depth=1
	s_or_b32 exec_lo, exec_lo, s24
	s_delay_alu instid0(SALU_CYCLE_1)
	s_mov_b32 s24, exec_lo
                                        ; implicit-def: $vgpr10
	s_wait_loadcnt 0x0
	v_cmpx_lt_i32_e32 -1, v12
	s_xor_b32 s24, exec_lo, s24
	s_cbranch_execz .LBB74_18
; %bb.13:                               ;   in Loop: Header=BB74_4 Depth=1
	v_mov_b32_e32 v10, 1
	s_mov_b32 s25, exec_lo
	v_cmpx_ne_u32_e32 0, v12
	s_cbranch_execz .LBB74_17
; %bb.14:                               ;   in Loop: Header=BB74_4 Depth=1
	v_mov_b32_e32 v10, 1
	s_mov_b32 s26, 0
	s_mov_b32 s27, s20
.LBB74_15:                              ;   Parent Loop BB74_4 Depth=1
                                        ; =>  This Inner Loop Header: Depth=2
	v_and_b32_e32 v14, 1, v12
	v_lshrrev_b32_e32 v15, 1, v12
	s_delay_alu instid0(VALU_DEP_2)
	v_cmp_eq_u32_e32 vcc_lo, 1, v14
	s_wait_alu 0xfffc
	v_cndmask_b32_e64 v14, 1, s27, vcc_lo
	v_cmp_gt_u32_e32 vcc_lo, 2, v12
	v_mov_b32_e32 v12, v15
	s_mul_i32 s27, s27, s27
	s_delay_alu instid0(VALU_DEP_3)
	v_mul_lo_u32 v10, v14, v10
	s_or_b32 s26, vcc_lo, s26
	s_wait_alu 0xfffe
	s_and_not1_b32 exec_lo, exec_lo, s26
	s_cbranch_execnz .LBB74_15
; %bb.16:                               ;   in Loop: Header=BB74_4 Depth=1
	s_or_b32 exec_lo, exec_lo, s26
.LBB74_17:                              ;   in Loop: Header=BB74_4 Depth=1
	s_delay_alu instid0(SALU_CYCLE_1)
	s_or_b32 exec_lo, exec_lo, s25
                                        ; implicit-def: $vgpr12
.LBB74_18:                              ;   in Loop: Header=BB74_4 Depth=1
	s_and_not1_saveexec_b32 s24, s24
	s_cbranch_execz .LBB74_24
; %bb.19:                               ;   in Loop: Header=BB74_4 Depth=1
	s_mov_b32 s27, -1
	s_mov_b32 s25, 0
	s_cmp_lt_i32 s20, 1
	s_mov_b32 s26, 0
	s_cbranch_scc0 .LBB74_68
; %bb.20:                               ;   in Loop: Header=BB74_4 Depth=1
	s_wait_alu 0xfffe
	s_and_not1_b32 vcc_lo, exec_lo, s27
	s_wait_alu 0xfffe
	s_cbranch_vccz .LBB74_69
.LBB74_21:                              ;   in Loop: Header=BB74_4 Depth=1
	s_wait_alu 0xfffe
	s_and_not1_b32 vcc_lo, exec_lo, s26
	s_mov_b32 s26, s20
	s_wait_alu 0xfffe
	s_cbranch_vccz .LBB74_70
.LBB74_22:                              ;   in Loop: Header=BB74_4 Depth=1
	v_mov_b32_e32 v10, s26
	s_and_not1_b32 vcc_lo, exec_lo, s25
	s_wait_alu 0xfffe
	s_cbranch_vccnz .LBB74_24
.LBB74_23:                              ;   in Loop: Header=BB74_4 Depth=1
	v_and_b32_e32 v10, 1, v12
	s_delay_alu instid0(VALU_DEP_1)
	v_cmp_eq_u32_e32 vcc_lo, 0, v10
	s_wait_alu 0xfffd
	v_cndmask_b32_e64 v10, -1, 1, vcc_lo
.LBB74_24:                              ;   in Loop: Header=BB74_4 Depth=1
	s_or_b32 exec_lo, exec_lo, s24
	s_delay_alu instid0(SALU_CYCLE_1)
	s_mov_b32 s24, exec_lo
                                        ; implicit-def: $vgpr12
	v_cmpx_lt_i32_e32 -1, v13
	s_xor_b32 s24, exec_lo, s24
	s_cbranch_execz .LBB74_30
; %bb.25:                               ;   in Loop: Header=BB74_4 Depth=1
	v_mov_b32_e32 v12, 1
	s_mov_b32 s25, exec_lo
	v_cmpx_ne_u32_e32 0, v13
	s_cbranch_execz .LBB74_29
; %bb.26:                               ;   in Loop: Header=BB74_4 Depth=1
	v_mov_b32_e32 v12, 1
	s_mov_b32 s26, 0
	s_mov_b32 s27, s20
.LBB74_27:                              ;   Parent Loop BB74_4 Depth=1
                                        ; =>  This Inner Loop Header: Depth=2
	v_lshrrev_b32_e32 v15, 1, v13
	v_and_b32_e32 v14, 1, v13
	s_delay_alu instid0(VALU_DEP_1)
	v_cmp_eq_u32_e32 vcc_lo, 1, v14
	s_wait_alu 0xfffc
	v_cndmask_b32_e64 v14, 1, s27, vcc_lo
	v_cmp_gt_u32_e32 vcc_lo, 2, v13
	v_mov_b32_e32 v13, v15
	s_mul_i32 s27, s27, s27
	s_delay_alu instid0(VALU_DEP_3)
	v_mul_lo_u32 v12, v14, v12
	s_or_b32 s26, vcc_lo, s26
	s_wait_alu 0xfffe
	s_and_not1_b32 exec_lo, exec_lo, s26
	s_cbranch_execnz .LBB74_27
; %bb.28:                               ;   in Loop: Header=BB74_4 Depth=1
	s_or_b32 exec_lo, exec_lo, s26
.LBB74_29:                              ;   in Loop: Header=BB74_4 Depth=1
	s_delay_alu instid0(SALU_CYCLE_1)
	s_or_b32 exec_lo, exec_lo, s25
                                        ; implicit-def: $vgpr13
.LBB74_30:                              ;   in Loop: Header=BB74_4 Depth=1
	s_and_not1_saveexec_b32 s24, s24
	s_cbranch_execz .LBB74_36
; %bb.31:                               ;   in Loop: Header=BB74_4 Depth=1
	s_mov_b32 s27, -1
	s_mov_b32 s25, 0
	s_cmp_lt_i32 s20, 1
	s_mov_b32 s26, 0
	s_cbranch_scc0 .LBB74_71
; %bb.32:                               ;   in Loop: Header=BB74_4 Depth=1
	s_wait_alu 0xfffe
	s_and_not1_b32 vcc_lo, exec_lo, s27
	s_wait_alu 0xfffe
	s_cbranch_vccz .LBB74_72
.LBB74_33:                              ;   in Loop: Header=BB74_4 Depth=1
	s_wait_alu 0xfffe
	s_and_not1_b32 vcc_lo, exec_lo, s26
	s_mov_b32 s26, s20
	s_wait_alu 0xfffe
	s_cbranch_vccz .LBB74_73
.LBB74_34:                              ;   in Loop: Header=BB74_4 Depth=1
	v_mov_b32_e32 v12, s26
	s_and_not1_b32 vcc_lo, exec_lo, s25
	s_wait_alu 0xfffe
	s_cbranch_vccnz .LBB74_36
.LBB74_35:                              ;   in Loop: Header=BB74_4 Depth=1
	v_and_b32_e32 v12, 1, v13
	s_delay_alu instid0(VALU_DEP_1)
	v_cmp_eq_u32_e32 vcc_lo, 0, v12
	s_wait_alu 0xfffd
	v_cndmask_b32_e64 v12, -1, 1, vcc_lo
.LBB74_36:                              ;   in Loop: Header=BB74_4 Depth=1
	s_or_b32 exec_lo, exec_lo, s24
	s_delay_alu instid0(SALU_CYCLE_1)
	s_mov_b32 s24, exec_lo
                                        ; implicit-def: $vgpr13
	v_cmpx_lt_i32_e32 -1, v11
	s_xor_b32 s24, exec_lo, s24
	s_cbranch_execz .LBB74_42
; %bb.37:                               ;   in Loop: Header=BB74_4 Depth=1
	v_mov_b32_e32 v13, 1
	s_mov_b32 s25, exec_lo
	v_cmpx_ne_u32_e32 0, v11
	s_cbranch_execz .LBB74_41
; %bb.38:                               ;   in Loop: Header=BB74_4 Depth=1
	v_mov_b32_e32 v13, 1
	s_mov_b32 s26, 0
	s_mov_b32 s27, s20
.LBB74_39:                              ;   Parent Loop BB74_4 Depth=1
                                        ; =>  This Inner Loop Header: Depth=2
	v_lshrrev_b32_e32 v15, 1, v11
	v_and_b32_e32 v14, 1, v11
	s_delay_alu instid0(VALU_DEP_1)
	v_cmp_eq_u32_e32 vcc_lo, 1, v14
	s_wait_alu 0xfffc
	v_cndmask_b32_e64 v14, 1, s27, vcc_lo
	v_cmp_gt_u32_e32 vcc_lo, 2, v11
	v_mov_b32_e32 v11, v15
	s_mul_i32 s27, s27, s27
	s_delay_alu instid0(VALU_DEP_3)
	v_mul_lo_u32 v13, v14, v13
	s_or_b32 s26, vcc_lo, s26
	s_wait_alu 0xfffe
	s_and_not1_b32 exec_lo, exec_lo, s26
	s_cbranch_execnz .LBB74_39
; %bb.40:                               ;   in Loop: Header=BB74_4 Depth=1
	s_or_b32 exec_lo, exec_lo, s26
.LBB74_41:                              ;   in Loop: Header=BB74_4 Depth=1
	s_delay_alu instid0(SALU_CYCLE_1)
	s_or_b32 exec_lo, exec_lo, s25
                                        ; implicit-def: $vgpr11
.LBB74_42:                              ;   in Loop: Header=BB74_4 Depth=1
	s_and_not1_saveexec_b32 s24, s24
	s_cbranch_execz .LBB74_48
; %bb.43:                               ;   in Loop: Header=BB74_4 Depth=1
	s_mov_b32 s27, -1
	s_mov_b32 s25, 0
	s_cmp_lt_i32 s20, 1
	s_mov_b32 s26, 0
	s_cbranch_scc0 .LBB74_74
; %bb.44:                               ;   in Loop: Header=BB74_4 Depth=1
	s_wait_alu 0xfffe
	s_and_not1_b32 vcc_lo, exec_lo, s27
	s_wait_alu 0xfffe
	s_cbranch_vccz .LBB74_75
.LBB74_45:                              ;   in Loop: Header=BB74_4 Depth=1
	s_wait_alu 0xfffe
	s_and_not1_b32 vcc_lo, exec_lo, s26
	s_mov_b32 s26, s20
	s_wait_alu 0xfffe
	s_cbranch_vccz .LBB74_76
.LBB74_46:                              ;   in Loop: Header=BB74_4 Depth=1
	v_mov_b32_e32 v13, s26
	s_and_not1_b32 vcc_lo, exec_lo, s25
	s_wait_alu 0xfffe
	s_cbranch_vccnz .LBB74_48
.LBB74_47:                              ;   in Loop: Header=BB74_4 Depth=1
	v_and_b32_e32 v11, 1, v11
	s_delay_alu instid0(VALU_DEP_1)
	v_cmp_eq_u32_e32 vcc_lo, 0, v11
	s_wait_alu 0xfffd
	v_cndmask_b32_e64 v13, -1, 1, vcc_lo
.LBB74_48:                              ;   in Loop: Header=BB74_4 Depth=1
	s_or_b32 exec_lo, exec_lo, s24
	s_delay_alu instid0(SALU_CYCLE_1)
	s_mov_b32 s24, exec_lo
                                        ; implicit-def: $vgpr11
	v_cmpx_lt_i32_e32 -1, v9
	s_xor_b32 s24, exec_lo, s24
	s_cbranch_execz .LBB74_54
; %bb.49:                               ;   in Loop: Header=BB74_4 Depth=1
	v_mov_b32_e32 v11, 1
	s_mov_b32 s25, exec_lo
	v_cmpx_ne_u32_e32 0, v9
	s_cbranch_execz .LBB74_53
; %bb.50:                               ;   in Loop: Header=BB74_4 Depth=1
	v_mov_b32_e32 v11, 1
	s_mov_b32 s26, 0
	s_mov_b32 s27, s20
.LBB74_51:                              ;   Parent Loop BB74_4 Depth=1
                                        ; =>  This Inner Loop Header: Depth=2
	v_lshrrev_b32_e32 v15, 1, v9
	v_and_b32_e32 v14, 1, v9
	s_delay_alu instid0(VALU_DEP_1)
	v_cmp_eq_u32_e32 vcc_lo, 1, v14
	s_wait_alu 0xfffc
	v_cndmask_b32_e64 v14, 1, s27, vcc_lo
	v_cmp_gt_u32_e32 vcc_lo, 2, v9
	v_mov_b32_e32 v9, v15
	s_mul_i32 s27, s27, s27
	s_delay_alu instid0(VALU_DEP_3)
	v_mul_lo_u32 v11, v14, v11
	s_or_b32 s26, vcc_lo, s26
	s_wait_alu 0xfffe
	s_and_not1_b32 exec_lo, exec_lo, s26
	s_cbranch_execnz .LBB74_51
; %bb.52:                               ;   in Loop: Header=BB74_4 Depth=1
	s_or_b32 exec_lo, exec_lo, s26
.LBB74_53:                              ;   in Loop: Header=BB74_4 Depth=1
	s_delay_alu instid0(SALU_CYCLE_1)
	s_or_b32 exec_lo, exec_lo, s25
                                        ; implicit-def: $vgpr9
.LBB74_54:                              ;   in Loop: Header=BB74_4 Depth=1
	s_and_not1_saveexec_b32 s24, s24
	s_cbranch_execz .LBB74_60
; %bb.55:                               ;   in Loop: Header=BB74_4 Depth=1
	s_mov_b32 s27, -1
	s_mov_b32 s25, 0
	s_cmp_lt_i32 s20, 1
	s_mov_b32 s26, 0
	s_cbranch_scc0 .LBB74_77
; %bb.56:                               ;   in Loop: Header=BB74_4 Depth=1
	s_wait_alu 0xfffe
	s_and_not1_b32 vcc_lo, exec_lo, s27
	s_wait_alu 0xfffe
	s_cbranch_vccz .LBB74_78
.LBB74_57:                              ;   in Loop: Header=BB74_4 Depth=1
	s_wait_alu 0xfffe
	s_and_not1_b32 vcc_lo, exec_lo, s26
	s_mov_b32 s26, s20
	s_wait_alu 0xfffe
	s_cbranch_vccz .LBB74_79
.LBB74_58:                              ;   in Loop: Header=BB74_4 Depth=1
	v_mov_b32_e32 v11, s26
	s_and_not1_b32 vcc_lo, exec_lo, s25
	s_wait_alu 0xfffe
	s_cbranch_vccnz .LBB74_60
.LBB74_59:                              ;   in Loop: Header=BB74_4 Depth=1
	v_and_b32_e32 v9, 1, v9
	s_delay_alu instid0(VALU_DEP_1)
	v_cmp_eq_u32_e32 vcc_lo, 0, v9
	s_wait_alu 0xfffd
	v_cndmask_b32_e64 v11, -1, 1, vcc_lo
.LBB74_60:                              ;   in Loop: Header=BB74_4 Depth=1
	s_or_b32 exec_lo, exec_lo, s24
	s_and_saveexec_b32 s24, s2
	s_delay_alu instid0(SALU_CYCLE_1)
	s_xor_b32 s2, exec_lo, s24
	s_cbranch_execnz .LBB74_64
; %bb.61:                               ;   in Loop: Header=BB74_4 Depth=1
	s_wait_alu 0xfffe
	s_or_b32 exec_lo, exec_lo, s2
	s_and_saveexec_b32 s2, s3
	s_cbranch_execnz .LBB74_65
.LBB74_62:                              ;   in Loop: Header=BB74_4 Depth=1
	s_wait_alu 0xfffe
	s_or_b32 exec_lo, exec_lo, s2
	s_and_saveexec_b32 s2, s4
	s_cbranch_execnz .LBB74_66
.LBB74_63:                              ;   in Loop: Header=BB74_4 Depth=1
	s_wait_alu 0xfffe
	s_or_b32 exec_lo, exec_lo, s2
	s_and_saveexec_b32 s2, s5
	s_cbranch_execz .LBB74_3
	s_branch .LBB74_67
.LBB74_64:                              ;   in Loop: Header=BB74_4 Depth=1
	v_add_co_u32 v1, vcc_lo, s8, v1
	s_wait_alu 0xfffd
	v_add_co_ci_u32_e64 v2, null, s9, v2, vcc_lo
	global_store_b32 v[1:2], v10, off
	s_wait_alu 0xfffe
	s_or_b32 exec_lo, exec_lo, s2
	s_and_saveexec_b32 s2, s3
	s_cbranch_execz .LBB74_62
.LBB74_65:                              ;   in Loop: Header=BB74_4 Depth=1
	v_add_co_u32 v1, vcc_lo, s8, v3
	s_wait_alu 0xfffd
	v_add_co_ci_u32_e64 v2, null, s9, v4, vcc_lo
	global_store_b32 v[1:2], v12, off
	s_wait_alu 0xfffe
	s_or_b32 exec_lo, exec_lo, s2
	s_and_saveexec_b32 s2, s4
	s_cbranch_execz .LBB74_63
.LBB74_66:                              ;   in Loop: Header=BB74_4 Depth=1
	v_add_co_u32 v1, vcc_lo, s8, v5
	s_wait_alu 0xfffd
	v_add_co_ci_u32_e64 v2, null, s9, v6, vcc_lo
	global_store_b32 v[1:2], v13, off
	s_wait_alu 0xfffe
	s_or_b32 exec_lo, exec_lo, s2
	s_and_saveexec_b32 s2, s5
	s_cbranch_execz .LBB74_3
.LBB74_67:                              ;   in Loop: Header=BB74_4 Depth=1
	v_add_co_u32 v1, vcc_lo, s8, v7
	s_wait_alu 0xfffd
	v_add_co_ci_u32_e64 v2, null, s9, v8, vcc_lo
	global_store_b32 v[1:2], v11, off
	s_branch .LBB74_3
.LBB74_68:                              ;   in Loop: Header=BB74_4 Depth=1
	s_cmp_lg_u32 s20, 1
	s_cselect_b32 s26, -1, 0
	s_cbranch_execnz .LBB74_21
.LBB74_69:                              ;   in Loop: Header=BB74_4 Depth=1
	s_cmp_lg_u32 s20, -1
	s_mov_b32 s25, -1
	s_cselect_b32 s26, -1, 0
	s_wait_alu 0xfffe
	s_and_not1_b32 vcc_lo, exec_lo, s26
	s_mov_b32 s26, s20
	s_wait_alu 0xfffe
	s_cbranch_vccnz .LBB74_22
.LBB74_70:                              ;   in Loop: Header=BB74_4 Depth=1
	s_mov_b32 s26, 0
	s_wait_alu 0xfffe
	v_mov_b32_e32 v10, s26
	s_cbranch_execz .LBB74_23
	s_branch .LBB74_24
.LBB74_71:                              ;   in Loop: Header=BB74_4 Depth=1
	s_cmp_lg_u32 s20, 1
	s_cselect_b32 s26, -1, 0
	s_cbranch_execnz .LBB74_33
.LBB74_72:                              ;   in Loop: Header=BB74_4 Depth=1
	s_cmp_lg_u32 s20, -1
	s_mov_b32 s25, -1
	s_cselect_b32 s26, -1, 0
	s_wait_alu 0xfffe
	s_and_not1_b32 vcc_lo, exec_lo, s26
	s_mov_b32 s26, s20
	s_wait_alu 0xfffe
	s_cbranch_vccnz .LBB74_34
.LBB74_73:                              ;   in Loop: Header=BB74_4 Depth=1
	s_mov_b32 s26, 0
	s_wait_alu 0xfffe
	v_mov_b32_e32 v12, s26
	s_cbranch_execz .LBB74_35
	s_branch .LBB74_36
.LBB74_74:                              ;   in Loop: Header=BB74_4 Depth=1
	s_cmp_lg_u32 s20, 1
	s_cselect_b32 s26, -1, 0
	s_cbranch_execnz .LBB74_45
.LBB74_75:                              ;   in Loop: Header=BB74_4 Depth=1
	s_cmp_lg_u32 s20, -1
	s_mov_b32 s25, -1
	s_cselect_b32 s26, -1, 0
	s_wait_alu 0xfffe
	s_and_not1_b32 vcc_lo, exec_lo, s26
	s_mov_b32 s26, s20
	s_wait_alu 0xfffe
	s_cbranch_vccnz .LBB74_46
.LBB74_76:                              ;   in Loop: Header=BB74_4 Depth=1
	s_mov_b32 s26, 0
	s_wait_alu 0xfffe
	v_mov_b32_e32 v13, s26
	s_cbranch_execz .LBB74_47
	s_branch .LBB74_48
.LBB74_77:                              ;   in Loop: Header=BB74_4 Depth=1
	s_cmp_lg_u32 s20, 1
	s_cselect_b32 s26, -1, 0
	s_cbranch_execnz .LBB74_57
.LBB74_78:                              ;   in Loop: Header=BB74_4 Depth=1
	s_cmp_lg_u32 s20, -1
	s_mov_b32 s25, -1
	s_cselect_b32 s26, -1, 0
	s_wait_alu 0xfffe
	s_and_not1_b32 vcc_lo, exec_lo, s26
	s_mov_b32 s26, s20
	s_wait_alu 0xfffe
	s_cbranch_vccnz .LBB74_58
.LBB74_79:                              ;   in Loop: Header=BB74_4 Depth=1
	s_mov_b32 s26, 0
	s_wait_alu 0xfffe
	v_mov_b32_e32 v11, s26
	s_cbranch_execz .LBB74_59
	s_branch .LBB74_60
.LBB74_80:
	s_mov_b32 s2, 0
.LBB74_81:
	s_wait_alu 0xfffe
	s_and_not1_b32 vcc_lo, exec_lo, s2
	s_wait_alu 0xfffe
	s_cbranch_vccnz .LBB74_145
; %bb.82:
	v_cmp_gt_i64_e64 s2, 0x10000, s[10:11]
	v_dual_mov_b32 v2, 0 :: v_dual_lshlrev_b32 v1, 2, v0
	s_mov_b32 s4, 0
	s_mov_b32 s5, exec_lo
	s_and_b32 s2, s2, exec_lo
	s_cselect_b32 s3, s11, 0
	s_cselect_b32 s2, s10, 0x10000
	s_wait_alu 0xfffe
	v_cmpx_gt_i64_e64 s[2:3], v[1:2]
	s_cbranch_execz .LBB74_145
; %bb.83:
	s_load_b32 s0, s[0:1], 0xc5c
	v_mov_b32_e32 v1, v2
	s_wait_kmcnt 0x0
	s_and_b32 s1, s0, 0xffff
	s_branch .LBB74_85
.LBB74_84:                              ;   in Loop: Header=BB74_85 Depth=1
	s_wait_alu 0xfffe
	s_or_b32 exec_lo, exec_lo, s0
	v_add_co_u32 v0, vcc_lo, v0, s1
	s_wait_alu 0xfffd
	v_add_co_ci_u32_e64 v1, null, 0, v1, vcc_lo
	s_delay_alu instid0(VALU_DEP_1) | instskip(NEXT) | instid1(VALU_DEP_1)
	v_lshlrev_b64_e32 v[2:3], 2, v[0:1]
	v_cmp_le_i64_e32 vcc_lo, s[2:3], v[2:3]
	v_add_co_u32 v2, s0, s8, v10
	s_wait_alu 0xf1ff
	v_add_co_ci_u32_e64 v3, null, s9, v11, s0
	s_or_b32 s4, vcc_lo, s4
	global_store_b128 v[2:3], v[6:9], off
	s_and_not1_b32 exec_lo, exec_lo, s4
	s_cbranch_execz .LBB74_145
.LBB74_85:                              ; =>This Loop Header: Depth=1
                                        ;     Child Loop BB74_88 Depth 2
                                        ;     Child Loop BB74_100 Depth 2
	;; [unrolled: 1-line block ×4, first 2 shown]
	s_delay_alu instid0(VALU_DEP_1) | instskip(SKIP_1) | instid1(VALU_DEP_1)
	v_lshlrev_b64_e32 v[10:11], 4, v[0:1]
	s_mov_b32 s0, exec_lo
                                        ; implicit-def: $vgpr6
	v_add_co_u32 v2, vcc_lo, s6, v10
	s_wait_alu 0xfffd
	s_delay_alu instid0(VALU_DEP_2)
	v_add_co_ci_u32_e64 v3, null, s7, v11, vcc_lo
	global_load_b128 v[2:5], v[2:3], off
	s_wait_loadcnt 0x0
	v_cmpx_lt_i32_e32 -1, v2
	s_wait_alu 0xfffe
	s_xor_b32 s0, exec_lo, s0
	s_cbranch_execz .LBB74_91
; %bb.86:                               ;   in Loop: Header=BB74_85 Depth=1
	v_mov_b32_e32 v6, 1
	s_mov_b32 s5, exec_lo
	v_cmpx_ne_u32_e32 0, v2
	s_cbranch_execz .LBB74_90
; %bb.87:                               ;   in Loop: Header=BB74_85 Depth=1
	v_dual_mov_b32 v6, 1 :: v_dual_mov_b32 v7, v2
	s_mov_b32 s10, 0
	s_mov_b32 s11, s20
.LBB74_88:                              ;   Parent Loop BB74_85 Depth=1
                                        ; =>  This Inner Loop Header: Depth=2
	s_delay_alu instid0(VALU_DEP_1) | instskip(SKIP_1) | instid1(VALU_DEP_1)
	v_lshrrev_b32_e32 v9, 1, v7
	v_and_b32_e32 v8, 1, v7
	v_cmp_eq_u32_e32 vcc_lo, 1, v8
	s_wait_alu 0xfffc
	v_cndmask_b32_e64 v8, 1, s11, vcc_lo
	v_cmp_gt_u32_e32 vcc_lo, 2, v7
	v_mov_b32_e32 v7, v9
	s_mul_i32 s11, s11, s11
	s_delay_alu instid0(VALU_DEP_3)
	v_mul_lo_u32 v6, v8, v6
	s_or_b32 s10, vcc_lo, s10
	s_wait_alu 0xfffe
	s_and_not1_b32 exec_lo, exec_lo, s10
	s_cbranch_execnz .LBB74_88
; %bb.89:                               ;   in Loop: Header=BB74_85 Depth=1
	s_or_b32 exec_lo, exec_lo, s10
.LBB74_90:                              ;   in Loop: Header=BB74_85 Depth=1
	s_delay_alu instid0(SALU_CYCLE_1)
	s_or_b32 exec_lo, exec_lo, s5
.LBB74_91:                              ;   in Loop: Header=BB74_85 Depth=1
	s_wait_alu 0xfffe
	s_and_not1_saveexec_b32 s0, s0
	s_cbranch_execz .LBB74_97
; %bb.92:                               ;   in Loop: Header=BB74_85 Depth=1
	s_mov_b32 s11, -1
	s_mov_b32 s5, 0
	s_cmp_lt_i32 s20, 1
	s_mov_b32 s10, 0
	s_cbranch_scc0 .LBB74_132
; %bb.93:                               ;   in Loop: Header=BB74_85 Depth=1
	s_wait_alu 0xfffe
	s_and_not1_b32 vcc_lo, exec_lo, s11
	s_wait_alu 0xfffe
	s_cbranch_vccz .LBB74_133
.LBB74_94:                              ;   in Loop: Header=BB74_85 Depth=1
	s_wait_alu 0xfffe
	s_and_not1_b32 vcc_lo, exec_lo, s10
	s_mov_b32 s10, s20
	s_wait_alu 0xfffe
	s_cbranch_vccz .LBB74_134
.LBB74_95:                              ;   in Loop: Header=BB74_85 Depth=1
	v_mov_b32_e32 v6, s10
	s_and_not1_b32 vcc_lo, exec_lo, s5
	s_wait_alu 0xfffe
	s_cbranch_vccnz .LBB74_97
.LBB74_96:                              ;   in Loop: Header=BB74_85 Depth=1
	v_and_b32_e32 v2, 1, v2
	s_delay_alu instid0(VALU_DEP_1)
	v_cmp_eq_u32_e32 vcc_lo, 0, v2
	s_wait_alu 0xfffd
	v_cndmask_b32_e64 v6, -1, 1, vcc_lo
.LBB74_97:                              ;   in Loop: Header=BB74_85 Depth=1
	s_wait_alu 0xfffe
	s_or_b32 exec_lo, exec_lo, s0
	s_delay_alu instid0(SALU_CYCLE_1)
	s_mov_b32 s0, exec_lo
	v_cmpx_lt_i32_e32 -1, v3
	s_wait_alu 0xfffe
	s_xor_b32 s0, exec_lo, s0
	s_cbranch_execz .LBB74_103
; %bb.98:                               ;   in Loop: Header=BB74_85 Depth=1
	v_mov_b32_e32 v7, 1
	s_mov_b32 s5, exec_lo
	v_cmpx_ne_u32_e32 0, v3
	s_cbranch_execz .LBB74_102
; %bb.99:                               ;   in Loop: Header=BB74_85 Depth=1
	v_dual_mov_b32 v7, 1 :: v_dual_mov_b32 v2, v3
	s_mov_b32 s10, 0
	s_mov_b32 s11, s20
.LBB74_100:                             ;   Parent Loop BB74_85 Depth=1
                                        ; =>  This Inner Loop Header: Depth=2
	s_delay_alu instid0(VALU_DEP_1) | instskip(SKIP_1) | instid1(VALU_DEP_2)
	v_and_b32_e32 v8, 1, v2
	v_lshrrev_b32_e32 v9, 1, v2
	v_cmp_eq_u32_e32 vcc_lo, 1, v8
	s_wait_alu 0xfffc
	v_cndmask_b32_e64 v8, 1, s11, vcc_lo
	v_cmp_gt_u32_e32 vcc_lo, 2, v2
	v_mov_b32_e32 v2, v9
	s_mul_i32 s11, s11, s11
	s_delay_alu instid0(VALU_DEP_3)
	v_mul_lo_u32 v7, v8, v7
	s_or_b32 s10, vcc_lo, s10
	s_wait_alu 0xfffe
	s_and_not1_b32 exec_lo, exec_lo, s10
	s_cbranch_execnz .LBB74_100
; %bb.101:                              ;   in Loop: Header=BB74_85 Depth=1
	s_or_b32 exec_lo, exec_lo, s10
.LBB74_102:                             ;   in Loop: Header=BB74_85 Depth=1
	s_delay_alu instid0(SALU_CYCLE_1)
	s_or_b32 exec_lo, exec_lo, s5
.LBB74_103:                             ;   in Loop: Header=BB74_85 Depth=1
	s_wait_alu 0xfffe
	s_and_not1_saveexec_b32 s0, s0
	s_cbranch_execz .LBB74_109
; %bb.104:                              ;   in Loop: Header=BB74_85 Depth=1
	s_mov_b32 s11, -1
	s_mov_b32 s5, 0
	s_cmp_lt_i32 s20, 1
	s_mov_b32 s10, 0
	s_cbranch_scc0 .LBB74_135
; %bb.105:                              ;   in Loop: Header=BB74_85 Depth=1
	s_wait_alu 0xfffe
	s_and_not1_b32 vcc_lo, exec_lo, s11
	s_wait_alu 0xfffe
	s_cbranch_vccz .LBB74_136
.LBB74_106:                             ;   in Loop: Header=BB74_85 Depth=1
	s_wait_alu 0xfffe
	s_and_not1_b32 vcc_lo, exec_lo, s10
	s_mov_b32 s10, s20
	s_wait_alu 0xfffe
	s_cbranch_vccz .LBB74_137
.LBB74_107:                             ;   in Loop: Header=BB74_85 Depth=1
	v_mov_b32_e32 v7, s10
	s_and_not1_b32 vcc_lo, exec_lo, s5
	s_wait_alu 0xfffe
	s_cbranch_vccnz .LBB74_109
.LBB74_108:                             ;   in Loop: Header=BB74_85 Depth=1
	v_and_b32_e32 v2, 1, v3
	s_delay_alu instid0(VALU_DEP_1)
	v_cmp_eq_u32_e32 vcc_lo, 0, v2
	s_wait_alu 0xfffd
	v_cndmask_b32_e64 v7, -1, 1, vcc_lo
.LBB74_109:                             ;   in Loop: Header=BB74_85 Depth=1
	s_wait_alu 0xfffe
	s_or_b32 exec_lo, exec_lo, s0
	s_delay_alu instid0(SALU_CYCLE_1)
	s_mov_b32 s0, exec_lo
	v_cmpx_lt_i32_e32 -1, v4
	s_wait_alu 0xfffe
	s_xor_b32 s0, exec_lo, s0
	s_cbranch_execz .LBB74_115
; %bb.110:                              ;   in Loop: Header=BB74_85 Depth=1
	v_mov_b32_e32 v8, 1
	s_mov_b32 s5, exec_lo
	v_cmpx_ne_u32_e32 0, v4
	s_cbranch_execz .LBB74_114
; %bb.111:                              ;   in Loop: Header=BB74_85 Depth=1
	v_mov_b32_e32 v8, 1
	v_mov_b32_e32 v2, v4
	s_mov_b32 s10, 0
	s_mov_b32 s11, s20
.LBB74_112:                             ;   Parent Loop BB74_85 Depth=1
                                        ; =>  This Inner Loop Header: Depth=2
	s_delay_alu instid0(VALU_DEP_1) | instskip(SKIP_1) | instid1(VALU_DEP_1)
	v_lshrrev_b32_e32 v9, 1, v2
	v_and_b32_e32 v3, 1, v2
	v_cmp_eq_u32_e32 vcc_lo, 1, v3
	s_wait_alu 0xfffc
	v_cndmask_b32_e64 v3, 1, s11, vcc_lo
	v_cmp_gt_u32_e32 vcc_lo, 2, v2
	v_mov_b32_e32 v2, v9
	s_mul_i32 s11, s11, s11
	s_delay_alu instid0(VALU_DEP_3)
	v_mul_lo_u32 v8, v3, v8
	s_or_b32 s10, vcc_lo, s10
	s_wait_alu 0xfffe
	s_and_not1_b32 exec_lo, exec_lo, s10
	s_cbranch_execnz .LBB74_112
; %bb.113:                              ;   in Loop: Header=BB74_85 Depth=1
	s_or_b32 exec_lo, exec_lo, s10
.LBB74_114:                             ;   in Loop: Header=BB74_85 Depth=1
	s_delay_alu instid0(SALU_CYCLE_1)
	s_or_b32 exec_lo, exec_lo, s5
.LBB74_115:                             ;   in Loop: Header=BB74_85 Depth=1
	s_wait_alu 0xfffe
	s_and_not1_saveexec_b32 s0, s0
	s_cbranch_execz .LBB74_121
; %bb.116:                              ;   in Loop: Header=BB74_85 Depth=1
	s_mov_b32 s11, -1
	s_mov_b32 s5, 0
	s_cmp_lt_i32 s20, 1
	s_mov_b32 s10, 0
	s_cbranch_scc0 .LBB74_138
; %bb.117:                              ;   in Loop: Header=BB74_85 Depth=1
	s_wait_alu 0xfffe
	s_and_not1_b32 vcc_lo, exec_lo, s11
	s_wait_alu 0xfffe
	s_cbranch_vccz .LBB74_139
.LBB74_118:                             ;   in Loop: Header=BB74_85 Depth=1
	s_wait_alu 0xfffe
	s_and_not1_b32 vcc_lo, exec_lo, s10
	s_mov_b32 s10, s20
	s_wait_alu 0xfffe
	s_cbranch_vccz .LBB74_140
.LBB74_119:                             ;   in Loop: Header=BB74_85 Depth=1
	v_mov_b32_e32 v8, s10
	s_and_not1_b32 vcc_lo, exec_lo, s5
	s_wait_alu 0xfffe
	s_cbranch_vccnz .LBB74_121
.LBB74_120:                             ;   in Loop: Header=BB74_85 Depth=1
	v_and_b32_e32 v2, 1, v4
	s_delay_alu instid0(VALU_DEP_1)
	v_cmp_eq_u32_e32 vcc_lo, 0, v2
	s_wait_alu 0xfffd
	v_cndmask_b32_e64 v8, -1, 1, vcc_lo
.LBB74_121:                             ;   in Loop: Header=BB74_85 Depth=1
	s_wait_alu 0xfffe
	s_or_b32 exec_lo, exec_lo, s0
	s_delay_alu instid0(SALU_CYCLE_1)
	s_mov_b32 s0, exec_lo
	v_cmpx_lt_i32_e32 -1, v5
	s_wait_alu 0xfffe
	s_xor_b32 s0, exec_lo, s0
	s_cbranch_execz .LBB74_127
; %bb.122:                              ;   in Loop: Header=BB74_85 Depth=1
	v_mov_b32_e32 v9, 1
	s_mov_b32 s5, exec_lo
	v_cmpx_ne_u32_e32 0, v5
	s_cbranch_execz .LBB74_126
; %bb.123:                              ;   in Loop: Header=BB74_85 Depth=1
	v_mov_b32_e32 v9, 1
	s_mov_b32 s10, 0
	s_mov_b32 s11, s20
.LBB74_124:                             ;   Parent Loop BB74_85 Depth=1
                                        ; =>  This Inner Loop Header: Depth=2
	v_lshrrev_b32_e32 v3, 1, v5
	v_and_b32_e32 v2, 1, v5
	s_delay_alu instid0(VALU_DEP_1)
	v_cmp_eq_u32_e32 vcc_lo, 1, v2
	s_wait_alu 0xfffc
	v_cndmask_b32_e64 v2, 1, s11, vcc_lo
	v_cmp_gt_u32_e32 vcc_lo, 2, v5
	v_mov_b32_e32 v5, v3
	s_mul_i32 s11, s11, s11
	s_delay_alu instid0(VALU_DEP_3)
	v_mul_lo_u32 v9, v2, v9
	s_or_b32 s10, vcc_lo, s10
	s_wait_alu 0xfffe
	s_and_not1_b32 exec_lo, exec_lo, s10
	s_cbranch_execnz .LBB74_124
; %bb.125:                              ;   in Loop: Header=BB74_85 Depth=1
	s_or_b32 exec_lo, exec_lo, s10
.LBB74_126:                             ;   in Loop: Header=BB74_85 Depth=1
	s_delay_alu instid0(SALU_CYCLE_1)
	s_or_b32 exec_lo, exec_lo, s5
                                        ; implicit-def: $vgpr2_vgpr3_vgpr4_vgpr5
.LBB74_127:                             ;   in Loop: Header=BB74_85 Depth=1
	s_wait_alu 0xfffe
	s_and_not1_saveexec_b32 s0, s0
	s_cbranch_execz .LBB74_84
; %bb.128:                              ;   in Loop: Header=BB74_85 Depth=1
	s_mov_b32 s11, -1
	s_mov_b32 s5, 0
	s_cmp_lt_i32 s20, 1
	s_mov_b32 s10, 0
	s_cbranch_scc0 .LBB74_141
; %bb.129:                              ;   in Loop: Header=BB74_85 Depth=1
	s_wait_alu 0xfffe
	s_and_not1_b32 vcc_lo, exec_lo, s11
	s_wait_alu 0xfffe
	s_cbranch_vccz .LBB74_142
.LBB74_130:                             ;   in Loop: Header=BB74_85 Depth=1
	s_wait_alu 0xfffe
	s_and_not1_b32 vcc_lo, exec_lo, s10
	s_mov_b32 s10, s20
	s_wait_alu 0xfffe
	s_cbranch_vccz .LBB74_143
.LBB74_131:                             ;   in Loop: Header=BB74_85 Depth=1
	v_mov_b32_e32 v9, s10
	s_and_not1_b32 vcc_lo, exec_lo, s5
	s_wait_alu 0xfffe
	s_cbranch_vccnz .LBB74_84
	s_branch .LBB74_144
.LBB74_132:                             ;   in Loop: Header=BB74_85 Depth=1
	s_cmp_lg_u32 s20, 1
	s_cselect_b32 s10, -1, 0
	s_cbranch_execnz .LBB74_94
.LBB74_133:                             ;   in Loop: Header=BB74_85 Depth=1
	s_cmp_lg_u32 s20, -1
	s_mov_b32 s5, -1
	s_cselect_b32 s10, -1, 0
	s_wait_alu 0xfffe
	s_and_not1_b32 vcc_lo, exec_lo, s10
	s_mov_b32 s10, s20
	s_wait_alu 0xfffe
	s_cbranch_vccnz .LBB74_95
.LBB74_134:                             ;   in Loop: Header=BB74_85 Depth=1
	s_mov_b32 s10, 0
	s_wait_alu 0xfffe
	v_mov_b32_e32 v6, s10
	s_cbranch_execz .LBB74_96
	s_branch .LBB74_97
.LBB74_135:                             ;   in Loop: Header=BB74_85 Depth=1
	s_cmp_lg_u32 s20, 1
	s_cselect_b32 s10, -1, 0
	s_cbranch_execnz .LBB74_106
.LBB74_136:                             ;   in Loop: Header=BB74_85 Depth=1
	s_cmp_lg_u32 s20, -1
	s_mov_b32 s5, -1
	s_cselect_b32 s10, -1, 0
	s_wait_alu 0xfffe
	s_and_not1_b32 vcc_lo, exec_lo, s10
	s_mov_b32 s10, s20
	s_wait_alu 0xfffe
	s_cbranch_vccnz .LBB74_107
.LBB74_137:                             ;   in Loop: Header=BB74_85 Depth=1
	s_mov_b32 s10, 0
	s_wait_alu 0xfffe
	v_mov_b32_e32 v7, s10
	s_cbranch_execz .LBB74_108
	s_branch .LBB74_109
.LBB74_138:                             ;   in Loop: Header=BB74_85 Depth=1
	s_cmp_lg_u32 s20, 1
	s_cselect_b32 s10, -1, 0
	s_cbranch_execnz .LBB74_118
.LBB74_139:                             ;   in Loop: Header=BB74_85 Depth=1
	s_cmp_lg_u32 s20, -1
	s_mov_b32 s5, -1
	s_cselect_b32 s10, -1, 0
	s_wait_alu 0xfffe
	s_and_not1_b32 vcc_lo, exec_lo, s10
	s_mov_b32 s10, s20
	s_wait_alu 0xfffe
	s_cbranch_vccnz .LBB74_119
.LBB74_140:                             ;   in Loop: Header=BB74_85 Depth=1
	s_mov_b32 s10, 0
	s_wait_alu 0xfffe
	v_mov_b32_e32 v8, s10
	s_cbranch_execz .LBB74_120
	s_branch .LBB74_121
.LBB74_141:                             ;   in Loop: Header=BB74_85 Depth=1
	s_cmp_lg_u32 s20, 1
	s_cselect_b32 s10, -1, 0
	s_cbranch_execnz .LBB74_130
.LBB74_142:                             ;   in Loop: Header=BB74_85 Depth=1
	s_cmp_lg_u32 s20, -1
	s_mov_b32 s5, -1
	s_cselect_b32 s10, -1, 0
	s_wait_alu 0xfffe
	s_and_not1_b32 vcc_lo, exec_lo, s10
	s_mov_b32 s10, s20
	s_wait_alu 0xfffe
	s_cbranch_vccnz .LBB74_131
.LBB74_143:                             ;   in Loop: Header=BB74_85 Depth=1
	s_mov_b32 s10, 0
	s_wait_alu 0xfffe
	v_mov_b32_e32 v9, s10
	s_cbranch_execnz .LBB74_84
.LBB74_144:                             ;   in Loop: Header=BB74_85 Depth=1
	v_and_b32_e32 v2, 1, v5
	s_delay_alu instid0(VALU_DEP_1)
	v_cmp_eq_u32_e32 vcc_lo, 0, v2
	s_wait_alu 0xfffd
	v_cndmask_b32_e64 v9, -1, 1, vcc_lo
	s_branch .LBB74_84
.LBB74_145:
	s_endpgm
	.section	.rodata,"a",@progbits
	.p2align	6, 0x0
	.amdhsa_kernel _ZN2at6native12_GLOBAL__N_125multi_tensor_apply_kernelINS1_18TensorListMetadataILi2EEENS1_21BinaryOpScalarFunctorIiLi2ELi1ELi1EEEJNS1_21reverse_power_functorIiEEiEEEvT_T0_DpT1_
		.amdhsa_group_segment_fixed_size 0
		.amdhsa_private_segment_fixed_size 0
		.amdhsa_kernarg_size 3408
		.amdhsa_user_sgpr_count 2
		.amdhsa_user_sgpr_dispatch_ptr 0
		.amdhsa_user_sgpr_queue_ptr 0
		.amdhsa_user_sgpr_kernarg_segment_ptr 1
		.amdhsa_user_sgpr_dispatch_id 0
		.amdhsa_user_sgpr_private_segment_size 0
		.amdhsa_wavefront_size32 1
		.amdhsa_uses_dynamic_stack 0
		.amdhsa_enable_private_segment 0
		.amdhsa_system_sgpr_workgroup_id_x 1
		.amdhsa_system_sgpr_workgroup_id_y 0
		.amdhsa_system_sgpr_workgroup_id_z 0
		.amdhsa_system_sgpr_workgroup_info 0
		.amdhsa_system_vgpr_workitem_id 0
		.amdhsa_next_free_vgpr 16
		.amdhsa_next_free_sgpr 28
		.amdhsa_reserve_vcc 1
		.amdhsa_float_round_mode_32 0
		.amdhsa_float_round_mode_16_64 0
		.amdhsa_float_denorm_mode_32 3
		.amdhsa_float_denorm_mode_16_64 3
		.amdhsa_fp16_overflow 0
		.amdhsa_workgroup_processor_mode 1
		.amdhsa_memory_ordered 1
		.amdhsa_forward_progress 1
		.amdhsa_inst_pref_size 29
		.amdhsa_round_robin_scheduling 0
		.amdhsa_exception_fp_ieee_invalid_op 0
		.amdhsa_exception_fp_denorm_src 0
		.amdhsa_exception_fp_ieee_div_zero 0
		.amdhsa_exception_fp_ieee_overflow 0
		.amdhsa_exception_fp_ieee_underflow 0
		.amdhsa_exception_fp_ieee_inexact 0
		.amdhsa_exception_int_div_zero 0
	.end_amdhsa_kernel
	.section	.text._ZN2at6native12_GLOBAL__N_125multi_tensor_apply_kernelINS1_18TensorListMetadataILi2EEENS1_21BinaryOpScalarFunctorIiLi2ELi1ELi1EEEJNS1_21reverse_power_functorIiEEiEEEvT_T0_DpT1_,"axG",@progbits,_ZN2at6native12_GLOBAL__N_125multi_tensor_apply_kernelINS1_18TensorListMetadataILi2EEENS1_21BinaryOpScalarFunctorIiLi2ELi1ELi1EEEJNS1_21reverse_power_functorIiEEiEEEvT_T0_DpT1_,comdat
.Lfunc_end74:
	.size	_ZN2at6native12_GLOBAL__N_125multi_tensor_apply_kernelINS1_18TensorListMetadataILi2EEENS1_21BinaryOpScalarFunctorIiLi2ELi1ELi1EEEJNS1_21reverse_power_functorIiEEiEEEvT_T0_DpT1_, .Lfunc_end74-_ZN2at6native12_GLOBAL__N_125multi_tensor_apply_kernelINS1_18TensorListMetadataILi2EEENS1_21BinaryOpScalarFunctorIiLi2ELi1ELi1EEEJNS1_21reverse_power_functorIiEEiEEEvT_T0_DpT1_
                                        ; -- End function
	.set _ZN2at6native12_GLOBAL__N_125multi_tensor_apply_kernelINS1_18TensorListMetadataILi2EEENS1_21BinaryOpScalarFunctorIiLi2ELi1ELi1EEEJNS1_21reverse_power_functorIiEEiEEEvT_T0_DpT1_.num_vgpr, 16
	.set _ZN2at6native12_GLOBAL__N_125multi_tensor_apply_kernelINS1_18TensorListMetadataILi2EEENS1_21BinaryOpScalarFunctorIiLi2ELi1ELi1EEEJNS1_21reverse_power_functorIiEEiEEEvT_T0_DpT1_.num_agpr, 0
	.set _ZN2at6native12_GLOBAL__N_125multi_tensor_apply_kernelINS1_18TensorListMetadataILi2EEENS1_21BinaryOpScalarFunctorIiLi2ELi1ELi1EEEJNS1_21reverse_power_functorIiEEiEEEvT_T0_DpT1_.numbered_sgpr, 28
	.set _ZN2at6native12_GLOBAL__N_125multi_tensor_apply_kernelINS1_18TensorListMetadataILi2EEENS1_21BinaryOpScalarFunctorIiLi2ELi1ELi1EEEJNS1_21reverse_power_functorIiEEiEEEvT_T0_DpT1_.num_named_barrier, 0
	.set _ZN2at6native12_GLOBAL__N_125multi_tensor_apply_kernelINS1_18TensorListMetadataILi2EEENS1_21BinaryOpScalarFunctorIiLi2ELi1ELi1EEEJNS1_21reverse_power_functorIiEEiEEEvT_T0_DpT1_.private_seg_size, 0
	.set _ZN2at6native12_GLOBAL__N_125multi_tensor_apply_kernelINS1_18TensorListMetadataILi2EEENS1_21BinaryOpScalarFunctorIiLi2ELi1ELi1EEEJNS1_21reverse_power_functorIiEEiEEEvT_T0_DpT1_.uses_vcc, 1
	.set _ZN2at6native12_GLOBAL__N_125multi_tensor_apply_kernelINS1_18TensorListMetadataILi2EEENS1_21BinaryOpScalarFunctorIiLi2ELi1ELi1EEEJNS1_21reverse_power_functorIiEEiEEEvT_T0_DpT1_.uses_flat_scratch, 0
	.set _ZN2at6native12_GLOBAL__N_125multi_tensor_apply_kernelINS1_18TensorListMetadataILi2EEENS1_21BinaryOpScalarFunctorIiLi2ELi1ELi1EEEJNS1_21reverse_power_functorIiEEiEEEvT_T0_DpT1_.has_dyn_sized_stack, 0
	.set _ZN2at6native12_GLOBAL__N_125multi_tensor_apply_kernelINS1_18TensorListMetadataILi2EEENS1_21BinaryOpScalarFunctorIiLi2ELi1ELi1EEEJNS1_21reverse_power_functorIiEEiEEEvT_T0_DpT1_.has_recursion, 0
	.set _ZN2at6native12_GLOBAL__N_125multi_tensor_apply_kernelINS1_18TensorListMetadataILi2EEENS1_21BinaryOpScalarFunctorIiLi2ELi1ELi1EEEJNS1_21reverse_power_functorIiEEiEEEvT_T0_DpT1_.has_indirect_call, 0
	.section	.AMDGPU.csdata,"",@progbits
; Kernel info:
; codeLenInByte = 3616
; TotalNumSgprs: 30
; NumVgprs: 16
; ScratchSize: 0
; MemoryBound: 0
; FloatMode: 240
; IeeeMode: 1
; LDSByteSize: 0 bytes/workgroup (compile time only)
; SGPRBlocks: 0
; VGPRBlocks: 1
; NumSGPRsForWavesPerEU: 30
; NumVGPRsForWavesPerEU: 16
; Occupancy: 16
; WaveLimiterHint : 0
; COMPUTE_PGM_RSRC2:SCRATCH_EN: 0
; COMPUTE_PGM_RSRC2:USER_SGPR: 2
; COMPUTE_PGM_RSRC2:TRAP_HANDLER: 0
; COMPUTE_PGM_RSRC2:TGID_X_EN: 1
; COMPUTE_PGM_RSRC2:TGID_Y_EN: 0
; COMPUTE_PGM_RSRC2:TGID_Z_EN: 0
; COMPUTE_PGM_RSRC2:TIDIG_COMP_CNT: 0
	.section	.text._ZN2at6native12_GLOBAL__N_125multi_tensor_apply_kernelINS1_18TensorListMetadataILi2EEENS1_21BinaryOpScalarFunctorIlLi2ELi1ELi1EEEJNS1_21reverse_power_functorIlEElEEEvT_T0_DpT1_,"axG",@progbits,_ZN2at6native12_GLOBAL__N_125multi_tensor_apply_kernelINS1_18TensorListMetadataILi2EEENS1_21BinaryOpScalarFunctorIlLi2ELi1ELi1EEEJNS1_21reverse_power_functorIlEElEEEvT_T0_DpT1_,comdat
	.globl	_ZN2at6native12_GLOBAL__N_125multi_tensor_apply_kernelINS1_18TensorListMetadataILi2EEENS1_21BinaryOpScalarFunctorIlLi2ELi1ELi1EEEJNS1_21reverse_power_functorIlEElEEEvT_T0_DpT1_ ; -- Begin function _ZN2at6native12_GLOBAL__N_125multi_tensor_apply_kernelINS1_18TensorListMetadataILi2EEENS1_21BinaryOpScalarFunctorIlLi2ELi1ELi1EEEJNS1_21reverse_power_functorIlEElEEEvT_T0_DpT1_
	.p2align	8
	.type	_ZN2at6native12_GLOBAL__N_125multi_tensor_apply_kernelINS1_18TensorListMetadataILi2EEENS1_21BinaryOpScalarFunctorIlLi2ELi1ELi1EEEJNS1_21reverse_power_functorIlEElEEEvT_T0_DpT1_,@function
_ZN2at6native12_GLOBAL__N_125multi_tensor_apply_kernelINS1_18TensorListMetadataILi2EEENS1_21BinaryOpScalarFunctorIlLi2ELi1ELi1EEEJNS1_21reverse_power_functorIlEElEEEvT_T0_DpT1_: ; @_ZN2at6native12_GLOBAL__N_125multi_tensor_apply_kernelINS1_18TensorListMetadataILi2EEENS1_21BinaryOpScalarFunctorIlLi2ELi1ELi1EEEJNS1_21reverse_power_functorIlEElEEEvT_T0_DpT1_
; %bb.0:
	s_load_u8 s8, s[0:1], ttmp9 offset:0x600
	s_mov_b32 s2, ttmp9
	s_mov_b32 s3, 0
	s_delay_alu instid0(SALU_CYCLE_1)
	s_mul_u64 s[4:5], s[2:3], 3
	s_add_nc_u64 s[6:7], s[0:1], s[2:3]
	s_mov_b32 s17, s3
	s_add_nc_u64 s[4:5], s[6:7], s[4:5]
	s_load_b32 s4, s[4:5], 0x740
	s_wait_kmcnt 0x0
	s_lshl_b32 s2, s8, 3
	s_clause 0x3
	s_load_b64 s[8:9], s[0:1], s2 offset:0x0
	s_load_b64 s[10:11], s[0:1], s2 offset:0x200
	;; [unrolled: 1-line block ×3, first 2 shown]
	s_load_b64 s[6:7], s[0:1], 0xc50
	s_ashr_i32 s5, s4, 31
	s_delay_alu instid0(SALU_CYCLE_1)
	s_lshl_b64 s[14:15], s[4:5], 19
	s_lshl_b64 s[4:5], s[4:5], 16
	s_wait_kmcnt 0x0
	s_add_nc_u64 s[8:9], s[8:9], s[14:15]
	s_add_nc_u64 s[10:11], s[10:11], s[14:15]
	s_and_b32 s14, s12, 3
	s_and_b32 s16, s10, 31
	s_mov_b32 s15, s3
	s_and_b32 s2, s8, 31
	s_or_b64 s[14:15], s[16:17], s[14:15]
	s_sub_nc_u64 s[12:13], s[12:13], s[4:5]
	s_or_b64 s[2:3], s[14:15], s[2:3]
	s_delay_alu instid0(SALU_CYCLE_1)
	s_cmp_eq_u64 s[2:3], 0
	s_mov_b32 s2, -1
	s_cbranch_scc1 .LBB75_81
; %bb.1:
	v_cmp_lt_i64_e64 s2, s[12:13], 1
	s_and_b32 vcc_lo, exec_lo, s2
	s_cbranch_vccnz .LBB75_80
; %bb.2:
	s_load_b32 s2, s[0:1], 0xc64
	v_cmp_gt_i64_e64 s3, 0x10000, s[12:13]
	v_cmp_gt_u64_e64 s4, 0x10000, s[12:13]
	v_mov_b32_e32 v2, 0
	s_mov_b32 s15, 0
	s_mov_b64 s[20:21], 0
	s_and_b32 s3, s3, exec_lo
	s_cselect_b32 s17, s13, 0
	s_cselect_b32 s16, s12, 0x10000
	s_wait_kmcnt 0x0
	s_and_b32 s24, s2, 0xffff
	s_and_b32 s2, s4, exec_lo
	s_cselect_b32 s19, s13, 0
	s_cselect_b32 s18, s12, 0x10000
	s_lshl_b32 s25, s24, 1
	s_mul_i32 s26, s24, 3
	s_lshl_b32 s14, s24, 2
	s_branch .LBB75_4
.LBB75_3:                               ;   in Loop: Header=BB75_4 Depth=1
	s_wait_alu 0xfffe
	s_or_b32 exec_lo, exec_lo, s2
	s_add_nc_u64 s[20:21], s[20:21], s[14:15]
	s_wait_alu 0xfffe
	v_cmp_ge_i64_e64 s2, s[20:21], s[16:17]
	s_and_b32 vcc_lo, exec_lo, s2
	s_wait_alu 0xfffe
	s_cbranch_vccnz .LBB75_80
.LBB75_4:                               ; =>This Loop Header: Depth=1
                                        ;     Child Loop BB75_15 Depth 2
                                        ;     Child Loop BB75_27 Depth 2
                                        ;     Child Loop BB75_39 Depth 2
                                        ;     Child Loop BB75_51 Depth 2
	v_add_co_u32 v9, s2, s20, v0
	s_wait_alu 0xf1ff
	v_add_co_ci_u32_e64 v10, null, s21, 0, s2
	v_mov_b32_e32 v19, 0
	v_dual_mov_b32 v20, 0 :: v_dual_mov_b32 v17, 0
	s_delay_alu instid0(VALU_DEP_3)
	v_cmp_gt_u64_e64 s2, s[18:19], v[9:10]
	v_lshlrev_b64_e32 v[3:4], 3, v[9:10]
	v_mov_b32_e32 v18, 0
	s_and_saveexec_b32 s3, s2
	s_cbranch_execz .LBB75_6
; %bb.5:                                ;   in Loop: Header=BB75_4 Depth=1
	s_delay_alu instid0(VALU_DEP_2)
	v_add_co_u32 v5, vcc_lo, s8, v3
	s_wait_alu 0xfffd
	v_add_co_ci_u32_e64 v6, null, s9, v4, vcc_lo
	global_load_b64 v[17:18], v[5:6], off
.LBB75_6:                               ;   in Loop: Header=BB75_4 Depth=1
	s_wait_alu 0xfffe
	s_or_b32 exec_lo, exec_lo, s3
	v_add_co_u32 v5, vcc_lo, v9, s24
	s_wait_alu 0xfffd
	v_add_co_ci_u32_e64 v6, null, 0, v10, vcc_lo
	s_delay_alu instid0(VALU_DEP_1)
	v_cmp_gt_u64_e64 s3, s[18:19], v[5:6]
	v_lshlrev_b64_e32 v[5:6], 3, v[5:6]
	s_and_saveexec_b32 s4, s3
	s_cbranch_execz .LBB75_8
; %bb.7:                                ;   in Loop: Header=BB75_4 Depth=1
	s_delay_alu instid0(VALU_DEP_1) | instskip(SKIP_1) | instid1(VALU_DEP_2)
	v_add_co_u32 v7, vcc_lo, s8, v5
	s_wait_alu 0xfffd
	v_add_co_ci_u32_e64 v8, null, s9, v6, vcc_lo
	global_load_b64 v[19:20], v[7:8], off
.LBB75_8:                               ;   in Loop: Header=BB75_4 Depth=1
	s_or_b32 exec_lo, exec_lo, s4
	v_add_co_u32 v7, vcc_lo, v9, s25
	s_wait_alu 0xfffd
	v_add_co_ci_u32_e64 v8, null, 0, v10, vcc_lo
	v_mov_b32_e32 v11, 0
	v_dual_mov_b32 v12, 0 :: v_dual_mov_b32 v15, 0
	s_delay_alu instid0(VALU_DEP_3)
	v_cmp_gt_u64_e64 s4, s[18:19], v[7:8]
	v_lshlrev_b64_e32 v[7:8], 3, v[7:8]
	v_mov_b32_e32 v16, 0
	s_and_saveexec_b32 s5, s4
	s_cbranch_execz .LBB75_10
; %bb.9:                                ;   in Loop: Header=BB75_4 Depth=1
	s_delay_alu instid0(VALU_DEP_2)
	v_add_co_u32 v13, vcc_lo, s8, v7
	s_wait_alu 0xfffd
	v_add_co_ci_u32_e64 v14, null, s9, v8, vcc_lo
	global_load_b64 v[15:16], v[13:14], off
.LBB75_10:                              ;   in Loop: Header=BB75_4 Depth=1
	s_or_b32 exec_lo, exec_lo, s5
	v_add_co_u32 v9, vcc_lo, v9, s26
	s_wait_alu 0xfffd
	v_add_co_ci_u32_e64 v10, null, 0, v10, vcc_lo
	s_delay_alu instid0(VALU_DEP_1)
	v_cmp_gt_u64_e64 s5, s[18:19], v[9:10]
	v_lshlrev_b64_e32 v[9:10], 3, v[9:10]
	s_and_saveexec_b32 s22, s5
	s_cbranch_execz .LBB75_12
; %bb.11:                               ;   in Loop: Header=BB75_4 Depth=1
	s_delay_alu instid0(VALU_DEP_1) | instskip(SKIP_1) | instid1(VALU_DEP_2)
	v_add_co_u32 v11, vcc_lo, s8, v9
	s_wait_alu 0xfffd
	v_add_co_ci_u32_e64 v12, null, s9, v10, vcc_lo
	global_load_b64 v[11:12], v[11:12], off
.LBB75_12:                              ;   in Loop: Header=BB75_4 Depth=1
	s_wait_alu 0xfffe
	s_or_b32 exec_lo, exec_lo, s22
                                        ; implicit-def: $vgpr13_vgpr14
	s_delay_alu instid0(SALU_CYCLE_1)
	s_mov_b32 s22, exec_lo
	s_wait_loadcnt 0x0
	v_cmpx_lt_i64_e32 -1, v[17:18]
	s_wait_alu 0xfffe
	s_xor_b32 s27, exec_lo, s22
	s_cbranch_execz .LBB75_18
; %bb.13:                               ;   in Loop: Header=BB75_4 Depth=1
	v_mov_b32_e32 v13, 1
	v_mov_b32_e32 v14, 0
	s_mov_b32 s28, exec_lo
	v_cmpx_ne_u64_e32 0, v[17:18]
	s_cbranch_execz .LBB75_17
; %bb.14:                               ;   in Loop: Header=BB75_4 Depth=1
	v_mov_b32_e32 v13, 1
	v_mov_b32_e32 v14, 0
	s_mov_b32 s29, 0
	s_mov_b64 s[22:23], s[6:7]
.LBB75_15:                              ;   Parent Loop BB75_4 Depth=1
                                        ; =>  This Inner Loop Header: Depth=2
	s_delay_alu instid0(VALU_DEP_2) | instskip(NEXT) | instid1(VALU_DEP_1)
	v_and_b32_e32 v1, 1, v17
	v_cmp_eq_u32_e32 vcc_lo, 1, v1
	s_wait_alu 0xfffc
	v_cndmask_b32_e64 v1, 1, s22, vcc_lo
	v_cndmask_b32_e64 v21, 0, s23, vcc_lo
	v_cmp_gt_u64_e32 vcc_lo, 2, v[17:18]
	s_mul_u64 s[22:23], s[22:23], s[22:23]
	s_delay_alu instid0(VALU_DEP_3) | instskip(NEXT) | instid1(VALU_DEP_3)
	v_mul_lo_u32 v23, v1, v14
	v_mul_lo_u32 v24, v21, v13
	v_mad_co_u64_u32 v[13:14], null, v1, v13, 0
	v_lshrrev_b64 v[21:22], 1, v[17:18]
	s_or_b32 s29, vcc_lo, s29
	s_delay_alu instid0(VALU_DEP_1) | instskip(NEXT) | instid1(VALU_DEP_3)
	v_dual_mov_b32 v17, v21 :: v_dual_mov_b32 v18, v22
	v_add3_u32 v14, v14, v23, v24
	s_and_not1_b32 exec_lo, exec_lo, s29
	s_cbranch_execnz .LBB75_15
; %bb.16:                               ;   in Loop: Header=BB75_4 Depth=1
	s_or_b32 exec_lo, exec_lo, s29
.LBB75_17:                              ;   in Loop: Header=BB75_4 Depth=1
	s_delay_alu instid0(SALU_CYCLE_1)
	s_or_b32 exec_lo, exec_lo, s28
                                        ; implicit-def: $vgpr17_vgpr18
.LBB75_18:                              ;   in Loop: Header=BB75_4 Depth=1
	s_wait_alu 0xfffe
	s_and_not1_saveexec_b32 s27, s27
	s_cbranch_execz .LBB75_24
; %bb.19:                               ;   in Loop: Header=BB75_4 Depth=1
	v_cmp_lt_i64_e64 s22, s[6:7], 1
	s_mov_b32 s23, -1
	s_mov_b32 s28, 0
	s_and_b32 vcc_lo, exec_lo, s22
	s_mov_b32 s22, 0
	s_wait_alu 0xfffe
	s_cbranch_vccz .LBB75_68
; %bb.20:                               ;   in Loop: Header=BB75_4 Depth=1
	s_and_not1_b32 vcc_lo, exec_lo, s23
	s_wait_alu 0xfffe
	s_cbranch_vccz .LBB75_69
.LBB75_21:                              ;   in Loop: Header=BB75_4 Depth=1
	s_wait_alu 0xfffe
	s_and_not1_b32 vcc_lo, exec_lo, s22
	s_mov_b64 s[22:23], s[6:7]
	s_wait_alu 0xfffe
	s_cbranch_vccz .LBB75_70
.LBB75_22:                              ;   in Loop: Header=BB75_4 Depth=1
	v_dual_mov_b32 v13, s22 :: v_dual_mov_b32 v14, s23
	s_and_not1_b32 vcc_lo, exec_lo, s28
	s_wait_alu 0xfffe
	s_cbranch_vccnz .LBB75_24
.LBB75_23:                              ;   in Loop: Header=BB75_4 Depth=1
	v_and_b32_e32 v1, 1, v17
	s_delay_alu instid0(VALU_DEP_1)
	v_cmp_eq_u64_e32 vcc_lo, 0, v[1:2]
	s_wait_alu 0xfffd
	v_cndmask_b32_e64 v14, -1, 0, vcc_lo
	v_cndmask_b32_e64 v13, -1, 1, vcc_lo
.LBB75_24:                              ;   in Loop: Header=BB75_4 Depth=1
	s_wait_alu 0xfffe
	s_or_b32 exec_lo, exec_lo, s27
                                        ; implicit-def: $vgpr17_vgpr18
	s_delay_alu instid0(SALU_CYCLE_1)
	s_mov_b32 s22, exec_lo
	v_cmpx_lt_i64_e32 -1, v[19:20]
	s_wait_alu 0xfffe
	s_xor_b32 s27, exec_lo, s22
	s_cbranch_execz .LBB75_30
; %bb.25:                               ;   in Loop: Header=BB75_4 Depth=1
	v_mov_b32_e32 v17, 1
	v_mov_b32_e32 v18, 0
	s_mov_b32 s28, exec_lo
	v_cmpx_ne_u64_e32 0, v[19:20]
	s_cbranch_execz .LBB75_29
; %bb.26:                               ;   in Loop: Header=BB75_4 Depth=1
	v_mov_b32_e32 v17, 1
	v_mov_b32_e32 v18, 0
	s_mov_b32 s29, 0
	s_mov_b64 s[22:23], s[6:7]
.LBB75_27:                              ;   Parent Loop BB75_4 Depth=1
                                        ; =>  This Inner Loop Header: Depth=2
	s_delay_alu instid0(VALU_DEP_2) | instskip(NEXT) | instid1(VALU_DEP_1)
	v_and_b32_e32 v1, 1, v19
	v_cmp_eq_u32_e32 vcc_lo, 1, v1
	s_wait_alu 0xfffc
	v_cndmask_b32_e64 v1, 1, s22, vcc_lo
	v_cndmask_b32_e64 v21, 0, s23, vcc_lo
	v_cmp_gt_u64_e32 vcc_lo, 2, v[19:20]
	s_mul_u64 s[22:23], s[22:23], s[22:23]
	s_delay_alu instid0(VALU_DEP_3) | instskip(NEXT) | instid1(VALU_DEP_3)
	v_mul_lo_u32 v23, v1, v18
	v_mul_lo_u32 v24, v21, v17
	v_mad_co_u64_u32 v[17:18], null, v1, v17, 0
	v_lshrrev_b64 v[21:22], 1, v[19:20]
	s_or_b32 s29, vcc_lo, s29
	s_delay_alu instid0(VALU_DEP_1) | instskip(NEXT) | instid1(VALU_DEP_3)
	v_dual_mov_b32 v19, v21 :: v_dual_mov_b32 v20, v22
	v_add3_u32 v18, v18, v23, v24
	s_and_not1_b32 exec_lo, exec_lo, s29
	s_cbranch_execnz .LBB75_27
; %bb.28:                               ;   in Loop: Header=BB75_4 Depth=1
	s_or_b32 exec_lo, exec_lo, s29
.LBB75_29:                              ;   in Loop: Header=BB75_4 Depth=1
	s_delay_alu instid0(SALU_CYCLE_1)
	s_or_b32 exec_lo, exec_lo, s28
                                        ; implicit-def: $vgpr19_vgpr20
.LBB75_30:                              ;   in Loop: Header=BB75_4 Depth=1
	s_wait_alu 0xfffe
	s_and_not1_saveexec_b32 s27, s27
	s_cbranch_execz .LBB75_36
; %bb.31:                               ;   in Loop: Header=BB75_4 Depth=1
	v_cmp_lt_i64_e64 s22, s[6:7], 1
	s_mov_b32 s23, -1
	s_mov_b32 s28, 0
	s_and_b32 vcc_lo, exec_lo, s22
	s_mov_b32 s22, 0
	s_wait_alu 0xfffe
	s_cbranch_vccz .LBB75_71
; %bb.32:                               ;   in Loop: Header=BB75_4 Depth=1
	s_and_not1_b32 vcc_lo, exec_lo, s23
	s_wait_alu 0xfffe
	s_cbranch_vccz .LBB75_72
.LBB75_33:                              ;   in Loop: Header=BB75_4 Depth=1
	s_wait_alu 0xfffe
	s_and_not1_b32 vcc_lo, exec_lo, s22
	s_mov_b64 s[22:23], s[6:7]
	s_wait_alu 0xfffe
	s_cbranch_vccz .LBB75_73
.LBB75_34:                              ;   in Loop: Header=BB75_4 Depth=1
	v_dual_mov_b32 v17, s22 :: v_dual_mov_b32 v18, s23
	s_and_not1_b32 vcc_lo, exec_lo, s28
	s_wait_alu 0xfffe
	s_cbranch_vccnz .LBB75_36
.LBB75_35:                              ;   in Loop: Header=BB75_4 Depth=1
	v_and_b32_e32 v1, 1, v19
	s_delay_alu instid0(VALU_DEP_1)
	v_cmp_eq_u64_e32 vcc_lo, 0, v[1:2]
	s_wait_alu 0xfffd
	v_cndmask_b32_e64 v18, -1, 0, vcc_lo
	v_cndmask_b32_e64 v17, -1, 1, vcc_lo
.LBB75_36:                              ;   in Loop: Header=BB75_4 Depth=1
	s_wait_alu 0xfffe
	s_or_b32 exec_lo, exec_lo, s27
                                        ; implicit-def: $vgpr19_vgpr20
	s_delay_alu instid0(SALU_CYCLE_1)
	s_mov_b32 s22, exec_lo
	v_cmpx_lt_i64_e32 -1, v[15:16]
	s_wait_alu 0xfffe
	s_xor_b32 s27, exec_lo, s22
	s_cbranch_execz .LBB75_42
; %bb.37:                               ;   in Loop: Header=BB75_4 Depth=1
	v_mov_b32_e32 v19, 1
	v_mov_b32_e32 v20, 0
	s_mov_b32 s28, exec_lo
	v_cmpx_ne_u64_e32 0, v[15:16]
	s_cbranch_execz .LBB75_41
; %bb.38:                               ;   in Loop: Header=BB75_4 Depth=1
	v_mov_b32_e32 v19, 1
	v_mov_b32_e32 v20, 0
	s_mov_b32 s29, 0
	s_mov_b64 s[22:23], s[6:7]
.LBB75_39:                              ;   Parent Loop BB75_4 Depth=1
                                        ; =>  This Inner Loop Header: Depth=2
	s_delay_alu instid0(VALU_DEP_2) | instskip(NEXT) | instid1(VALU_DEP_1)
	v_and_b32_e32 v1, 1, v15
	v_cmp_eq_u32_e32 vcc_lo, 1, v1
	s_wait_alu 0xfffc
	v_cndmask_b32_e64 v1, 1, s22, vcc_lo
	v_cndmask_b32_e64 v21, 0, s23, vcc_lo
	v_cmp_gt_u64_e32 vcc_lo, 2, v[15:16]
	s_mul_u64 s[22:23], s[22:23], s[22:23]
	s_delay_alu instid0(VALU_DEP_3) | instskip(NEXT) | instid1(VALU_DEP_3)
	v_mul_lo_u32 v23, v1, v20
	v_mul_lo_u32 v24, v21, v19
	v_mad_co_u64_u32 v[19:20], null, v1, v19, 0
	v_lshrrev_b64 v[21:22], 1, v[15:16]
	s_or_b32 s29, vcc_lo, s29
	s_delay_alu instid0(VALU_DEP_1) | instskip(NEXT) | instid1(VALU_DEP_3)
	v_dual_mov_b32 v15, v21 :: v_dual_mov_b32 v16, v22
	v_add3_u32 v20, v20, v23, v24
	s_and_not1_b32 exec_lo, exec_lo, s29
	s_cbranch_execnz .LBB75_39
; %bb.40:                               ;   in Loop: Header=BB75_4 Depth=1
	s_or_b32 exec_lo, exec_lo, s29
.LBB75_41:                              ;   in Loop: Header=BB75_4 Depth=1
	s_delay_alu instid0(SALU_CYCLE_1)
	s_or_b32 exec_lo, exec_lo, s28
                                        ; implicit-def: $vgpr15_vgpr16
.LBB75_42:                              ;   in Loop: Header=BB75_4 Depth=1
	s_wait_alu 0xfffe
	s_and_not1_saveexec_b32 s27, s27
	s_cbranch_execz .LBB75_48
; %bb.43:                               ;   in Loop: Header=BB75_4 Depth=1
	v_cmp_lt_i64_e64 s22, s[6:7], 1
	s_mov_b32 s23, -1
	s_mov_b32 s28, 0
	s_and_b32 vcc_lo, exec_lo, s22
	s_mov_b32 s22, 0
	s_wait_alu 0xfffe
	s_cbranch_vccz .LBB75_74
; %bb.44:                               ;   in Loop: Header=BB75_4 Depth=1
	s_and_not1_b32 vcc_lo, exec_lo, s23
	s_wait_alu 0xfffe
	s_cbranch_vccz .LBB75_75
.LBB75_45:                              ;   in Loop: Header=BB75_4 Depth=1
	s_wait_alu 0xfffe
	s_and_not1_b32 vcc_lo, exec_lo, s22
	s_mov_b64 s[22:23], s[6:7]
	s_wait_alu 0xfffe
	s_cbranch_vccz .LBB75_76
.LBB75_46:                              ;   in Loop: Header=BB75_4 Depth=1
	v_dual_mov_b32 v19, s22 :: v_dual_mov_b32 v20, s23
	s_and_not1_b32 vcc_lo, exec_lo, s28
	s_wait_alu 0xfffe
	s_cbranch_vccnz .LBB75_48
.LBB75_47:                              ;   in Loop: Header=BB75_4 Depth=1
	v_and_b32_e32 v1, 1, v15
	s_delay_alu instid0(VALU_DEP_1)
	v_cmp_eq_u64_e32 vcc_lo, 0, v[1:2]
	s_wait_alu 0xfffd
	v_cndmask_b32_e64 v20, -1, 0, vcc_lo
	v_cndmask_b32_e64 v19, -1, 1, vcc_lo
.LBB75_48:                              ;   in Loop: Header=BB75_4 Depth=1
	s_wait_alu 0xfffe
	s_or_b32 exec_lo, exec_lo, s27
                                        ; implicit-def: $vgpr15_vgpr16
	s_delay_alu instid0(SALU_CYCLE_1)
	s_mov_b32 s22, exec_lo
	v_cmpx_lt_i64_e32 -1, v[11:12]
	s_wait_alu 0xfffe
	s_xor_b32 s27, exec_lo, s22
	s_cbranch_execz .LBB75_54
; %bb.49:                               ;   in Loop: Header=BB75_4 Depth=1
	v_mov_b32_e32 v15, 1
	v_mov_b32_e32 v16, 0
	s_mov_b32 s28, exec_lo
	v_cmpx_ne_u64_e32 0, v[11:12]
	s_cbranch_execz .LBB75_53
; %bb.50:                               ;   in Loop: Header=BB75_4 Depth=1
	v_mov_b32_e32 v15, 1
	v_mov_b32_e32 v16, 0
	s_mov_b32 s29, 0
	s_mov_b64 s[22:23], s[6:7]
.LBB75_51:                              ;   Parent Loop BB75_4 Depth=1
                                        ; =>  This Inner Loop Header: Depth=2
	s_delay_alu instid0(VALU_DEP_2) | instskip(NEXT) | instid1(VALU_DEP_1)
	v_and_b32_e32 v1, 1, v11
	v_cmp_eq_u32_e32 vcc_lo, 1, v1
	s_wait_alu 0xfffc
	v_cndmask_b32_e64 v1, 1, s22, vcc_lo
	v_cndmask_b32_e64 v21, 0, s23, vcc_lo
	v_cmp_gt_u64_e32 vcc_lo, 2, v[11:12]
	s_mul_u64 s[22:23], s[22:23], s[22:23]
	s_delay_alu instid0(VALU_DEP_3) | instskip(NEXT) | instid1(VALU_DEP_3)
	v_mul_lo_u32 v23, v1, v16
	v_mul_lo_u32 v24, v21, v15
	v_mad_co_u64_u32 v[15:16], null, v1, v15, 0
	v_lshrrev_b64 v[21:22], 1, v[11:12]
	s_or_b32 s29, vcc_lo, s29
	s_delay_alu instid0(VALU_DEP_1) | instskip(NEXT) | instid1(VALU_DEP_3)
	v_dual_mov_b32 v11, v21 :: v_dual_mov_b32 v12, v22
	v_add3_u32 v16, v16, v23, v24
	s_and_not1_b32 exec_lo, exec_lo, s29
	s_cbranch_execnz .LBB75_51
; %bb.52:                               ;   in Loop: Header=BB75_4 Depth=1
	s_or_b32 exec_lo, exec_lo, s29
.LBB75_53:                              ;   in Loop: Header=BB75_4 Depth=1
	s_delay_alu instid0(SALU_CYCLE_1)
	s_or_b32 exec_lo, exec_lo, s28
                                        ; implicit-def: $vgpr11_vgpr12
.LBB75_54:                              ;   in Loop: Header=BB75_4 Depth=1
	s_wait_alu 0xfffe
	s_and_not1_saveexec_b32 s27, s27
	s_cbranch_execz .LBB75_60
; %bb.55:                               ;   in Loop: Header=BB75_4 Depth=1
	v_cmp_lt_i64_e64 s22, s[6:7], 1
	s_mov_b32 s23, -1
	s_mov_b32 s28, 0
	s_and_b32 vcc_lo, exec_lo, s22
	s_mov_b32 s22, 0
	s_wait_alu 0xfffe
	s_cbranch_vccz .LBB75_77
; %bb.56:                               ;   in Loop: Header=BB75_4 Depth=1
	s_and_not1_b32 vcc_lo, exec_lo, s23
	s_wait_alu 0xfffe
	s_cbranch_vccz .LBB75_78
.LBB75_57:                              ;   in Loop: Header=BB75_4 Depth=1
	s_wait_alu 0xfffe
	s_and_not1_b32 vcc_lo, exec_lo, s22
	s_mov_b64 s[22:23], s[6:7]
	s_wait_alu 0xfffe
	s_cbranch_vccz .LBB75_79
.LBB75_58:                              ;   in Loop: Header=BB75_4 Depth=1
	v_dual_mov_b32 v15, s22 :: v_dual_mov_b32 v16, s23
	s_and_not1_b32 vcc_lo, exec_lo, s28
	s_wait_alu 0xfffe
	s_cbranch_vccnz .LBB75_60
.LBB75_59:                              ;   in Loop: Header=BB75_4 Depth=1
	v_and_b32_e32 v1, 1, v11
	s_delay_alu instid0(VALU_DEP_1)
	v_cmp_eq_u64_e32 vcc_lo, 0, v[1:2]
	s_wait_alu 0xfffd
	v_cndmask_b32_e64 v16, -1, 0, vcc_lo
	v_cndmask_b32_e64 v15, -1, 1, vcc_lo
.LBB75_60:                              ;   in Loop: Header=BB75_4 Depth=1
	s_wait_alu 0xfffe
	s_or_b32 exec_lo, exec_lo, s27
	s_and_saveexec_b32 s22, s2
	s_wait_alu 0xfffe
	s_xor_b32 s2, exec_lo, s22
	s_cbranch_execnz .LBB75_64
; %bb.61:                               ;   in Loop: Header=BB75_4 Depth=1
	s_wait_alu 0xfffe
	s_or_b32 exec_lo, exec_lo, s2
	s_and_saveexec_b32 s2, s3
	s_cbranch_execnz .LBB75_65
.LBB75_62:                              ;   in Loop: Header=BB75_4 Depth=1
	s_wait_alu 0xfffe
	s_or_b32 exec_lo, exec_lo, s2
	s_and_saveexec_b32 s2, s4
	s_cbranch_execnz .LBB75_66
.LBB75_63:                              ;   in Loop: Header=BB75_4 Depth=1
	s_wait_alu 0xfffe
	s_or_b32 exec_lo, exec_lo, s2
	s_and_saveexec_b32 s2, s5
	s_cbranch_execz .LBB75_3
	s_branch .LBB75_67
.LBB75_64:                              ;   in Loop: Header=BB75_4 Depth=1
	v_add_co_u32 v3, vcc_lo, s10, v3
	s_wait_alu 0xfffd
	v_add_co_ci_u32_e64 v4, null, s11, v4, vcc_lo
	global_store_b64 v[3:4], v[13:14], off
	s_wait_alu 0xfffe
	s_or_b32 exec_lo, exec_lo, s2
	s_and_saveexec_b32 s2, s3
	s_cbranch_execz .LBB75_62
.LBB75_65:                              ;   in Loop: Header=BB75_4 Depth=1
	v_add_co_u32 v3, vcc_lo, s10, v5
	s_wait_alu 0xfffd
	v_add_co_ci_u32_e64 v4, null, s11, v6, vcc_lo
	global_store_b64 v[3:4], v[17:18], off
	s_wait_alu 0xfffe
	s_or_b32 exec_lo, exec_lo, s2
	s_and_saveexec_b32 s2, s4
	s_cbranch_execz .LBB75_63
.LBB75_66:                              ;   in Loop: Header=BB75_4 Depth=1
	v_add_co_u32 v3, vcc_lo, s10, v7
	s_wait_alu 0xfffd
	v_add_co_ci_u32_e64 v4, null, s11, v8, vcc_lo
	global_store_b64 v[3:4], v[19:20], off
	s_wait_alu 0xfffe
	s_or_b32 exec_lo, exec_lo, s2
	s_and_saveexec_b32 s2, s5
	s_cbranch_execz .LBB75_3
.LBB75_67:                              ;   in Loop: Header=BB75_4 Depth=1
	v_add_co_u32 v3, vcc_lo, s10, v9
	s_wait_alu 0xfffd
	v_add_co_ci_u32_e64 v4, null, s11, v10, vcc_lo
	global_store_b64 v[3:4], v[15:16], off
	s_branch .LBB75_3
.LBB75_68:                              ;   in Loop: Header=BB75_4 Depth=1
	s_cmp_lg_u64 s[6:7], 1
	s_cselect_b32 s22, -1, 0
	s_cbranch_execnz .LBB75_21
.LBB75_69:                              ;   in Loop: Header=BB75_4 Depth=1
	s_cmp_lg_u64 s[6:7], -1
	s_mov_b32 s28, -1
	s_cselect_b32 s22, -1, 0
	s_wait_alu 0xfffe
	s_and_not1_b32 vcc_lo, exec_lo, s22
	s_mov_b64 s[22:23], s[6:7]
	s_wait_alu 0xfffe
	s_cbranch_vccnz .LBB75_22
.LBB75_70:                              ;   in Loop: Header=BB75_4 Depth=1
	s_mov_b64 s[22:23], 0
	s_wait_alu 0xfffe
	v_dual_mov_b32 v13, s22 :: v_dual_mov_b32 v14, s23
	s_cbranch_execz .LBB75_23
	s_branch .LBB75_24
.LBB75_71:                              ;   in Loop: Header=BB75_4 Depth=1
	s_cmp_lg_u64 s[6:7], 1
	s_cselect_b32 s22, -1, 0
	s_cbranch_execnz .LBB75_33
.LBB75_72:                              ;   in Loop: Header=BB75_4 Depth=1
	s_cmp_lg_u64 s[6:7], -1
	s_mov_b32 s28, -1
	s_cselect_b32 s22, -1, 0
	s_wait_alu 0xfffe
	s_and_not1_b32 vcc_lo, exec_lo, s22
	s_mov_b64 s[22:23], s[6:7]
	s_wait_alu 0xfffe
	s_cbranch_vccnz .LBB75_34
.LBB75_73:                              ;   in Loop: Header=BB75_4 Depth=1
	s_mov_b64 s[22:23], 0
	s_wait_alu 0xfffe
	v_dual_mov_b32 v17, s22 :: v_dual_mov_b32 v18, s23
	s_cbranch_execz .LBB75_35
	s_branch .LBB75_36
.LBB75_74:                              ;   in Loop: Header=BB75_4 Depth=1
	s_cmp_lg_u64 s[6:7], 1
	s_cselect_b32 s22, -1, 0
	s_cbranch_execnz .LBB75_45
.LBB75_75:                              ;   in Loop: Header=BB75_4 Depth=1
	s_cmp_lg_u64 s[6:7], -1
	s_mov_b32 s28, -1
	s_cselect_b32 s22, -1, 0
	s_wait_alu 0xfffe
	s_and_not1_b32 vcc_lo, exec_lo, s22
	s_mov_b64 s[22:23], s[6:7]
	s_wait_alu 0xfffe
	s_cbranch_vccnz .LBB75_46
.LBB75_76:                              ;   in Loop: Header=BB75_4 Depth=1
	s_mov_b64 s[22:23], 0
	s_wait_alu 0xfffe
	v_dual_mov_b32 v19, s22 :: v_dual_mov_b32 v20, s23
	s_cbranch_execz .LBB75_47
	s_branch .LBB75_48
.LBB75_77:                              ;   in Loop: Header=BB75_4 Depth=1
	s_cmp_lg_u64 s[6:7], 1
	s_cselect_b32 s22, -1, 0
	s_cbranch_execnz .LBB75_57
.LBB75_78:                              ;   in Loop: Header=BB75_4 Depth=1
	s_cmp_lg_u64 s[6:7], -1
	s_mov_b32 s28, -1
	s_cselect_b32 s22, -1, 0
	s_wait_alu 0xfffe
	s_and_not1_b32 vcc_lo, exec_lo, s22
	s_mov_b64 s[22:23], s[6:7]
	s_wait_alu 0xfffe
	s_cbranch_vccnz .LBB75_58
.LBB75_79:                              ;   in Loop: Header=BB75_4 Depth=1
	s_mov_b64 s[22:23], 0
	s_wait_alu 0xfffe
	v_dual_mov_b32 v15, s22 :: v_dual_mov_b32 v16, s23
	s_cbranch_execz .LBB75_59
	s_branch .LBB75_60
.LBB75_80:
	s_mov_b32 s2, 0
.LBB75_81:
	s_wait_alu 0xfffe
	s_and_not1_b32 vcc_lo, exec_lo, s2
	s_wait_alu 0xfffe
	s_cbranch_vccnz .LBB75_145
; %bb.82:
	v_cmp_gt_i64_e64 s2, 0x10000, s[12:13]
	v_dual_mov_b32 v14, 0 :: v_dual_lshlrev_b32 v13, 2, v0
	s_mov_b32 s4, 0
	s_mov_b32 s5, exec_lo
	s_and_b32 s2, s2, exec_lo
	s_cselect_b32 s3, s13, 0
	s_cselect_b32 s2, s12, 0x10000
	s_wait_alu 0xfffe
	v_cmpx_gt_i64_e64 s[2:3], v[13:14]
	s_cbranch_execz .LBB75_145
; %bb.83:
	s_load_b32 s0, s[0:1], 0xc64
	v_mov_b32_e32 v1, v14
	s_wait_kmcnt 0x0
	s_and_b32 s5, s0, 0xffff
	s_branch .LBB75_85
.LBB75_84:                              ;   in Loop: Header=BB75_85 Depth=1
	s_wait_alu 0xfffe
	s_or_b32 exec_lo, exec_lo, s12
	v_add_co_u32 v0, vcc_lo, v0, s5
	s_wait_alu 0xfffd
	v_add_co_ci_u32_e64 v1, null, 0, v1, vcc_lo
	s_delay_alu instid0(VALU_DEP_1) | instskip(NEXT) | instid1(VALU_DEP_1)
	v_lshlrev_b64_e32 v[2:3], 2, v[0:1]
	v_cmp_le_i64_e32 vcc_lo, s[2:3], v[2:3]
	v_add_co_u32 v2, s0, s10, v15
	s_wait_alu 0xf1ff
	v_add_co_ci_u32_e64 v3, null, s11, v16, s0
	s_clause 0x1
	global_store_b128 v[2:3], v[6:9], off
	global_store_b128 v[2:3], v[10:13], off offset:16
	s_or_b32 s4, vcc_lo, s4
	s_wait_alu 0xfffe
	s_and_not1_b32 exec_lo, exec_lo, s4
	s_cbranch_execz .LBB75_145
.LBB75_85:                              ; =>This Loop Header: Depth=1
                                        ;     Child Loop BB75_88 Depth 2
                                        ;     Child Loop BB75_100 Depth 2
	;; [unrolled: 1-line block ×4, first 2 shown]
	s_delay_alu instid0(VALU_DEP_1) | instskip(SKIP_1) | instid1(VALU_DEP_1)
	v_lshlrev_b64_e32 v[15:16], 5, v[0:1]
                                        ; implicit-def: $vgpr6_vgpr7
	s_mov_b32 s0, exec_lo
	v_add_co_u32 v2, vcc_lo, s8, v15
	s_wait_alu 0xfffd
	s_delay_alu instid0(VALU_DEP_2)
	v_add_co_ci_u32_e64 v3, null, s9, v16, vcc_lo
	s_clause 0x1
	global_load_b128 v[8:11], v[2:3], off
	global_load_b128 v[2:5], v[2:3], off offset:16
	s_wait_loadcnt 0x1
	v_cmpx_lt_i64_e32 -1, v[8:9]
	s_wait_alu 0xfffe
	s_xor_b32 s12, exec_lo, s0
	s_cbranch_execz .LBB75_91
; %bb.86:                               ;   in Loop: Header=BB75_85 Depth=1
	v_mov_b32_e32 v6, 1
	v_mov_b32_e32 v7, 0
	s_mov_b32 s13, exec_lo
	v_cmpx_ne_u64_e32 0, v[8:9]
	s_cbranch_execz .LBB75_90
; %bb.87:                               ;   in Loop: Header=BB75_85 Depth=1
	v_mov_b32_e32 v6, 1
	v_mov_b32_e32 v7, 0
	s_mov_b32 s14, 0
	s_mov_b64 s[0:1], s[6:7]
.LBB75_88:                              ;   Parent Loop BB75_85 Depth=1
                                        ; =>  This Inner Loop Header: Depth=2
	s_delay_alu instid0(VALU_DEP_2) | instskip(NEXT) | instid1(VALU_DEP_1)
	v_and_b32_e32 v12, 1, v8
	v_cmp_eq_u32_e32 vcc_lo, 1, v12
	s_wait_alu 0xfffc
	v_cndmask_b32_e64 v12, 1, s0, vcc_lo
	v_cndmask_b32_e64 v13, 0, s1, vcc_lo
	v_cmp_gt_u64_e32 vcc_lo, 2, v[8:9]
	s_mul_u64 s[0:1], s[0:1], s[0:1]
	s_delay_alu instid0(VALU_DEP_3) | instskip(NEXT) | instid1(VALU_DEP_3)
	v_mul_lo_u32 v17, v12, v7
	v_mul_lo_u32 v18, v13, v6
	v_mad_co_u64_u32 v[6:7], null, v12, v6, 0
	v_lshrrev_b64 v[12:13], 1, v[8:9]
	s_or_b32 s14, vcc_lo, s14
	s_delay_alu instid0(VALU_DEP_1) | instskip(NEXT) | instid1(VALU_DEP_3)
	v_dual_mov_b32 v8, v12 :: v_dual_mov_b32 v9, v13
	v_add3_u32 v7, v7, v17, v18
	s_and_not1_b32 exec_lo, exec_lo, s14
	s_cbranch_execnz .LBB75_88
; %bb.89:                               ;   in Loop: Header=BB75_85 Depth=1
	s_or_b32 exec_lo, exec_lo, s14
.LBB75_90:                              ;   in Loop: Header=BB75_85 Depth=1
	s_wait_alu 0xfffe
	s_or_b32 exec_lo, exec_lo, s13
.LBB75_91:                              ;   in Loop: Header=BB75_85 Depth=1
	s_wait_alu 0xfffe
	s_and_not1_saveexec_b32 s12, s12
	s_cbranch_execz .LBB75_97
; %bb.92:                               ;   in Loop: Header=BB75_85 Depth=1
	v_cmp_lt_i64_e64 s0, s[6:7], 1
	s_mov_b32 s1, -1
	s_mov_b32 s13, 0
	s_and_b32 vcc_lo, exec_lo, s0
	s_mov_b32 s0, 0
	s_wait_alu 0xfffe
	s_cbranch_vccz .LBB75_132
; %bb.93:                               ;   in Loop: Header=BB75_85 Depth=1
	s_and_not1_b32 vcc_lo, exec_lo, s1
	s_wait_alu 0xfffe
	s_cbranch_vccz .LBB75_133
.LBB75_94:                              ;   in Loop: Header=BB75_85 Depth=1
	s_wait_alu 0xfffe
	s_and_not1_b32 vcc_lo, exec_lo, s0
	s_mov_b64 s[0:1], s[6:7]
	s_wait_alu 0xfffe
	s_cbranch_vccz .LBB75_134
.LBB75_95:                              ;   in Loop: Header=BB75_85 Depth=1
	v_dual_mov_b32 v7, s1 :: v_dual_mov_b32 v6, s0
	s_and_not1_b32 vcc_lo, exec_lo, s13
	s_wait_alu 0xfffe
	s_cbranch_vccnz .LBB75_97
.LBB75_96:                              ;   in Loop: Header=BB75_85 Depth=1
	v_and_b32_e32 v13, 1, v8
	s_delay_alu instid0(VALU_DEP_1)
	v_cmp_eq_u64_e32 vcc_lo, 0, v[13:14]
	s_wait_alu 0xfffd
	v_cndmask_b32_e64 v7, -1, 0, vcc_lo
	v_cndmask_b32_e64 v6, -1, 1, vcc_lo
.LBB75_97:                              ;   in Loop: Header=BB75_85 Depth=1
	s_wait_alu 0xfffe
	s_or_b32 exec_lo, exec_lo, s12
	s_delay_alu instid0(SALU_CYCLE_1)
	s_mov_b32 s0, exec_lo
	v_cmpx_lt_i64_e32 -1, v[10:11]
	s_wait_alu 0xfffe
	s_xor_b32 s12, exec_lo, s0
	s_cbranch_execz .LBB75_103
; %bb.98:                               ;   in Loop: Header=BB75_85 Depth=1
	v_mov_b32_e32 v8, 1
	v_mov_b32_e32 v9, 0
	s_mov_b32 s13, exec_lo
	v_cmpx_ne_u64_e32 0, v[10:11]
	s_cbranch_execz .LBB75_102
; %bb.99:                               ;   in Loop: Header=BB75_85 Depth=1
	v_mov_b32_e32 v8, 1
	v_mov_b32_e32 v9, 0
	s_mov_b32 s14, 0
	s_mov_b64 s[0:1], s[6:7]
.LBB75_100:                             ;   Parent Loop BB75_85 Depth=1
                                        ; =>  This Inner Loop Header: Depth=2
	s_delay_alu instid0(VALU_DEP_2) | instskip(NEXT) | instid1(VALU_DEP_1)
	v_and_b32_e32 v12, 1, v10
	v_cmp_eq_u32_e32 vcc_lo, 1, v12
	s_wait_alu 0xfffc
	v_cndmask_b32_e64 v12, 1, s0, vcc_lo
	v_cndmask_b32_e64 v13, 0, s1, vcc_lo
	v_cmp_gt_u64_e32 vcc_lo, 2, v[10:11]
	s_mul_u64 s[0:1], s[0:1], s[0:1]
	s_delay_alu instid0(VALU_DEP_3) | instskip(NEXT) | instid1(VALU_DEP_3)
	v_mul_lo_u32 v17, v12, v9
	v_mul_lo_u32 v18, v13, v8
	v_mad_co_u64_u32 v[8:9], null, v12, v8, 0
	v_lshrrev_b64 v[12:13], 1, v[10:11]
	s_or_b32 s14, vcc_lo, s14
	s_delay_alu instid0(VALU_DEP_1) | instskip(NEXT) | instid1(VALU_DEP_3)
	v_dual_mov_b32 v10, v12 :: v_dual_mov_b32 v11, v13
	v_add3_u32 v9, v9, v17, v18
	s_and_not1_b32 exec_lo, exec_lo, s14
	s_cbranch_execnz .LBB75_100
; %bb.101:                              ;   in Loop: Header=BB75_85 Depth=1
	s_or_b32 exec_lo, exec_lo, s14
.LBB75_102:                             ;   in Loop: Header=BB75_85 Depth=1
	s_wait_alu 0xfffe
	s_or_b32 exec_lo, exec_lo, s13
                                        ; implicit-def: $vgpr10_vgpr11
.LBB75_103:                             ;   in Loop: Header=BB75_85 Depth=1
	s_wait_alu 0xfffe
	s_and_not1_saveexec_b32 s12, s12
	s_cbranch_execz .LBB75_109
; %bb.104:                              ;   in Loop: Header=BB75_85 Depth=1
	v_cmp_lt_i64_e64 s0, s[6:7], 1
	s_mov_b32 s1, -1
	s_mov_b32 s13, 0
	s_and_b32 vcc_lo, exec_lo, s0
	s_mov_b32 s0, 0
	s_wait_alu 0xfffe
	s_cbranch_vccz .LBB75_135
; %bb.105:                              ;   in Loop: Header=BB75_85 Depth=1
	s_and_not1_b32 vcc_lo, exec_lo, s1
	s_wait_alu 0xfffe
	s_cbranch_vccz .LBB75_136
.LBB75_106:                             ;   in Loop: Header=BB75_85 Depth=1
	s_wait_alu 0xfffe
	s_and_not1_b32 vcc_lo, exec_lo, s0
	s_mov_b64 s[0:1], s[6:7]
	s_wait_alu 0xfffe
	s_cbranch_vccz .LBB75_137
.LBB75_107:                             ;   in Loop: Header=BB75_85 Depth=1
	v_dual_mov_b32 v9, s1 :: v_dual_mov_b32 v8, s0
	s_and_not1_b32 vcc_lo, exec_lo, s13
	s_wait_alu 0xfffe
	s_cbranch_vccnz .LBB75_109
.LBB75_108:                             ;   in Loop: Header=BB75_85 Depth=1
	v_and_b32_e32 v13, 1, v10
	s_delay_alu instid0(VALU_DEP_1)
	v_cmp_eq_u64_e32 vcc_lo, 0, v[13:14]
	s_wait_alu 0xfffd
	v_cndmask_b32_e64 v9, -1, 0, vcc_lo
	v_cndmask_b32_e64 v8, -1, 1, vcc_lo
.LBB75_109:                             ;   in Loop: Header=BB75_85 Depth=1
	s_wait_alu 0xfffe
	s_or_b32 exec_lo, exec_lo, s12
                                        ; implicit-def: $vgpr10_vgpr11
	s_delay_alu instid0(SALU_CYCLE_1)
	s_mov_b32 s0, exec_lo
	s_wait_loadcnt 0x0
	v_cmpx_lt_i64_e32 -1, v[2:3]
	s_wait_alu 0xfffe
	s_xor_b32 s12, exec_lo, s0
	s_cbranch_execz .LBB75_115
; %bb.110:                              ;   in Loop: Header=BB75_85 Depth=1
	v_mov_b32_e32 v10, 1
	v_mov_b32_e32 v11, 0
	s_mov_b32 s13, exec_lo
	v_cmpx_ne_u64_e32 0, v[2:3]
	s_cbranch_execz .LBB75_114
; %bb.111:                              ;   in Loop: Header=BB75_85 Depth=1
	v_mov_b32_e32 v10, 1
	v_mov_b32_e32 v11, 0
	s_mov_b32 s14, 0
	s_mov_b64 s[0:1], s[6:7]
.LBB75_112:                             ;   Parent Loop BB75_85 Depth=1
                                        ; =>  This Inner Loop Header: Depth=2
	s_delay_alu instid0(VALU_DEP_2) | instskip(NEXT) | instid1(VALU_DEP_1)
	v_and_b32_e32 v12, 1, v2
	v_cmp_eq_u32_e32 vcc_lo, 1, v12
	s_wait_alu 0xfffc
	v_cndmask_b32_e64 v12, 1, s0, vcc_lo
	v_cndmask_b32_e64 v13, 0, s1, vcc_lo
	v_cmp_gt_u64_e32 vcc_lo, 2, v[2:3]
	s_mul_u64 s[0:1], s[0:1], s[0:1]
	s_delay_alu instid0(VALU_DEP_3) | instskip(NEXT) | instid1(VALU_DEP_3)
	v_mul_lo_u32 v17, v12, v11
	v_mul_lo_u32 v18, v13, v10
	v_mad_co_u64_u32 v[10:11], null, v12, v10, 0
	v_lshrrev_b64 v[12:13], 1, v[2:3]
	s_or_b32 s14, vcc_lo, s14
	s_delay_alu instid0(VALU_DEP_1) | instskip(NEXT) | instid1(VALU_DEP_3)
	v_dual_mov_b32 v2, v12 :: v_dual_mov_b32 v3, v13
	v_add3_u32 v11, v11, v17, v18
	s_and_not1_b32 exec_lo, exec_lo, s14
	s_cbranch_execnz .LBB75_112
; %bb.113:                              ;   in Loop: Header=BB75_85 Depth=1
	s_or_b32 exec_lo, exec_lo, s14
.LBB75_114:                             ;   in Loop: Header=BB75_85 Depth=1
	s_wait_alu 0xfffe
	s_or_b32 exec_lo, exec_lo, s13
.LBB75_115:                             ;   in Loop: Header=BB75_85 Depth=1
	s_wait_alu 0xfffe
	s_and_not1_saveexec_b32 s12, s12
	s_cbranch_execz .LBB75_121
; %bb.116:                              ;   in Loop: Header=BB75_85 Depth=1
	v_cmp_lt_i64_e64 s0, s[6:7], 1
	s_mov_b32 s1, -1
	s_mov_b32 s13, 0
	s_and_b32 vcc_lo, exec_lo, s0
	s_mov_b32 s0, 0
	s_wait_alu 0xfffe
	s_cbranch_vccz .LBB75_138
; %bb.117:                              ;   in Loop: Header=BB75_85 Depth=1
	s_and_not1_b32 vcc_lo, exec_lo, s1
	s_wait_alu 0xfffe
	s_cbranch_vccz .LBB75_139
.LBB75_118:                             ;   in Loop: Header=BB75_85 Depth=1
	s_wait_alu 0xfffe
	s_and_not1_b32 vcc_lo, exec_lo, s0
	s_mov_b64 s[0:1], s[6:7]
	s_wait_alu 0xfffe
	s_cbranch_vccz .LBB75_140
.LBB75_119:                             ;   in Loop: Header=BB75_85 Depth=1
	v_dual_mov_b32 v11, s1 :: v_dual_mov_b32 v10, s0
	s_and_not1_b32 vcc_lo, exec_lo, s13
	s_wait_alu 0xfffe
	s_cbranch_vccnz .LBB75_121
.LBB75_120:                             ;   in Loop: Header=BB75_85 Depth=1
	v_and_b32_e32 v13, 1, v2
	s_delay_alu instid0(VALU_DEP_1)
	v_cmp_eq_u64_e32 vcc_lo, 0, v[13:14]
	s_wait_alu 0xfffd
	v_cndmask_b32_e64 v11, -1, 0, vcc_lo
	v_cndmask_b32_e64 v10, -1, 1, vcc_lo
.LBB75_121:                             ;   in Loop: Header=BB75_85 Depth=1
	s_wait_alu 0xfffe
	s_or_b32 exec_lo, exec_lo, s12
	s_delay_alu instid0(SALU_CYCLE_1)
	s_mov_b32 s0, exec_lo
	v_cmpx_lt_i64_e32 -1, v[4:5]
	s_wait_alu 0xfffe
	s_xor_b32 s12, exec_lo, s0
	s_cbranch_execz .LBB75_127
; %bb.122:                              ;   in Loop: Header=BB75_85 Depth=1
	v_mov_b32_e32 v12, 1
	v_mov_b32_e32 v13, 0
	s_mov_b32 s13, exec_lo
	v_cmpx_ne_u64_e32 0, v[4:5]
	s_cbranch_execz .LBB75_126
; %bb.123:                              ;   in Loop: Header=BB75_85 Depth=1
	v_mov_b32_e32 v12, 1
	v_mov_b32_e32 v13, 0
	s_mov_b32 s14, 0
	s_mov_b64 s[0:1], s[6:7]
.LBB75_124:                             ;   Parent Loop BB75_85 Depth=1
                                        ; =>  This Inner Loop Header: Depth=2
	s_delay_alu instid0(VALU_DEP_2) | instskip(NEXT) | instid1(VALU_DEP_1)
	v_and_b32_e32 v2, 1, v4
	v_cmp_eq_u32_e32 vcc_lo, 1, v2
	s_wait_alu 0xfffc
	v_cndmask_b32_e64 v2, 1, s0, vcc_lo
	v_cndmask_b32_e64 v3, 0, s1, vcc_lo
	v_cmp_gt_u64_e32 vcc_lo, 2, v[4:5]
	s_mul_u64 s[0:1], s[0:1], s[0:1]
	s_delay_alu instid0(VALU_DEP_3) | instskip(NEXT) | instid1(VALU_DEP_3)
	v_mul_lo_u32 v17, v2, v13
	v_mul_lo_u32 v18, v3, v12
	v_mad_co_u64_u32 v[12:13], null, v2, v12, 0
	v_lshrrev_b64 v[2:3], 1, v[4:5]
	s_or_b32 s14, vcc_lo, s14
	s_delay_alu instid0(VALU_DEP_1) | instskip(NEXT) | instid1(VALU_DEP_3)
	v_dual_mov_b32 v5, v3 :: v_dual_mov_b32 v4, v2
	v_add3_u32 v13, v13, v17, v18
	s_and_not1_b32 exec_lo, exec_lo, s14
	s_cbranch_execnz .LBB75_124
; %bb.125:                              ;   in Loop: Header=BB75_85 Depth=1
	s_or_b32 exec_lo, exec_lo, s14
.LBB75_126:                             ;   in Loop: Header=BB75_85 Depth=1
	s_wait_alu 0xfffe
	s_or_b32 exec_lo, exec_lo, s13
                                        ; implicit-def: $vgpr4_vgpr5
.LBB75_127:                             ;   in Loop: Header=BB75_85 Depth=1
	s_wait_alu 0xfffe
	s_and_not1_saveexec_b32 s12, s12
	s_cbranch_execz .LBB75_84
; %bb.128:                              ;   in Loop: Header=BB75_85 Depth=1
	v_cmp_lt_i64_e64 s0, s[6:7], 1
	s_mov_b32 s1, -1
	s_mov_b32 s13, 0
	s_and_b32 vcc_lo, exec_lo, s0
	s_mov_b32 s0, 0
	s_wait_alu 0xfffe
	s_cbranch_vccz .LBB75_141
; %bb.129:                              ;   in Loop: Header=BB75_85 Depth=1
	s_and_not1_b32 vcc_lo, exec_lo, s1
	s_wait_alu 0xfffe
	s_cbranch_vccz .LBB75_142
.LBB75_130:                             ;   in Loop: Header=BB75_85 Depth=1
	s_wait_alu 0xfffe
	s_and_not1_b32 vcc_lo, exec_lo, s0
	s_mov_b64 s[0:1], s[6:7]
	s_wait_alu 0xfffe
	s_cbranch_vccz .LBB75_143
.LBB75_131:                             ;   in Loop: Header=BB75_85 Depth=1
	v_dual_mov_b32 v13, s1 :: v_dual_mov_b32 v12, s0
	s_and_not1_b32 vcc_lo, exec_lo, s13
	s_wait_alu 0xfffe
	s_cbranch_vccnz .LBB75_84
	s_branch .LBB75_144
.LBB75_132:                             ;   in Loop: Header=BB75_85 Depth=1
	s_cmp_lg_u64 s[6:7], 1
	s_cselect_b32 s0, -1, 0
	s_cbranch_execnz .LBB75_94
.LBB75_133:                             ;   in Loop: Header=BB75_85 Depth=1
	s_cmp_lg_u64 s[6:7], -1
	s_mov_b32 s13, -1
	s_cselect_b32 s0, -1, 0
	s_wait_alu 0xfffe
	s_and_not1_b32 vcc_lo, exec_lo, s0
	s_mov_b64 s[0:1], s[6:7]
	s_wait_alu 0xfffe
	s_cbranch_vccnz .LBB75_95
.LBB75_134:                             ;   in Loop: Header=BB75_85 Depth=1
	s_mov_b64 s[0:1], 0
	s_wait_alu 0xfffe
	v_dual_mov_b32 v7, s1 :: v_dual_mov_b32 v6, s0
	s_cbranch_execz .LBB75_96
	s_branch .LBB75_97
.LBB75_135:                             ;   in Loop: Header=BB75_85 Depth=1
	s_cmp_lg_u64 s[6:7], 1
	s_cselect_b32 s0, -1, 0
	s_cbranch_execnz .LBB75_106
.LBB75_136:                             ;   in Loop: Header=BB75_85 Depth=1
	s_cmp_lg_u64 s[6:7], -1
	s_mov_b32 s13, -1
	s_cselect_b32 s0, -1, 0
	s_wait_alu 0xfffe
	s_and_not1_b32 vcc_lo, exec_lo, s0
	s_mov_b64 s[0:1], s[6:7]
	s_wait_alu 0xfffe
	s_cbranch_vccnz .LBB75_107
.LBB75_137:                             ;   in Loop: Header=BB75_85 Depth=1
	s_mov_b64 s[0:1], 0
	s_wait_alu 0xfffe
	v_dual_mov_b32 v9, s1 :: v_dual_mov_b32 v8, s0
	s_cbranch_execz .LBB75_108
	s_branch .LBB75_109
.LBB75_138:                             ;   in Loop: Header=BB75_85 Depth=1
	s_cmp_lg_u64 s[6:7], 1
	s_cselect_b32 s0, -1, 0
	s_cbranch_execnz .LBB75_118
.LBB75_139:                             ;   in Loop: Header=BB75_85 Depth=1
	s_cmp_lg_u64 s[6:7], -1
	s_mov_b32 s13, -1
	s_cselect_b32 s0, -1, 0
	s_wait_alu 0xfffe
	s_and_not1_b32 vcc_lo, exec_lo, s0
	s_mov_b64 s[0:1], s[6:7]
	s_wait_alu 0xfffe
	s_cbranch_vccnz .LBB75_119
.LBB75_140:                             ;   in Loop: Header=BB75_85 Depth=1
	s_mov_b64 s[0:1], 0
	s_wait_alu 0xfffe
	v_dual_mov_b32 v11, s1 :: v_dual_mov_b32 v10, s0
	s_cbranch_execz .LBB75_120
	s_branch .LBB75_121
.LBB75_141:                             ;   in Loop: Header=BB75_85 Depth=1
	s_cmp_lg_u64 s[6:7], 1
	s_cselect_b32 s0, -1, 0
	s_cbranch_execnz .LBB75_130
.LBB75_142:                             ;   in Loop: Header=BB75_85 Depth=1
	s_cmp_lg_u64 s[6:7], -1
	s_mov_b32 s13, -1
	s_cselect_b32 s0, -1, 0
	s_wait_alu 0xfffe
	s_and_not1_b32 vcc_lo, exec_lo, s0
	s_mov_b64 s[0:1], s[6:7]
	s_wait_alu 0xfffe
	s_cbranch_vccnz .LBB75_131
.LBB75_143:                             ;   in Loop: Header=BB75_85 Depth=1
	s_mov_b64 s[0:1], 0
	s_wait_alu 0xfffe
	v_dual_mov_b32 v13, s1 :: v_dual_mov_b32 v12, s0
	s_cbranch_execnz .LBB75_84
.LBB75_144:                             ;   in Loop: Header=BB75_85 Depth=1
	v_and_b32_e32 v13, 1, v4
	s_delay_alu instid0(VALU_DEP_1)
	v_cmp_eq_u64_e32 vcc_lo, 0, v[13:14]
	s_wait_alu 0xfffd
	v_cndmask_b32_e64 v13, -1, 0, vcc_lo
	v_cndmask_b32_e64 v12, -1, 1, vcc_lo
	s_branch .LBB75_84
.LBB75_145:
	s_endpgm
	.section	.rodata,"a",@progbits
	.p2align	6, 0x0
	.amdhsa_kernel _ZN2at6native12_GLOBAL__N_125multi_tensor_apply_kernelINS1_18TensorListMetadataILi2EEENS1_21BinaryOpScalarFunctorIlLi2ELi1ELi1EEEJNS1_21reverse_power_functorIlEElEEEvT_T0_DpT1_
		.amdhsa_group_segment_fixed_size 0
		.amdhsa_private_segment_fixed_size 0
		.amdhsa_kernarg_size 3416
		.amdhsa_user_sgpr_count 2
		.amdhsa_user_sgpr_dispatch_ptr 0
		.amdhsa_user_sgpr_queue_ptr 0
		.amdhsa_user_sgpr_kernarg_segment_ptr 1
		.amdhsa_user_sgpr_dispatch_id 0
		.amdhsa_user_sgpr_private_segment_size 0
		.amdhsa_wavefront_size32 1
		.amdhsa_uses_dynamic_stack 0
		.amdhsa_enable_private_segment 0
		.amdhsa_system_sgpr_workgroup_id_x 1
		.amdhsa_system_sgpr_workgroup_id_y 0
		.amdhsa_system_sgpr_workgroup_id_z 0
		.amdhsa_system_sgpr_workgroup_info 0
		.amdhsa_system_vgpr_workitem_id 0
		.amdhsa_next_free_vgpr 25
		.amdhsa_next_free_sgpr 30
		.amdhsa_reserve_vcc 1
		.amdhsa_float_round_mode_32 0
		.amdhsa_float_round_mode_16_64 0
		.amdhsa_float_denorm_mode_32 3
		.amdhsa_float_denorm_mode_16_64 3
		.amdhsa_fp16_overflow 0
		.amdhsa_workgroup_processor_mode 1
		.amdhsa_memory_ordered 1
		.amdhsa_forward_progress 1
		.amdhsa_inst_pref_size 34
		.amdhsa_round_robin_scheduling 0
		.amdhsa_exception_fp_ieee_invalid_op 0
		.amdhsa_exception_fp_denorm_src 0
		.amdhsa_exception_fp_ieee_div_zero 0
		.amdhsa_exception_fp_ieee_overflow 0
		.amdhsa_exception_fp_ieee_underflow 0
		.amdhsa_exception_fp_ieee_inexact 0
		.amdhsa_exception_int_div_zero 0
	.end_amdhsa_kernel
	.section	.text._ZN2at6native12_GLOBAL__N_125multi_tensor_apply_kernelINS1_18TensorListMetadataILi2EEENS1_21BinaryOpScalarFunctorIlLi2ELi1ELi1EEEJNS1_21reverse_power_functorIlEElEEEvT_T0_DpT1_,"axG",@progbits,_ZN2at6native12_GLOBAL__N_125multi_tensor_apply_kernelINS1_18TensorListMetadataILi2EEENS1_21BinaryOpScalarFunctorIlLi2ELi1ELi1EEEJNS1_21reverse_power_functorIlEElEEEvT_T0_DpT1_,comdat
.Lfunc_end75:
	.size	_ZN2at6native12_GLOBAL__N_125multi_tensor_apply_kernelINS1_18TensorListMetadataILi2EEENS1_21BinaryOpScalarFunctorIlLi2ELi1ELi1EEEJNS1_21reverse_power_functorIlEElEEEvT_T0_DpT1_, .Lfunc_end75-_ZN2at6native12_GLOBAL__N_125multi_tensor_apply_kernelINS1_18TensorListMetadataILi2EEENS1_21BinaryOpScalarFunctorIlLi2ELi1ELi1EEEJNS1_21reverse_power_functorIlEElEEEvT_T0_DpT1_
                                        ; -- End function
	.set _ZN2at6native12_GLOBAL__N_125multi_tensor_apply_kernelINS1_18TensorListMetadataILi2EEENS1_21BinaryOpScalarFunctorIlLi2ELi1ELi1EEEJNS1_21reverse_power_functorIlEElEEEvT_T0_DpT1_.num_vgpr, 25
	.set _ZN2at6native12_GLOBAL__N_125multi_tensor_apply_kernelINS1_18TensorListMetadataILi2EEENS1_21BinaryOpScalarFunctorIlLi2ELi1ELi1EEEJNS1_21reverse_power_functorIlEElEEEvT_T0_DpT1_.num_agpr, 0
	.set _ZN2at6native12_GLOBAL__N_125multi_tensor_apply_kernelINS1_18TensorListMetadataILi2EEENS1_21BinaryOpScalarFunctorIlLi2ELi1ELi1EEEJNS1_21reverse_power_functorIlEElEEEvT_T0_DpT1_.numbered_sgpr, 30
	.set _ZN2at6native12_GLOBAL__N_125multi_tensor_apply_kernelINS1_18TensorListMetadataILi2EEENS1_21BinaryOpScalarFunctorIlLi2ELi1ELi1EEEJNS1_21reverse_power_functorIlEElEEEvT_T0_DpT1_.num_named_barrier, 0
	.set _ZN2at6native12_GLOBAL__N_125multi_tensor_apply_kernelINS1_18TensorListMetadataILi2EEENS1_21BinaryOpScalarFunctorIlLi2ELi1ELi1EEEJNS1_21reverse_power_functorIlEElEEEvT_T0_DpT1_.private_seg_size, 0
	.set _ZN2at6native12_GLOBAL__N_125multi_tensor_apply_kernelINS1_18TensorListMetadataILi2EEENS1_21BinaryOpScalarFunctorIlLi2ELi1ELi1EEEJNS1_21reverse_power_functorIlEElEEEvT_T0_DpT1_.uses_vcc, 1
	.set _ZN2at6native12_GLOBAL__N_125multi_tensor_apply_kernelINS1_18TensorListMetadataILi2EEENS1_21BinaryOpScalarFunctorIlLi2ELi1ELi1EEEJNS1_21reverse_power_functorIlEElEEEvT_T0_DpT1_.uses_flat_scratch, 0
	.set _ZN2at6native12_GLOBAL__N_125multi_tensor_apply_kernelINS1_18TensorListMetadataILi2EEENS1_21BinaryOpScalarFunctorIlLi2ELi1ELi1EEEJNS1_21reverse_power_functorIlEElEEEvT_T0_DpT1_.has_dyn_sized_stack, 0
	.set _ZN2at6native12_GLOBAL__N_125multi_tensor_apply_kernelINS1_18TensorListMetadataILi2EEENS1_21BinaryOpScalarFunctorIlLi2ELi1ELi1EEEJNS1_21reverse_power_functorIlEElEEEvT_T0_DpT1_.has_recursion, 0
	.set _ZN2at6native12_GLOBAL__N_125multi_tensor_apply_kernelINS1_18TensorListMetadataILi2EEENS1_21BinaryOpScalarFunctorIlLi2ELi1ELi1EEEJNS1_21reverse_power_functorIlEElEEEvT_T0_DpT1_.has_indirect_call, 0
	.section	.AMDGPU.csdata,"",@progbits
; Kernel info:
; codeLenInByte = 4292
; TotalNumSgprs: 32
; NumVgprs: 25
; ScratchSize: 0
; MemoryBound: 1
; FloatMode: 240
; IeeeMode: 1
; LDSByteSize: 0 bytes/workgroup (compile time only)
; SGPRBlocks: 0
; VGPRBlocks: 3
; NumSGPRsForWavesPerEU: 32
; NumVGPRsForWavesPerEU: 25
; Occupancy: 16
; WaveLimiterHint : 0
; COMPUTE_PGM_RSRC2:SCRATCH_EN: 0
; COMPUTE_PGM_RSRC2:USER_SGPR: 2
; COMPUTE_PGM_RSRC2:TRAP_HANDLER: 0
; COMPUTE_PGM_RSRC2:TGID_X_EN: 1
; COMPUTE_PGM_RSRC2:TGID_Y_EN: 0
; COMPUTE_PGM_RSRC2:TGID_Z_EN: 0
; COMPUTE_PGM_RSRC2:TIDIG_COMP_CNT: 0
	.section	.text._ZN2at6native12_GLOBAL__N_125multi_tensor_apply_kernelINS1_18TensorListMetadataILi2EEENS1_21BinaryOpScalarFunctorIsLi2ELi1ELi1EEEJNS1_21reverse_power_functorIsEEsEEEvT_T0_DpT1_,"axG",@progbits,_ZN2at6native12_GLOBAL__N_125multi_tensor_apply_kernelINS1_18TensorListMetadataILi2EEENS1_21BinaryOpScalarFunctorIsLi2ELi1ELi1EEEJNS1_21reverse_power_functorIsEEsEEEvT_T0_DpT1_,comdat
	.globl	_ZN2at6native12_GLOBAL__N_125multi_tensor_apply_kernelINS1_18TensorListMetadataILi2EEENS1_21BinaryOpScalarFunctorIsLi2ELi1ELi1EEEJNS1_21reverse_power_functorIsEEsEEEvT_T0_DpT1_ ; -- Begin function _ZN2at6native12_GLOBAL__N_125multi_tensor_apply_kernelINS1_18TensorListMetadataILi2EEENS1_21BinaryOpScalarFunctorIsLi2ELi1ELi1EEEJNS1_21reverse_power_functorIsEEsEEEvT_T0_DpT1_
	.p2align	8
	.type	_ZN2at6native12_GLOBAL__N_125multi_tensor_apply_kernelINS1_18TensorListMetadataILi2EEENS1_21BinaryOpScalarFunctorIsLi2ELi1ELi1EEEJNS1_21reverse_power_functorIsEEsEEEvT_T0_DpT1_,@function
_ZN2at6native12_GLOBAL__N_125multi_tensor_apply_kernelINS1_18TensorListMetadataILi2EEENS1_21BinaryOpScalarFunctorIsLi2ELi1ELi1EEEJNS1_21reverse_power_functorIsEEsEEEvT_T0_DpT1_: ; @_ZN2at6native12_GLOBAL__N_125multi_tensor_apply_kernelINS1_18TensorListMetadataILi2EEENS1_21BinaryOpScalarFunctorIsLi2ELi1ELi1EEEJNS1_21reverse_power_functorIsEEsEEEvT_T0_DpT1_
; %bb.0:
	s_load_u8 s8, s[0:1], ttmp9 offset:0x600
	s_mov_b32 s2, ttmp9
	s_mov_b32 s3, 0
	s_delay_alu instid0(SALU_CYCLE_1)
	s_mul_u64 s[4:5], s[2:3], 3
	s_add_nc_u64 s[6:7], s[0:1], s[2:3]
	s_mov_b32 s13, s3
	s_add_nc_u64 s[4:5], s[6:7], s[4:5]
	s_load_b32 s4, s[4:5], 0x740
	s_wait_kmcnt 0x0
	s_lshl_b32 s2, s8, 3
	s_clause 0x3
	s_load_b32 s12, s[0:1], 0xc48
	s_load_b64 s[6:7], s[0:1], s2 offset:0x0
	s_load_b64 s[8:9], s[0:1], s2 offset:0x200
	;; [unrolled: 1-line block ×3, first 2 shown]
	s_ashr_i32 s5, s4, 31
	s_delay_alu instid0(SALU_CYCLE_1)
	s_lshl_b64 s[14:15], s[4:5], 17
	s_lshl_b64 s[4:5], s[4:5], 16
	s_wait_kmcnt 0x0
	s_lshr_b32 s20, s12, 16
	s_add_nc_u64 s[6:7], s[6:7], s[14:15]
	s_add_nc_u64 s[8:9], s[8:9], s[14:15]
	s_and_b32 s14, s10, 3
	s_and_b32 s12, s8, 7
	s_mov_b32 s15, s3
	s_and_b32 s2, s6, 7
	s_or_b64 s[12:13], s[12:13], s[14:15]
	s_sub_nc_u64 s[10:11], s[10:11], s[4:5]
	s_or_b64 s[2:3], s[12:13], s[2:3]
	s_delay_alu instid0(SALU_CYCLE_1)
	s_cmp_eq_u64 s[2:3], 0
	s_mov_b32 s2, -1
	s_cbranch_scc1 .LBB76_81
; %bb.1:
	v_cmp_lt_i64_e64 s2, s[10:11], 1
	s_and_b32 vcc_lo, exec_lo, s2
	s_cbranch_vccnz .LBB76_80
; %bb.2:
	s_load_b32 s2, s[0:1], 0xc5c
	v_cmp_gt_i64_e64 s3, 0x10000, s[10:11]
	v_cmp_gt_u64_e64 s4, 0x10000, s[10:11]
	s_mov_b32 s13, 0
	s_pack_ll_b32_b16 s21, 1, s20
	s_mov_b64 s[14:15], 0
	s_sext_i32_i16 s22, s20
	s_and_b32 s3, s3, exec_lo
	s_cselect_b32 s17, s11, 0
	s_cselect_b32 s16, s10, 0x10000
	s_wait_kmcnt 0x0
	s_and_b32 s23, s2, 0xffff
	s_and_b32 s2, s4, exec_lo
	s_cselect_b32 s19, s11, 0
	s_cselect_b32 s18, s10, 0x10000
	s_lshl_b32 s24, s23, 1
	s_mul_i32 s25, s23, 3
	s_lshl_b32 s12, s23, 2
	s_and_b32 s26, 0xffff, s20
	s_branch .LBB76_4
.LBB76_3:                               ;   in Loop: Header=BB76_4 Depth=1
	s_wait_alu 0xfffe
	s_or_b32 exec_lo, exec_lo, s2
	s_add_nc_u64 s[14:15], s[14:15], s[12:13]
	s_wait_alu 0xfffe
	v_cmp_ge_i64_e64 s2, s[14:15], s[16:17]
	s_and_b32 vcc_lo, exec_lo, s2
	s_wait_alu 0xfffe
	s_cbranch_vccnz .LBB76_80
.LBB76_4:                               ; =>This Loop Header: Depth=1
                                        ;     Child Loop BB76_15 Depth 2
                                        ;     Child Loop BB76_27 Depth 2
	;; [unrolled: 1-line block ×4, first 2 shown]
	v_add_co_u32 v7, s2, s14, v0
	s_wait_alu 0xf1ff
	v_add_co_ci_u32_e64 v8, null, s15, 0, s2
	v_mov_b32_e32 v12, 0
	s_delay_alu instid0(VALU_DEP_2)
	v_cmp_gt_u64_e64 s2, s[18:19], v[7:8]
	v_lshlrev_b64_e32 v[1:2], 1, v[7:8]
	s_and_saveexec_b32 s3, s2
	s_cbranch_execz .LBB76_6
; %bb.5:                                ;   in Loop: Header=BB76_4 Depth=1
	s_delay_alu instid0(VALU_DEP_1) | instskip(SKIP_1) | instid1(VALU_DEP_2)
	v_add_co_u32 v3, vcc_lo, s6, v1
	s_wait_alu 0xfffd
	v_add_co_ci_u32_e64 v4, null, s7, v2, vcc_lo
	global_load_u16 v12, v[3:4], off
.LBB76_6:                               ;   in Loop: Header=BB76_4 Depth=1
	s_wait_alu 0xfffe
	s_or_b32 exec_lo, exec_lo, s3
	v_add_co_u32 v3, vcc_lo, v7, s23
	s_wait_alu 0xfffd
	v_add_co_ci_u32_e64 v4, null, 0, v8, vcc_lo
	v_mov_b32_e32 v11, 0
	v_mov_b32_e32 v13, 0
	s_delay_alu instid0(VALU_DEP_3)
	v_cmp_gt_u64_e64 s3, s[18:19], v[3:4]
	v_lshlrev_b64_e32 v[3:4], 1, v[3:4]
	s_and_saveexec_b32 s4, s3
	s_cbranch_execz .LBB76_8
; %bb.7:                                ;   in Loop: Header=BB76_4 Depth=1
	s_delay_alu instid0(VALU_DEP_1) | instskip(SKIP_1) | instid1(VALU_DEP_2)
	v_add_co_u32 v5, vcc_lo, s6, v3
	s_wait_alu 0xfffd
	v_add_co_ci_u32_e64 v6, null, s7, v4, vcc_lo
	global_load_u16 v13, v[5:6], off
.LBB76_8:                               ;   in Loop: Header=BB76_4 Depth=1
	s_or_b32 exec_lo, exec_lo, s4
	v_add_co_u32 v5, vcc_lo, v7, s24
	s_wait_alu 0xfffd
	v_add_co_ci_u32_e64 v6, null, 0, v8, vcc_lo
	s_delay_alu instid0(VALU_DEP_1)
	v_cmp_gt_u64_e64 s4, s[18:19], v[5:6]
	v_lshlrev_b64_e32 v[5:6], 1, v[5:6]
	s_and_saveexec_b32 s5, s4
	s_cbranch_execz .LBB76_10
; %bb.9:                                ;   in Loop: Header=BB76_4 Depth=1
	s_delay_alu instid0(VALU_DEP_1) | instskip(SKIP_1) | instid1(VALU_DEP_2)
	v_add_co_u32 v9, vcc_lo, s6, v5
	s_wait_alu 0xfffd
	v_add_co_ci_u32_e64 v10, null, s7, v6, vcc_lo
	global_load_u16 v11, v[9:10], off
.LBB76_10:                              ;   in Loop: Header=BB76_4 Depth=1
	s_or_b32 exec_lo, exec_lo, s5
	v_add_co_u32 v7, vcc_lo, v7, s25
	s_wait_alu 0xfffd
	v_add_co_ci_u32_e64 v8, null, 0, v8, vcc_lo
	v_mov_b32_e32 v9, 0
	s_delay_alu instid0(VALU_DEP_2)
	v_cmp_gt_u64_e64 s5, s[18:19], v[7:8]
	v_lshlrev_b64_e32 v[7:8], 1, v[7:8]
	s_and_saveexec_b32 s27, s5
	s_cbranch_execz .LBB76_12
; %bb.11:                               ;   in Loop: Header=BB76_4 Depth=1
	s_delay_alu instid0(VALU_DEP_1) | instskip(SKIP_1) | instid1(VALU_DEP_2)
	v_add_co_u32 v9, vcc_lo, s6, v7
	s_wait_alu 0xfffd
	v_add_co_ci_u32_e64 v10, null, s7, v8, vcc_lo
	global_load_u16 v9, v[9:10], off
.LBB76_12:                              ;   in Loop: Header=BB76_4 Depth=1
	s_or_b32 exec_lo, exec_lo, s27
	s_delay_alu instid0(SALU_CYCLE_1)
	s_mov_b32 s27, exec_lo
                                        ; implicit-def: $vgpr10
	s_wait_loadcnt 0x0
	v_cmpx_lt_i16_e32 -1, v12
	s_xor_b32 s27, exec_lo, s27
	s_cbranch_execz .LBB76_18
; %bb.13:                               ;   in Loop: Header=BB76_4 Depth=1
	v_mov_b32_e32 v10, 1
	s_mov_b32 s28, exec_lo
	v_cmpx_ne_u16_e32 0, v12
	s_cbranch_execz .LBB76_17
; %bb.14:                               ;   in Loop: Header=BB76_4 Depth=1
	v_mov_b32_e32 v10, s21
	s_mov_b32 s29, 0
.LBB76_15:                              ;   Parent Loop BB76_4 Depth=1
                                        ; =>  This Inner Loop Header: Depth=2
	v_and_b32_e32 v14, 1, v12
	s_delay_alu instid0(VALU_DEP_2) | instskip(NEXT) | instid1(VALU_DEP_2)
	v_lshrrev_b32_e32 v15, 16, v10
	v_cmp_eq_u32_e32 vcc_lo, 1, v14
	s_wait_alu 0xfffd
	s_delay_alu instid0(VALU_DEP_2) | instskip(SKIP_2) | instid1(VALU_DEP_3)
	v_cndmask_b32_e32 v14, 1, v15, vcc_lo
	v_lshrrev_b16 v15, 1, v12
	v_cmp_gt_i16_e32 vcc_lo, 2, v12
	v_bfi_b32 v14, 0xffff, v14, v10
	s_delay_alu instid0(VALU_DEP_3) | instskip(SKIP_2) | instid1(VALU_DEP_2)
	v_mov_b32_e32 v12, v15
	s_wait_alu 0xfffe
	s_or_b32 s29, vcc_lo, s29
	v_pk_mul_lo_u16 v10, v14, v10
	s_wait_alu 0xfffe
	s_and_not1_b32 exec_lo, exec_lo, s29
	s_cbranch_execnz .LBB76_15
; %bb.16:                               ;   in Loop: Header=BB76_4 Depth=1
	s_or_b32 exec_lo, exec_lo, s29
.LBB76_17:                              ;   in Loop: Header=BB76_4 Depth=1
	s_wait_alu 0xfffe
	s_or_b32 exec_lo, exec_lo, s28
                                        ; implicit-def: $vgpr12
.LBB76_18:                              ;   in Loop: Header=BB76_4 Depth=1
	s_and_not1_saveexec_b32 s27, s27
	s_cbranch_execz .LBB76_24
; %bb.19:                               ;   in Loop: Header=BB76_4 Depth=1
	s_mov_b32 s30, -1
	s_mov_b32 s28, 0
	s_cmp_lt_i32 s22, 1
	s_mov_b32 s29, 0
	s_cbranch_scc0 .LBB76_68
; %bb.20:                               ;   in Loop: Header=BB76_4 Depth=1
	s_and_not1_b32 vcc_lo, exec_lo, s30
	s_wait_alu 0xfffe
	s_cbranch_vccz .LBB76_69
.LBB76_21:                              ;   in Loop: Header=BB76_4 Depth=1
	s_wait_alu 0xfffe
	s_and_not1_b32 vcc_lo, exec_lo, s29
	s_mov_b32 s29, s20
	s_wait_alu 0xfffe
	s_cbranch_vccz .LBB76_70
.LBB76_22:                              ;   in Loop: Header=BB76_4 Depth=1
	v_mov_b32_e32 v10, s29
	s_and_not1_b32 vcc_lo, exec_lo, s28
	s_wait_alu 0xfffe
	s_cbranch_vccnz .LBB76_24
.LBB76_23:                              ;   in Loop: Header=BB76_4 Depth=1
	v_and_b32_e32 v10, 1, v12
	s_delay_alu instid0(VALU_DEP_1)
	v_cmp_eq_u16_e32 vcc_lo, 0, v10
	s_wait_alu 0xfffd
	v_cndmask_b32_e64 v10, -1, 1, vcc_lo
.LBB76_24:                              ;   in Loop: Header=BB76_4 Depth=1
	s_or_b32 exec_lo, exec_lo, s27
	s_delay_alu instid0(SALU_CYCLE_1)
	s_mov_b32 s27, exec_lo
                                        ; implicit-def: $vgpr12
	v_cmpx_lt_i16_e32 -1, v13
	s_xor_b32 s27, exec_lo, s27
	s_cbranch_execz .LBB76_30
; %bb.25:                               ;   in Loop: Header=BB76_4 Depth=1
	v_mov_b32_e32 v12, 1
	s_mov_b32 s28, exec_lo
	v_cmpx_ne_u16_e32 0, v13
	s_cbranch_execz .LBB76_29
; %bb.26:                               ;   in Loop: Header=BB76_4 Depth=1
	v_mov_b32_e32 v12, s21
	s_mov_b32 s29, 0
.LBB76_27:                              ;   Parent Loop BB76_4 Depth=1
                                        ; =>  This Inner Loop Header: Depth=2
	v_and_b32_e32 v14, 1, v13
	s_delay_alu instid0(VALU_DEP_2) | instskip(NEXT) | instid1(VALU_DEP_2)
	v_lshrrev_b32_e32 v15, 16, v12
	v_cmp_eq_u32_e32 vcc_lo, 1, v14
	s_wait_alu 0xfffd
	s_delay_alu instid0(VALU_DEP_2) | instskip(SKIP_2) | instid1(VALU_DEP_3)
	v_cndmask_b32_e32 v14, 1, v15, vcc_lo
	v_lshrrev_b16 v15, 1, v13
	v_cmp_gt_i16_e32 vcc_lo, 2, v13
	v_bfi_b32 v14, 0xffff, v14, v12
	s_delay_alu instid0(VALU_DEP_3) | instskip(SKIP_2) | instid1(VALU_DEP_2)
	v_mov_b32_e32 v13, v15
	s_wait_alu 0xfffe
	s_or_b32 s29, vcc_lo, s29
	v_pk_mul_lo_u16 v12, v14, v12
	s_wait_alu 0xfffe
	s_and_not1_b32 exec_lo, exec_lo, s29
	s_cbranch_execnz .LBB76_27
; %bb.28:                               ;   in Loop: Header=BB76_4 Depth=1
	s_or_b32 exec_lo, exec_lo, s29
.LBB76_29:                              ;   in Loop: Header=BB76_4 Depth=1
	s_wait_alu 0xfffe
	s_or_b32 exec_lo, exec_lo, s28
                                        ; implicit-def: $vgpr13
.LBB76_30:                              ;   in Loop: Header=BB76_4 Depth=1
	s_and_not1_saveexec_b32 s27, s27
	s_cbranch_execz .LBB76_36
; %bb.31:                               ;   in Loop: Header=BB76_4 Depth=1
	s_mov_b32 s30, -1
	s_mov_b32 s28, 0
	s_cmp_lt_i32 s22, 1
	s_mov_b32 s29, 0
	s_cbranch_scc0 .LBB76_71
; %bb.32:                               ;   in Loop: Header=BB76_4 Depth=1
	s_and_not1_b32 vcc_lo, exec_lo, s30
	s_wait_alu 0xfffe
	s_cbranch_vccz .LBB76_72
.LBB76_33:                              ;   in Loop: Header=BB76_4 Depth=1
	s_wait_alu 0xfffe
	s_and_not1_b32 vcc_lo, exec_lo, s29
	s_mov_b32 s29, s20
	s_wait_alu 0xfffe
	s_cbranch_vccz .LBB76_73
.LBB76_34:                              ;   in Loop: Header=BB76_4 Depth=1
	v_mov_b32_e32 v12, s29
	s_and_not1_b32 vcc_lo, exec_lo, s28
	s_wait_alu 0xfffe
	s_cbranch_vccnz .LBB76_36
.LBB76_35:                              ;   in Loop: Header=BB76_4 Depth=1
	v_and_b32_e32 v12, 1, v13
	s_delay_alu instid0(VALU_DEP_1)
	v_cmp_eq_u16_e32 vcc_lo, 0, v12
	s_wait_alu 0xfffd
	v_cndmask_b32_e64 v12, -1, 1, vcc_lo
.LBB76_36:                              ;   in Loop: Header=BB76_4 Depth=1
	s_or_b32 exec_lo, exec_lo, s27
	s_delay_alu instid0(SALU_CYCLE_1)
	s_mov_b32 s27, exec_lo
                                        ; implicit-def: $vgpr13
	v_cmpx_lt_i16_e32 -1, v11
	s_xor_b32 s27, exec_lo, s27
	s_cbranch_execz .LBB76_42
; %bb.37:                               ;   in Loop: Header=BB76_4 Depth=1
	v_mov_b32_e32 v13, 1
	s_mov_b32 s28, exec_lo
	v_cmpx_ne_u16_e32 0, v11
	s_cbranch_execz .LBB76_41
; %bb.38:                               ;   in Loop: Header=BB76_4 Depth=1
	v_mov_b32_e32 v13, s21
	s_mov_b32 s29, 0
.LBB76_39:                              ;   Parent Loop BB76_4 Depth=1
                                        ; =>  This Inner Loop Header: Depth=2
	v_and_b32_e32 v14, 1, v11
	s_delay_alu instid0(VALU_DEP_2) | instskip(NEXT) | instid1(VALU_DEP_2)
	v_lshrrev_b32_e32 v15, 16, v13
	v_cmp_eq_u32_e32 vcc_lo, 1, v14
	s_wait_alu 0xfffd
	s_delay_alu instid0(VALU_DEP_2) | instskip(SKIP_2) | instid1(VALU_DEP_3)
	v_cndmask_b32_e32 v14, 1, v15, vcc_lo
	v_lshrrev_b16 v15, 1, v11
	v_cmp_gt_i16_e32 vcc_lo, 2, v11
	v_bfi_b32 v14, 0xffff, v14, v13
	s_delay_alu instid0(VALU_DEP_3) | instskip(SKIP_2) | instid1(VALU_DEP_2)
	v_mov_b32_e32 v11, v15
	s_wait_alu 0xfffe
	s_or_b32 s29, vcc_lo, s29
	v_pk_mul_lo_u16 v13, v14, v13
	s_wait_alu 0xfffe
	s_and_not1_b32 exec_lo, exec_lo, s29
	s_cbranch_execnz .LBB76_39
; %bb.40:                               ;   in Loop: Header=BB76_4 Depth=1
	s_or_b32 exec_lo, exec_lo, s29
.LBB76_41:                              ;   in Loop: Header=BB76_4 Depth=1
	s_wait_alu 0xfffe
	s_or_b32 exec_lo, exec_lo, s28
                                        ; implicit-def: $vgpr11
.LBB76_42:                              ;   in Loop: Header=BB76_4 Depth=1
	s_and_not1_saveexec_b32 s27, s27
	s_cbranch_execz .LBB76_48
; %bb.43:                               ;   in Loop: Header=BB76_4 Depth=1
	s_mov_b32 s30, -1
	s_mov_b32 s28, 0
	s_cmp_lt_i32 s22, 1
	s_mov_b32 s29, 0
	s_cbranch_scc0 .LBB76_74
; %bb.44:                               ;   in Loop: Header=BB76_4 Depth=1
	s_and_not1_b32 vcc_lo, exec_lo, s30
	s_wait_alu 0xfffe
	s_cbranch_vccz .LBB76_75
.LBB76_45:                              ;   in Loop: Header=BB76_4 Depth=1
	s_wait_alu 0xfffe
	s_and_not1_b32 vcc_lo, exec_lo, s29
	s_mov_b32 s29, s20
	s_wait_alu 0xfffe
	s_cbranch_vccz .LBB76_76
.LBB76_46:                              ;   in Loop: Header=BB76_4 Depth=1
	v_mov_b32_e32 v13, s29
	s_and_not1_b32 vcc_lo, exec_lo, s28
	s_wait_alu 0xfffe
	s_cbranch_vccnz .LBB76_48
.LBB76_47:                              ;   in Loop: Header=BB76_4 Depth=1
	v_and_b32_e32 v11, 1, v11
	s_delay_alu instid0(VALU_DEP_1)
	v_cmp_eq_u16_e32 vcc_lo, 0, v11
	s_wait_alu 0xfffd
	v_cndmask_b32_e64 v13, -1, 1, vcc_lo
.LBB76_48:                              ;   in Loop: Header=BB76_4 Depth=1
	s_or_b32 exec_lo, exec_lo, s27
	s_delay_alu instid0(SALU_CYCLE_1)
	s_mov_b32 s27, exec_lo
                                        ; implicit-def: $vgpr11
	v_cmpx_lt_i16_e32 -1, v9
	s_xor_b32 s27, exec_lo, s27
	s_cbranch_execz .LBB76_54
; %bb.49:                               ;   in Loop: Header=BB76_4 Depth=1
	v_mov_b32_e32 v11, 1
	s_mov_b32 s28, exec_lo
	v_cmpx_ne_u16_e32 0, v9
	s_cbranch_execz .LBB76_53
; %bb.50:                               ;   in Loop: Header=BB76_4 Depth=1
	v_mov_b32_e32 v11, s21
	s_mov_b32 s29, 0
.LBB76_51:                              ;   Parent Loop BB76_4 Depth=1
                                        ; =>  This Inner Loop Header: Depth=2
	v_and_b32_e32 v14, 1, v9
	s_delay_alu instid0(VALU_DEP_2) | instskip(NEXT) | instid1(VALU_DEP_2)
	v_lshrrev_b32_e32 v15, 16, v11
	v_cmp_eq_u32_e32 vcc_lo, 1, v14
	s_wait_alu 0xfffd
	s_delay_alu instid0(VALU_DEP_2) | instskip(SKIP_2) | instid1(VALU_DEP_3)
	v_cndmask_b32_e32 v14, 1, v15, vcc_lo
	v_lshrrev_b16 v15, 1, v9
	v_cmp_gt_i16_e32 vcc_lo, 2, v9
	v_bfi_b32 v14, 0xffff, v14, v11
	s_delay_alu instid0(VALU_DEP_3) | instskip(SKIP_2) | instid1(VALU_DEP_2)
	v_mov_b32_e32 v9, v15
	s_wait_alu 0xfffe
	s_or_b32 s29, vcc_lo, s29
	v_pk_mul_lo_u16 v11, v14, v11
	s_wait_alu 0xfffe
	s_and_not1_b32 exec_lo, exec_lo, s29
	s_cbranch_execnz .LBB76_51
; %bb.52:                               ;   in Loop: Header=BB76_4 Depth=1
	s_or_b32 exec_lo, exec_lo, s29
.LBB76_53:                              ;   in Loop: Header=BB76_4 Depth=1
	s_wait_alu 0xfffe
	s_or_b32 exec_lo, exec_lo, s28
                                        ; implicit-def: $vgpr9
.LBB76_54:                              ;   in Loop: Header=BB76_4 Depth=1
	s_and_not1_saveexec_b32 s27, s27
	s_cbranch_execz .LBB76_60
; %bb.55:                               ;   in Loop: Header=BB76_4 Depth=1
	s_mov_b32 s30, -1
	s_mov_b32 s28, 0
	s_cmp_lt_i32 s22, 1
	s_mov_b32 s29, 0
	s_cbranch_scc0 .LBB76_77
; %bb.56:                               ;   in Loop: Header=BB76_4 Depth=1
	s_and_not1_b32 vcc_lo, exec_lo, s30
	s_wait_alu 0xfffe
	s_cbranch_vccz .LBB76_78
.LBB76_57:                              ;   in Loop: Header=BB76_4 Depth=1
	s_wait_alu 0xfffe
	s_and_not1_b32 vcc_lo, exec_lo, s29
	s_mov_b32 s29, s20
	s_wait_alu 0xfffe
	s_cbranch_vccz .LBB76_79
.LBB76_58:                              ;   in Loop: Header=BB76_4 Depth=1
	v_mov_b32_e32 v11, s29
	s_and_not1_b32 vcc_lo, exec_lo, s28
	s_wait_alu 0xfffe
	s_cbranch_vccnz .LBB76_60
.LBB76_59:                              ;   in Loop: Header=BB76_4 Depth=1
	v_and_b32_e32 v9, 1, v9
	s_delay_alu instid0(VALU_DEP_1)
	v_cmp_eq_u16_e32 vcc_lo, 0, v9
	s_wait_alu 0xfffd
	v_cndmask_b32_e64 v11, -1, 1, vcc_lo
.LBB76_60:                              ;   in Loop: Header=BB76_4 Depth=1
	s_or_b32 exec_lo, exec_lo, s27
	s_and_saveexec_b32 s27, s2
	s_delay_alu instid0(SALU_CYCLE_1)
	s_xor_b32 s2, exec_lo, s27
	s_cbranch_execnz .LBB76_64
; %bb.61:                               ;   in Loop: Header=BB76_4 Depth=1
	s_wait_alu 0xfffe
	s_or_b32 exec_lo, exec_lo, s2
	s_and_saveexec_b32 s2, s3
	s_cbranch_execnz .LBB76_65
.LBB76_62:                              ;   in Loop: Header=BB76_4 Depth=1
	s_wait_alu 0xfffe
	s_or_b32 exec_lo, exec_lo, s2
	s_and_saveexec_b32 s2, s4
	s_cbranch_execnz .LBB76_66
.LBB76_63:                              ;   in Loop: Header=BB76_4 Depth=1
	s_wait_alu 0xfffe
	s_or_b32 exec_lo, exec_lo, s2
	s_and_saveexec_b32 s2, s5
	s_cbranch_execz .LBB76_3
	s_branch .LBB76_67
.LBB76_64:                              ;   in Loop: Header=BB76_4 Depth=1
	v_add_co_u32 v1, vcc_lo, s8, v1
	s_wait_alu 0xfffd
	v_add_co_ci_u32_e64 v2, null, s9, v2, vcc_lo
	global_store_b16 v[1:2], v10, off
	s_wait_alu 0xfffe
	s_or_b32 exec_lo, exec_lo, s2
	s_and_saveexec_b32 s2, s3
	s_cbranch_execz .LBB76_62
.LBB76_65:                              ;   in Loop: Header=BB76_4 Depth=1
	v_add_co_u32 v1, vcc_lo, s8, v3
	s_wait_alu 0xfffd
	v_add_co_ci_u32_e64 v2, null, s9, v4, vcc_lo
	global_store_b16 v[1:2], v12, off
	s_wait_alu 0xfffe
	s_or_b32 exec_lo, exec_lo, s2
	s_and_saveexec_b32 s2, s4
	s_cbranch_execz .LBB76_63
.LBB76_66:                              ;   in Loop: Header=BB76_4 Depth=1
	v_add_co_u32 v1, vcc_lo, s8, v5
	s_wait_alu 0xfffd
	v_add_co_ci_u32_e64 v2, null, s9, v6, vcc_lo
	global_store_b16 v[1:2], v13, off
	s_wait_alu 0xfffe
	s_or_b32 exec_lo, exec_lo, s2
	s_and_saveexec_b32 s2, s5
	s_cbranch_execz .LBB76_3
.LBB76_67:                              ;   in Loop: Header=BB76_4 Depth=1
	v_add_co_u32 v1, vcc_lo, s8, v7
	s_wait_alu 0xfffd
	v_add_co_ci_u32_e64 v2, null, s9, v8, vcc_lo
	global_store_b16 v[1:2], v11, off
	s_branch .LBB76_3
.LBB76_68:                              ;   in Loop: Header=BB76_4 Depth=1
	s_cmp_lg_u32 s26, 1
	s_cselect_b32 s29, -1, 0
	s_cbranch_execnz .LBB76_21
.LBB76_69:                              ;   in Loop: Header=BB76_4 Depth=1
	s_cmp_lg_u32 s26, 0xffff
	s_mov_b32 s28, -1
	s_cselect_b32 s29, -1, 0
	s_wait_alu 0xfffe
	s_and_not1_b32 vcc_lo, exec_lo, s29
	s_mov_b32 s29, s20
	s_wait_alu 0xfffe
	s_cbranch_vccnz .LBB76_22
.LBB76_70:                              ;   in Loop: Header=BB76_4 Depth=1
	s_mov_b32 s29, 0
	s_wait_alu 0xfffe
	v_mov_b32_e32 v10, s29
	s_cbranch_execz .LBB76_23
	s_branch .LBB76_24
.LBB76_71:                              ;   in Loop: Header=BB76_4 Depth=1
	s_cmp_lg_u32 s26, 1
	s_cselect_b32 s29, -1, 0
	s_cbranch_execnz .LBB76_33
.LBB76_72:                              ;   in Loop: Header=BB76_4 Depth=1
	s_cmp_lg_u32 s26, 0xffff
	s_mov_b32 s28, -1
	s_cselect_b32 s29, -1, 0
	s_wait_alu 0xfffe
	s_and_not1_b32 vcc_lo, exec_lo, s29
	s_mov_b32 s29, s20
	s_wait_alu 0xfffe
	s_cbranch_vccnz .LBB76_34
.LBB76_73:                              ;   in Loop: Header=BB76_4 Depth=1
	s_mov_b32 s29, 0
	s_wait_alu 0xfffe
	v_mov_b32_e32 v12, s29
	s_cbranch_execz .LBB76_35
	s_branch .LBB76_36
.LBB76_74:                              ;   in Loop: Header=BB76_4 Depth=1
	s_cmp_lg_u32 s26, 1
	s_cselect_b32 s29, -1, 0
	s_cbranch_execnz .LBB76_45
.LBB76_75:                              ;   in Loop: Header=BB76_4 Depth=1
	s_cmp_lg_u32 s26, 0xffff
	s_mov_b32 s28, -1
	s_cselect_b32 s29, -1, 0
	s_wait_alu 0xfffe
	s_and_not1_b32 vcc_lo, exec_lo, s29
	s_mov_b32 s29, s20
	s_wait_alu 0xfffe
	s_cbranch_vccnz .LBB76_46
.LBB76_76:                              ;   in Loop: Header=BB76_4 Depth=1
	s_mov_b32 s29, 0
	s_wait_alu 0xfffe
	v_mov_b32_e32 v13, s29
	s_cbranch_execz .LBB76_47
	s_branch .LBB76_48
.LBB76_77:                              ;   in Loop: Header=BB76_4 Depth=1
	s_cmp_lg_u32 s26, 1
	s_cselect_b32 s29, -1, 0
	s_cbranch_execnz .LBB76_57
.LBB76_78:                              ;   in Loop: Header=BB76_4 Depth=1
	s_cmp_lg_u32 s26, 0xffff
	s_mov_b32 s28, -1
	s_cselect_b32 s29, -1, 0
	s_wait_alu 0xfffe
	s_and_not1_b32 vcc_lo, exec_lo, s29
	s_mov_b32 s29, s20
	s_wait_alu 0xfffe
	s_cbranch_vccnz .LBB76_58
.LBB76_79:                              ;   in Loop: Header=BB76_4 Depth=1
	s_mov_b32 s29, 0
	s_wait_alu 0xfffe
	v_mov_b32_e32 v11, s29
	s_cbranch_execz .LBB76_59
	s_branch .LBB76_60
.LBB76_80:
	s_mov_b32 s2, 0
.LBB76_81:
	s_wait_alu 0xfffe
	s_and_not1_b32 vcc_lo, exec_lo, s2
	s_wait_alu 0xfffe
	s_cbranch_vccnz .LBB76_145
; %bb.82:
	v_cmp_gt_i64_e64 s2, 0x10000, s[10:11]
	v_dual_mov_b32 v2, 0 :: v_dual_lshlrev_b32 v1, 2, v0
	s_mov_b32 s4, exec_lo
	s_and_b32 s2, s2, exec_lo
	s_cselect_b32 s3, s11, 0
	s_cselect_b32 s2, s10, 0x10000
	s_mov_b32 s10, 0
	s_wait_alu 0xfffe
	v_cmpx_gt_i64_e64 s[2:3], v[1:2]
	s_cbranch_execz .LBB76_145
; %bb.83:
	s_load_b32 s0, s[0:1], 0xc5c
	v_mov_b32_e32 v1, v2
	s_mov_b32 s4, -1
	s_mov_b32 s5, 0xffff
	s_sext_i32_i16 s1, s20
	s_and_b32 s12, 0xffff, s20
	s_wait_kmcnt 0x0
	s_and_b32 s11, s0, 0xffff
	s_branch .LBB76_85
.LBB76_84:                              ;   in Loop: Header=BB76_85 Depth=1
	s_wait_alu 0xfffe
	s_or_b32 exec_lo, exec_lo, s0
	v_add_co_u32 v0, vcc_lo, v0, s11
	s_wait_alu 0xfffd
	v_add_co_ci_u32_e64 v1, null, 0, v1, vcc_lo
	v_add_co_u32 v2, s0, s8, v2
	v_perm_b32 v8, v10, v8, 0x5040100
	s_delay_alu instid0(VALU_DEP_3) | instskip(SKIP_3) | instid1(VALU_DEP_3)
	v_lshlrev_b64_e32 v[4:5], 2, v[0:1]
	v_perm_b32 v7, v7, v6, 0x5040100
	s_wait_alu 0xf1ff
	v_add_co_ci_u32_e64 v3, null, s9, v3, s0
	v_cmp_le_i64_e32 vcc_lo, s[2:3], v[4:5]
	global_store_b64 v[2:3], v[7:8], off
	s_or_b32 s10, vcc_lo, s10
	s_wait_alu 0xfffe
	s_and_not1_b32 exec_lo, exec_lo, s10
	s_cbranch_execz .LBB76_145
.LBB76_85:                              ; =>This Loop Header: Depth=1
                                        ;     Child Loop BB76_88 Depth 2
                                        ;     Child Loop BB76_100 Depth 2
	;; [unrolled: 1-line block ×4, first 2 shown]
	v_lshlrev_b64_e32 v[2:3], 3, v[0:1]
	s_mov_b32 s0, exec_lo
                                        ; implicit-def: $vgpr6
	s_delay_alu instid0(VALU_DEP_1) | instskip(SKIP_1) | instid1(VALU_DEP_2)
	v_add_co_u32 v4, vcc_lo, s6, v2
	s_wait_alu 0xfffd
	v_add_co_ci_u32_e64 v5, null, s7, v3, vcc_lo
	global_load_b64 v[4:5], v[4:5], off
	s_wait_loadcnt 0x0
	v_cmpx_lt_i16_e32 -1, v4
	s_wait_alu 0xfffe
	s_xor_b32 s0, exec_lo, s0
	s_cbranch_execz .LBB76_91
; %bb.86:                               ;   in Loop: Header=BB76_85 Depth=1
	v_mov_b32_e32 v6, 1
	s_mov_b32 s13, exec_lo
	v_cmpx_ne_u16_e32 0, v4
	s_cbranch_execz .LBB76_90
; %bb.87:                               ;   in Loop: Header=BB76_85 Depth=1
	v_dual_mov_b32 v6, 1 :: v_dual_mov_b32 v7, v4
	s_mov_b32 s14, 0
	s_mov_b32 s15, s20
.LBB76_88:                              ;   Parent Loop BB76_85 Depth=1
                                        ; =>  This Inner Loop Header: Depth=2
	s_delay_alu instid0(VALU_DEP_1) | instskip(SKIP_1) | instid1(VALU_DEP_1)
	v_lshrrev_b16 v9, 1, v7
	v_and_b32_e32 v8, 1, v7
	v_cmp_eq_u32_e32 vcc_lo, 1, v8
	s_wait_alu 0xfffc
	v_cndmask_b32_e64 v8, 1, s15, vcc_lo
	v_cmp_gt_i16_e32 vcc_lo, 2, v7
	v_mov_b32_e32 v7, v9
	s_mul_i32 s15, s15, s15
	s_delay_alu instid0(VALU_DEP_3)
	v_mul_lo_u16 v6, v8, v6
	s_or_b32 s14, vcc_lo, s14
	s_wait_alu 0xfffe
	s_and_not1_b32 exec_lo, exec_lo, s14
	s_cbranch_execnz .LBB76_88
; %bb.89:                               ;   in Loop: Header=BB76_85 Depth=1
	s_or_b32 exec_lo, exec_lo, s14
.LBB76_90:                              ;   in Loop: Header=BB76_85 Depth=1
	s_delay_alu instid0(SALU_CYCLE_1)
	s_or_b32 exec_lo, exec_lo, s13
.LBB76_91:                              ;   in Loop: Header=BB76_85 Depth=1
	s_wait_alu 0xfffe
	s_and_not1_saveexec_b32 s0, s0
	s_cbranch_execz .LBB76_97
; %bb.92:                               ;   in Loop: Header=BB76_85 Depth=1
	s_mov_b32 s15, -1
	s_mov_b32 s13, 0
	s_cmp_lt_i32 s1, 1
	s_mov_b32 s14, 0
	s_cbranch_scc0 .LBB76_132
; %bb.93:                               ;   in Loop: Header=BB76_85 Depth=1
	s_wait_alu 0xfffe
	s_and_not1_b32 vcc_lo, exec_lo, s15
	s_wait_alu 0xfffe
	s_cbranch_vccz .LBB76_133
.LBB76_94:                              ;   in Loop: Header=BB76_85 Depth=1
	s_wait_alu 0xfffe
	s_and_not1_b32 vcc_lo, exec_lo, s14
	s_mov_b32 s14, s20
	s_wait_alu 0xfffe
	s_cbranch_vccz .LBB76_134
.LBB76_95:                              ;   in Loop: Header=BB76_85 Depth=1
	v_mov_b32_e32 v6, s14
	s_and_not1_b32 vcc_lo, exec_lo, s13
	s_wait_alu 0xfffe
	s_cbranch_vccnz .LBB76_97
.LBB76_96:                              ;   in Loop: Header=BB76_85 Depth=1
	v_and_b32_e32 v6, 1, v4
	s_delay_alu instid0(VALU_DEP_1)
	v_cmp_eq_u16_e32 vcc_lo, 0, v6
	s_wait_alu 0xfffd
	v_cndmask_b32_e64 v6, -1, 1, vcc_lo
.LBB76_97:                              ;   in Loop: Header=BB76_85 Depth=1
	s_wait_alu 0xfffe
	s_or_b32 exec_lo, exec_lo, s0
	v_lshrrev_b32_e32 v8, 16, v4
	s_mov_b32 s0, exec_lo
                                        ; implicit-def: $vgpr7
	s_delay_alu instid0(VALU_DEP_1)
	v_cmpx_lt_i16_e32 -1, v8
	s_wait_alu 0xfffe
	s_xor_b32 s0, exec_lo, s0
	s_cbranch_execz .LBB76_103
; %bb.98:                               ;   in Loop: Header=BB76_85 Depth=1
	v_mov_b32_e32 v7, 1
	s_mov_b32 s13, exec_lo
	v_cmpx_ne_u16_e32 0, v8
	s_cbranch_execz .LBB76_102
; %bb.99:                               ;   in Loop: Header=BB76_85 Depth=1
	v_mov_b32_e32 v7, 1
	s_mov_b32 s14, 0
	s_mov_b32 s15, s20
.LBB76_100:                             ;   Parent Loop BB76_85 Depth=1
                                        ; =>  This Inner Loop Header: Depth=2
	v_lshrrev_b16 v10, 1, v8
	v_and_b32_e32 v9, 1, v8
	s_delay_alu instid0(VALU_DEP_1)
	v_cmp_eq_u32_e32 vcc_lo, 1, v9
	s_wait_alu 0xfffc
	v_cndmask_b32_e64 v9, 1, s15, vcc_lo
	v_cmp_gt_i16_e32 vcc_lo, 2, v8
	v_mov_b32_e32 v8, v10
	s_mul_i32 s15, s15, s15
	s_delay_alu instid0(VALU_DEP_3)
	v_mul_lo_u16 v7, v9, v7
	s_or_b32 s14, vcc_lo, s14
	s_wait_alu 0xfffe
	s_and_not1_b32 exec_lo, exec_lo, s14
	s_cbranch_execnz .LBB76_100
; %bb.101:                              ;   in Loop: Header=BB76_85 Depth=1
	s_or_b32 exec_lo, exec_lo, s14
.LBB76_102:                             ;   in Loop: Header=BB76_85 Depth=1
	s_delay_alu instid0(SALU_CYCLE_1)
	s_or_b32 exec_lo, exec_lo, s13
                                        ; implicit-def: $vgpr8
.LBB76_103:                             ;   in Loop: Header=BB76_85 Depth=1
	s_wait_alu 0xfffe
	s_and_not1_saveexec_b32 s0, s0
	s_cbranch_execz .LBB76_109
; %bb.104:                              ;   in Loop: Header=BB76_85 Depth=1
	s_mov_b32 s15, -1
	s_mov_b32 s13, 0
	s_cmp_lt_i32 s1, 1
	s_mov_b32 s14, 0
	s_cbranch_scc0 .LBB76_135
; %bb.105:                              ;   in Loop: Header=BB76_85 Depth=1
	s_wait_alu 0xfffe
	s_and_not1_b32 vcc_lo, exec_lo, s15
	s_wait_alu 0xfffe
	s_cbranch_vccz .LBB76_136
.LBB76_106:                             ;   in Loop: Header=BB76_85 Depth=1
	s_wait_alu 0xfffe
	s_and_not1_b32 vcc_lo, exec_lo, s14
	s_mov_b32 s14, s20
	s_wait_alu 0xfffe
	s_cbranch_vccz .LBB76_137
.LBB76_107:                             ;   in Loop: Header=BB76_85 Depth=1
	v_mov_b32_e32 v7, s14
	s_and_not1_b32 vcc_lo, exec_lo, s13
	s_wait_alu 0xfffe
	s_cbranch_vccnz .LBB76_109
.LBB76_108:                             ;   in Loop: Header=BB76_85 Depth=1
	v_and_b32_e32 v7, 1, v8
	s_delay_alu instid0(VALU_DEP_1)
	v_cmp_eq_u16_e32 vcc_lo, 0, v7
	s_wait_alu 0xfffd
	v_cndmask_b32_e64 v7, -1, 1, vcc_lo
.LBB76_109:                             ;   in Loop: Header=BB76_85 Depth=1
	s_wait_alu 0xfffe
	s_or_b32 exec_lo, exec_lo, s0
	s_delay_alu instid0(SALU_CYCLE_1)
	s_mov_b32 s0, exec_lo
                                        ; implicit-def: $vgpr8
	v_cmpx_lt_i16_e32 -1, v5
	s_wait_alu 0xfffe
	s_xor_b32 s0, exec_lo, s0
	s_cbranch_execz .LBB76_115
; %bb.110:                              ;   in Loop: Header=BB76_85 Depth=1
	v_mov_b32_e32 v8, 1
	s_mov_b32 s13, exec_lo
	v_cmpx_ne_u16_e32 0, v5
	s_cbranch_execz .LBB76_114
; %bb.111:                              ;   in Loop: Header=BB76_85 Depth=1
	v_dual_mov_b32 v8, 1 :: v_dual_mov_b32 v9, v5
	s_mov_b32 s14, 0
	s_mov_b32 s15, s20
.LBB76_112:                             ;   Parent Loop BB76_85 Depth=1
                                        ; =>  This Inner Loop Header: Depth=2
	s_delay_alu instid0(VALU_DEP_1) | instskip(SKIP_1) | instid1(VALU_DEP_1)
	v_lshrrev_b16 v11, 1, v9
	v_and_b32_e32 v10, 1, v9
	v_cmp_eq_u32_e32 vcc_lo, 1, v10
	s_wait_alu 0xfffc
	v_cndmask_b32_e64 v10, 1, s15, vcc_lo
	v_cmp_gt_i16_e32 vcc_lo, 2, v9
	v_mov_b32_e32 v9, v11
	s_mul_i32 s15, s15, s15
	s_delay_alu instid0(VALU_DEP_3)
	v_mul_lo_u16 v8, v10, v8
	s_or_b32 s14, vcc_lo, s14
	s_wait_alu 0xfffe
	s_and_not1_b32 exec_lo, exec_lo, s14
	s_cbranch_execnz .LBB76_112
; %bb.113:                              ;   in Loop: Header=BB76_85 Depth=1
	s_or_b32 exec_lo, exec_lo, s14
.LBB76_114:                             ;   in Loop: Header=BB76_85 Depth=1
	s_delay_alu instid0(SALU_CYCLE_1)
	s_or_b32 exec_lo, exec_lo, s13
.LBB76_115:                             ;   in Loop: Header=BB76_85 Depth=1
	s_wait_alu 0xfffe
	s_and_not1_saveexec_b32 s0, s0
	s_cbranch_execz .LBB76_121
; %bb.116:                              ;   in Loop: Header=BB76_85 Depth=1
	s_mov_b32 s15, -1
	s_mov_b32 s13, 0
	s_cmp_lt_i32 s1, 1
	s_mov_b32 s14, 0
	s_cbranch_scc0 .LBB76_138
; %bb.117:                              ;   in Loop: Header=BB76_85 Depth=1
	s_wait_alu 0xfffe
	s_and_not1_b32 vcc_lo, exec_lo, s15
	s_wait_alu 0xfffe
	s_cbranch_vccz .LBB76_139
.LBB76_118:                             ;   in Loop: Header=BB76_85 Depth=1
	s_wait_alu 0xfffe
	s_and_not1_b32 vcc_lo, exec_lo, s14
	s_mov_b32 s14, s20
	s_wait_alu 0xfffe
	s_cbranch_vccz .LBB76_140
.LBB76_119:                             ;   in Loop: Header=BB76_85 Depth=1
	v_mov_b32_e32 v8, s14
	s_and_not1_b32 vcc_lo, exec_lo, s13
	s_wait_alu 0xfffe
	s_cbranch_vccnz .LBB76_121
.LBB76_120:                             ;   in Loop: Header=BB76_85 Depth=1
	v_and_b32_e32 v8, 1, v5
	s_delay_alu instid0(VALU_DEP_1)
	v_cmp_eq_u16_e32 vcc_lo, 0, v8
	s_wait_alu 0xfffd
	v_cndmask_b32_e64 v8, -1, 1, vcc_lo
.LBB76_121:                             ;   in Loop: Header=BB76_85 Depth=1
	s_wait_alu 0xfffe
	s_or_b32 exec_lo, exec_lo, s0
	v_lshrrev_b32_e32 v9, 16, v5
	s_mov_b32 s0, exec_lo
                                        ; implicit-def: $vgpr10
	v_cmpx_lt_i64_e32 -1, v[4:5]
	s_wait_alu 0xfffe
	s_xor_b32 s0, exec_lo, s0
	s_cbranch_execz .LBB76_127
; %bb.122:                              ;   in Loop: Header=BB76_85 Depth=1
	v_mov_b32_e32 v10, 1
	s_mov_b32 s13, exec_lo
	v_cmpx_lt_u64_e64 s[4:5], v[4:5]
	s_cbranch_execz .LBB76_126
; %bb.123:                              ;   in Loop: Header=BB76_85 Depth=1
	v_mov_b32_e32 v10, 1
	s_mov_b32 s14, 0
	s_mov_b32 s15, s20
.LBB76_124:                             ;   Parent Loop BB76_85 Depth=1
                                        ; =>  This Inner Loop Header: Depth=2
	v_lshrrev_b16 v5, 1, v9
	v_and_b32_e32 v4, 1, v9
	s_delay_alu instid0(VALU_DEP_1)
	v_cmp_eq_u32_e32 vcc_lo, 1, v4
	s_wait_alu 0xfffc
	v_cndmask_b32_e64 v4, 1, s15, vcc_lo
	v_cmp_gt_i16_e32 vcc_lo, 2, v9
	v_mov_b32_e32 v9, v5
	s_mul_i32 s15, s15, s15
	s_delay_alu instid0(VALU_DEP_3)
	v_mul_lo_u16 v10, v4, v10
	s_or_b32 s14, vcc_lo, s14
	s_wait_alu 0xfffe
	s_and_not1_b32 exec_lo, exec_lo, s14
	s_cbranch_execnz .LBB76_124
; %bb.125:                              ;   in Loop: Header=BB76_85 Depth=1
	s_or_b32 exec_lo, exec_lo, s14
.LBB76_126:                             ;   in Loop: Header=BB76_85 Depth=1
	s_delay_alu instid0(SALU_CYCLE_1)
	s_or_b32 exec_lo, exec_lo, s13
                                        ; implicit-def: $vgpr9
.LBB76_127:                             ;   in Loop: Header=BB76_85 Depth=1
	s_wait_alu 0xfffe
	s_and_not1_saveexec_b32 s0, s0
	s_cbranch_execz .LBB76_84
; %bb.128:                              ;   in Loop: Header=BB76_85 Depth=1
	s_mov_b32 s15, -1
	s_mov_b32 s13, 0
	s_cmp_lt_i32 s1, 1
	s_mov_b32 s14, 0
	s_cbranch_scc0 .LBB76_141
; %bb.129:                              ;   in Loop: Header=BB76_85 Depth=1
	s_wait_alu 0xfffe
	s_and_not1_b32 vcc_lo, exec_lo, s15
	s_wait_alu 0xfffe
	s_cbranch_vccz .LBB76_142
.LBB76_130:                             ;   in Loop: Header=BB76_85 Depth=1
	s_wait_alu 0xfffe
	s_and_not1_b32 vcc_lo, exec_lo, s14
	s_mov_b32 s14, s20
	s_wait_alu 0xfffe
	s_cbranch_vccz .LBB76_143
.LBB76_131:                             ;   in Loop: Header=BB76_85 Depth=1
	v_mov_b32_e32 v10, s14
	s_and_not1_b32 vcc_lo, exec_lo, s13
	s_wait_alu 0xfffe
	s_cbranch_vccnz .LBB76_84
	s_branch .LBB76_144
.LBB76_132:                             ;   in Loop: Header=BB76_85 Depth=1
	s_cmp_lg_u32 s12, 1
	s_cselect_b32 s14, -1, 0
	s_cbranch_execnz .LBB76_94
.LBB76_133:                             ;   in Loop: Header=BB76_85 Depth=1
	s_cmp_lg_u32 s12, 0xffff
	s_mov_b32 s13, -1
	s_cselect_b32 s14, -1, 0
	s_wait_alu 0xfffe
	s_and_not1_b32 vcc_lo, exec_lo, s14
	s_mov_b32 s14, s20
	s_wait_alu 0xfffe
	s_cbranch_vccnz .LBB76_95
.LBB76_134:                             ;   in Loop: Header=BB76_85 Depth=1
	s_mov_b32 s14, 0
	s_wait_alu 0xfffe
	v_mov_b32_e32 v6, s14
	s_cbranch_execz .LBB76_96
	s_branch .LBB76_97
.LBB76_135:                             ;   in Loop: Header=BB76_85 Depth=1
	s_cmp_lg_u32 s12, 1
	s_cselect_b32 s14, -1, 0
	s_cbranch_execnz .LBB76_106
.LBB76_136:                             ;   in Loop: Header=BB76_85 Depth=1
	s_cmp_lg_u32 s12, 0xffff
	s_mov_b32 s13, -1
	s_cselect_b32 s14, -1, 0
	s_wait_alu 0xfffe
	s_and_not1_b32 vcc_lo, exec_lo, s14
	s_mov_b32 s14, s20
	s_wait_alu 0xfffe
	s_cbranch_vccnz .LBB76_107
.LBB76_137:                             ;   in Loop: Header=BB76_85 Depth=1
	s_mov_b32 s14, 0
	s_wait_alu 0xfffe
	v_mov_b32_e32 v7, s14
	s_cbranch_execz .LBB76_108
	s_branch .LBB76_109
.LBB76_138:                             ;   in Loop: Header=BB76_85 Depth=1
	s_cmp_lg_u32 s12, 1
	s_cselect_b32 s14, -1, 0
	s_cbranch_execnz .LBB76_118
.LBB76_139:                             ;   in Loop: Header=BB76_85 Depth=1
	s_cmp_lg_u32 s12, 0xffff
	s_mov_b32 s13, -1
	s_cselect_b32 s14, -1, 0
	s_wait_alu 0xfffe
	s_and_not1_b32 vcc_lo, exec_lo, s14
	s_mov_b32 s14, s20
	s_wait_alu 0xfffe
	s_cbranch_vccnz .LBB76_119
.LBB76_140:                             ;   in Loop: Header=BB76_85 Depth=1
	s_mov_b32 s14, 0
	s_wait_alu 0xfffe
	v_mov_b32_e32 v8, s14
	s_cbranch_execz .LBB76_120
	s_branch .LBB76_121
.LBB76_141:                             ;   in Loop: Header=BB76_85 Depth=1
	s_cmp_lg_u32 s12, 1
	s_cselect_b32 s14, -1, 0
	s_cbranch_execnz .LBB76_130
.LBB76_142:                             ;   in Loop: Header=BB76_85 Depth=1
	s_cmp_lg_u32 s12, 0xffff
	s_mov_b32 s13, -1
	s_cselect_b32 s14, -1, 0
	s_wait_alu 0xfffe
	s_and_not1_b32 vcc_lo, exec_lo, s14
	s_mov_b32 s14, s20
	s_wait_alu 0xfffe
	s_cbranch_vccnz .LBB76_131
.LBB76_143:                             ;   in Loop: Header=BB76_85 Depth=1
	s_mov_b32 s14, 0
	s_wait_alu 0xfffe
	v_mov_b32_e32 v10, s14
	s_cbranch_execnz .LBB76_84
.LBB76_144:                             ;   in Loop: Header=BB76_85 Depth=1
	v_and_b32_e32 v4, 1, v9
	s_delay_alu instid0(VALU_DEP_1)
	v_cmp_eq_u16_e32 vcc_lo, 0, v4
	s_wait_alu 0xfffd
	v_cndmask_b32_e64 v10, -1, 1, vcc_lo
	s_branch .LBB76_84
.LBB76_145:
	s_endpgm
	.section	.rodata,"a",@progbits
	.p2align	6, 0x0
	.amdhsa_kernel _ZN2at6native12_GLOBAL__N_125multi_tensor_apply_kernelINS1_18TensorListMetadataILi2EEENS1_21BinaryOpScalarFunctorIsLi2ELi1ELi1EEEJNS1_21reverse_power_functorIsEEsEEEvT_T0_DpT1_
		.amdhsa_group_segment_fixed_size 0
		.amdhsa_private_segment_fixed_size 0
		.amdhsa_kernarg_size 3408
		.amdhsa_user_sgpr_count 2
		.amdhsa_user_sgpr_dispatch_ptr 0
		.amdhsa_user_sgpr_queue_ptr 0
		.amdhsa_user_sgpr_kernarg_segment_ptr 1
		.amdhsa_user_sgpr_dispatch_id 0
		.amdhsa_user_sgpr_private_segment_size 0
		.amdhsa_wavefront_size32 1
		.amdhsa_uses_dynamic_stack 0
		.amdhsa_enable_private_segment 0
		.amdhsa_system_sgpr_workgroup_id_x 1
		.amdhsa_system_sgpr_workgroup_id_y 0
		.amdhsa_system_sgpr_workgroup_id_z 0
		.amdhsa_system_sgpr_workgroup_info 0
		.amdhsa_system_vgpr_workitem_id 0
		.amdhsa_next_free_vgpr 16
		.amdhsa_next_free_sgpr 31
		.amdhsa_reserve_vcc 1
		.amdhsa_float_round_mode_32 0
		.amdhsa_float_round_mode_16_64 0
		.amdhsa_float_denorm_mode_32 3
		.amdhsa_float_denorm_mode_16_64 3
		.amdhsa_fp16_overflow 0
		.amdhsa_workgroup_processor_mode 1
		.amdhsa_memory_ordered 1
		.amdhsa_forward_progress 1
		.amdhsa_inst_pref_size 30
		.amdhsa_round_robin_scheduling 0
		.amdhsa_exception_fp_ieee_invalid_op 0
		.amdhsa_exception_fp_denorm_src 0
		.amdhsa_exception_fp_ieee_div_zero 0
		.amdhsa_exception_fp_ieee_overflow 0
		.amdhsa_exception_fp_ieee_underflow 0
		.amdhsa_exception_fp_ieee_inexact 0
		.amdhsa_exception_int_div_zero 0
	.end_amdhsa_kernel
	.section	.text._ZN2at6native12_GLOBAL__N_125multi_tensor_apply_kernelINS1_18TensorListMetadataILi2EEENS1_21BinaryOpScalarFunctorIsLi2ELi1ELi1EEEJNS1_21reverse_power_functorIsEEsEEEvT_T0_DpT1_,"axG",@progbits,_ZN2at6native12_GLOBAL__N_125multi_tensor_apply_kernelINS1_18TensorListMetadataILi2EEENS1_21BinaryOpScalarFunctorIsLi2ELi1ELi1EEEJNS1_21reverse_power_functorIsEEsEEEvT_T0_DpT1_,comdat
.Lfunc_end76:
	.size	_ZN2at6native12_GLOBAL__N_125multi_tensor_apply_kernelINS1_18TensorListMetadataILi2EEENS1_21BinaryOpScalarFunctorIsLi2ELi1ELi1EEEJNS1_21reverse_power_functorIsEEsEEEvT_T0_DpT1_, .Lfunc_end76-_ZN2at6native12_GLOBAL__N_125multi_tensor_apply_kernelINS1_18TensorListMetadataILi2EEENS1_21BinaryOpScalarFunctorIsLi2ELi1ELi1EEEJNS1_21reverse_power_functorIsEEsEEEvT_T0_DpT1_
                                        ; -- End function
	.set _ZN2at6native12_GLOBAL__N_125multi_tensor_apply_kernelINS1_18TensorListMetadataILi2EEENS1_21BinaryOpScalarFunctorIsLi2ELi1ELi1EEEJNS1_21reverse_power_functorIsEEsEEEvT_T0_DpT1_.num_vgpr, 16
	.set _ZN2at6native12_GLOBAL__N_125multi_tensor_apply_kernelINS1_18TensorListMetadataILi2EEENS1_21BinaryOpScalarFunctorIsLi2ELi1ELi1EEEJNS1_21reverse_power_functorIsEEsEEEvT_T0_DpT1_.num_agpr, 0
	.set _ZN2at6native12_GLOBAL__N_125multi_tensor_apply_kernelINS1_18TensorListMetadataILi2EEENS1_21BinaryOpScalarFunctorIsLi2ELi1ELi1EEEJNS1_21reverse_power_functorIsEEsEEEvT_T0_DpT1_.numbered_sgpr, 31
	.set _ZN2at6native12_GLOBAL__N_125multi_tensor_apply_kernelINS1_18TensorListMetadataILi2EEENS1_21BinaryOpScalarFunctorIsLi2ELi1ELi1EEEJNS1_21reverse_power_functorIsEEsEEEvT_T0_DpT1_.num_named_barrier, 0
	.set _ZN2at6native12_GLOBAL__N_125multi_tensor_apply_kernelINS1_18TensorListMetadataILi2EEENS1_21BinaryOpScalarFunctorIsLi2ELi1ELi1EEEJNS1_21reverse_power_functorIsEEsEEEvT_T0_DpT1_.private_seg_size, 0
	.set _ZN2at6native12_GLOBAL__N_125multi_tensor_apply_kernelINS1_18TensorListMetadataILi2EEENS1_21BinaryOpScalarFunctorIsLi2ELi1ELi1EEEJNS1_21reverse_power_functorIsEEsEEEvT_T0_DpT1_.uses_vcc, 1
	.set _ZN2at6native12_GLOBAL__N_125multi_tensor_apply_kernelINS1_18TensorListMetadataILi2EEENS1_21BinaryOpScalarFunctorIsLi2ELi1ELi1EEEJNS1_21reverse_power_functorIsEEsEEEvT_T0_DpT1_.uses_flat_scratch, 0
	.set _ZN2at6native12_GLOBAL__N_125multi_tensor_apply_kernelINS1_18TensorListMetadataILi2EEENS1_21BinaryOpScalarFunctorIsLi2ELi1ELi1EEEJNS1_21reverse_power_functorIsEEsEEEvT_T0_DpT1_.has_dyn_sized_stack, 0
	.set _ZN2at6native12_GLOBAL__N_125multi_tensor_apply_kernelINS1_18TensorListMetadataILi2EEENS1_21BinaryOpScalarFunctorIsLi2ELi1ELi1EEEJNS1_21reverse_power_functorIsEEsEEEvT_T0_DpT1_.has_recursion, 0
	.set _ZN2at6native12_GLOBAL__N_125multi_tensor_apply_kernelINS1_18TensorListMetadataILi2EEENS1_21BinaryOpScalarFunctorIsLi2ELi1ELi1EEEJNS1_21reverse_power_functorIsEEsEEEvT_T0_DpT1_.has_indirect_call, 0
	.section	.AMDGPU.csdata,"",@progbits
; Kernel info:
; codeLenInByte = 3784
; TotalNumSgprs: 33
; NumVgprs: 16
; ScratchSize: 0
; MemoryBound: 0
; FloatMode: 240
; IeeeMode: 1
; LDSByteSize: 0 bytes/workgroup (compile time only)
; SGPRBlocks: 0
; VGPRBlocks: 1
; NumSGPRsForWavesPerEU: 33
; NumVGPRsForWavesPerEU: 16
; Occupancy: 16
; WaveLimiterHint : 0
; COMPUTE_PGM_RSRC2:SCRATCH_EN: 0
; COMPUTE_PGM_RSRC2:USER_SGPR: 2
; COMPUTE_PGM_RSRC2:TRAP_HANDLER: 0
; COMPUTE_PGM_RSRC2:TGID_X_EN: 1
; COMPUTE_PGM_RSRC2:TGID_Y_EN: 0
; COMPUTE_PGM_RSRC2:TGID_Z_EN: 0
; COMPUTE_PGM_RSRC2:TIDIG_COMP_CNT: 0
	.section	.text._ZN2at6native12_GLOBAL__N_125multi_tensor_apply_kernelINS1_18TensorListMetadataILi2EEENS1_21BinaryOpScalarFunctorIdLi2ELi1ELi1EEEJNS1_21reverse_power_functorIdEEdEEEvT_T0_DpT1_,"axG",@progbits,_ZN2at6native12_GLOBAL__N_125multi_tensor_apply_kernelINS1_18TensorListMetadataILi2EEENS1_21BinaryOpScalarFunctorIdLi2ELi1ELi1EEEJNS1_21reverse_power_functorIdEEdEEEvT_T0_DpT1_,comdat
	.globl	_ZN2at6native12_GLOBAL__N_125multi_tensor_apply_kernelINS1_18TensorListMetadataILi2EEENS1_21BinaryOpScalarFunctorIdLi2ELi1ELi1EEEJNS1_21reverse_power_functorIdEEdEEEvT_T0_DpT1_ ; -- Begin function _ZN2at6native12_GLOBAL__N_125multi_tensor_apply_kernelINS1_18TensorListMetadataILi2EEENS1_21BinaryOpScalarFunctorIdLi2ELi1ELi1EEEJNS1_21reverse_power_functorIdEEdEEEvT_T0_DpT1_
	.p2align	8
	.type	_ZN2at6native12_GLOBAL__N_125multi_tensor_apply_kernelINS1_18TensorListMetadataILi2EEENS1_21BinaryOpScalarFunctorIdLi2ELi1ELi1EEEJNS1_21reverse_power_functorIdEEdEEEvT_T0_DpT1_,@function
_ZN2at6native12_GLOBAL__N_125multi_tensor_apply_kernelINS1_18TensorListMetadataILi2EEENS1_21BinaryOpScalarFunctorIdLi2ELi1ELi1EEEJNS1_21reverse_power_functorIdEEdEEEvT_T0_DpT1_: ; @_ZN2at6native12_GLOBAL__N_125multi_tensor_apply_kernelINS1_18TensorListMetadataILi2EEENS1_21BinaryOpScalarFunctorIdLi2ELi1ELi1EEEJNS1_21reverse_power_functorIdEEdEEEvT_T0_DpT1_
; %bb.0:
	s_load_u8 s8, s[0:1], ttmp9 offset:0x600
	s_mov_b32 s2, ttmp9
	s_mov_b32 s3, 0
	s_delay_alu instid0(SALU_CYCLE_1)
	s_mul_u64 s[4:5], s[2:3], 3
	s_add_nc_u64 s[6:7], s[0:1], s[2:3]
	s_mov_b32 s11, s3
	s_add_nc_u64 s[4:5], s[6:7], s[4:5]
	s_mov_b32 s13, s3
	s_load_b32 s4, s[4:5], 0x740
	s_wait_kmcnt 0x0
	s_lshl_b32 s2, s8, 3
	s_clause 0x3
	s_load_b64 s[24:25], s[0:1], s2 offset:0x0
	s_load_b64 s[26:27], s[0:1], s2 offset:0x200
	;; [unrolled: 1-line block ×3, first 2 shown]
	s_load_b64 s[28:29], s[0:1], 0xc50
	s_ashr_i32 s5, s4, 31
	s_delay_alu instid0(SALU_CYCLE_1)
	s_lshl_b64 s[8:9], s[4:5], 19
	s_lshl_b64 s[4:5], s[4:5], 16
	s_wait_kmcnt 0x0
	s_add_nc_u64 s[14:15], s[24:25], s[8:9]
	s_and_b32 s10, s26, 31
	s_and_b32 s12, s6, 3
	;; [unrolled: 1-line block ×3, first 2 shown]
	s_or_b64 s[10:11], s[10:11], s[12:13]
	s_delay_alu instid0(SALU_CYCLE_1)
	s_or_b64 s[2:3], s[10:11], s[2:3]
	s_sub_nc_u64 s[10:11], s[6:7], s[4:5]
	s_cmp_eq_u64 s[2:3], 0
	s_mov_b32 s2, -1
	s_cbranch_scc1 .LBB77_21
; %bb.1:
	v_cmp_lt_i64_e64 s2, s[10:11], 1
	s_and_b32 vcc_lo, exec_lo, s2
	s_cbranch_vccnz .LBB77_20
; %bb.2:
	s_load_b32 s2, s[0:1], 0xc64
	v_cmp_gt_i64_e64 s3, 0x10000, s[10:11]
	v_cmp_eq_f64_e64 s33, s[28:29], 1.0
	v_dual_mov_b32 v2, 0 :: v_dual_lshlrev_b32 v1, 3, v0
	v_cmp_gt_u64_e64 s4, 0x10000, s[10:11]
	s_mov_b32 s20, 0x55555555
	s_and_b32 s3, s3, exec_lo
	s_cselect_b32 s15, s11, 0
	s_cselect_b32 s14, s10, 0x10000
	v_add_co_u32 v9, s5, s24, v1
	s_delay_alu instid0(VALU_DEP_1)
	v_add_co_ci_u32_e64 v10, null, s25, 0, s5
	v_add_co_u32 v11, s5, s26, v1
	s_wait_alu 0xf1ff
	v_add_co_ci_u32_e64 v12, null, s27, 0, s5
	s_mov_b32 s22, 0xfefa39ef
	s_mov_b32 s30, 0x3b39803f
	s_wait_kmcnt 0x0
	s_and_b32 s2, s2, 0xffff
	s_and_b32 s3, s4, exec_lo
	v_mad_co_u64_u32 v[2:3], null, s2, 24, v[1:2]
	s_cselect_b32 s17, s11, 0
	s_cselect_b32 s16, s10, 0x10000
	s_lshl_b32 s5, s2, 4
	s_lshl_b32 s3, s2, 1
	s_wait_alu 0xfffe
	v_add_co_u32 v1, s5, s5, v1
	v_add_co_u32 v13, vcc_lo, s24, v2
	s_mul_i32 s4, s2, 3
	s_lshl_b32 s12, s2, 2
	s_lshl_b32 s82, s2, 5
	v_add_co_ci_u32_e64 v14, null, s25, v3, vcc_lo
	v_add_co_u32 v15, vcc_lo, s26, v2
	v_add_co_ci_u32_e64 v2, null, 0, 0, s5
	v_add_co_u32 v21, s2, v0, s2
	s_wait_alu 0xfffd
	v_add_co_ci_u32_e64 v16, null, s27, v3, vcc_lo
	v_add_co_u32 v19, vcc_lo, s24, v1
	s_wait_alu 0xfffd
	v_add_co_ci_u32_e64 v20, null, s25, v2, vcc_lo
	v_add_co_u32 v22, vcc_lo, s26, v1
	v_lshlrev_b32_e32 v1, 3, v21
	s_wait_alu 0xf1ff
	v_add_co_ci_u32_e64 v24, null, 0, 0, s2
	v_add_co_u32 v25, s2, s3, v0
	s_wait_alu 0xf1ff
	v_add_co_ci_u32_e64 v26, null, 0, 0, s2
	v_add_co_u32 v27, s2, s24, v1
	s_wait_alu 0xfffe
	v_add_co_u32 v17, s4, s4, v0
	s_wait_alu 0xf1ff
	v_add_co_ci_u32_e64 v28, null, s25, 0, s2
	v_add_co_u32 v29, s2, s26, v1
	v_add_co_ci_u32_e64 v18, null, 0, 0, s4
	s_wait_alu 0xfffd
	v_add_co_ci_u32_e64 v23, null, s27, v2, vcc_lo
	s_wait_alu 0xf1ff
	v_add_co_ci_u32_e64 v30, null, s27, 0, s2
	s_mov_b32 s34, 0x968915a9
	s_mov_b32 s36, 0x4222de17
	;; [unrolled: 1-line block ×22, first 2 shown]
	s_mov_b64 s[18:19], 0
	s_mov_b32 s21, 0x3fe55555
	s_mov_b32 s23, 0x3fe62e42
	s_mov_b32 s31, 0x3c7abc9e
	s_mov_b32 s35, 0x3fba6564
	s_mov_b32 s37, 0x3fbdee67
	s_mov_b32 s39, 0x3fbe25e4
	s_mov_b32 s41, 0x3fc110ef
	s_mov_b32 s43, 0x3fc3b13b
	s_mov_b32 s45, 0x3fc745d1
	s_mov_b32 s47, 0x3fcc71c7
	s_mov_b32 s49, 0x3fd24924
	s_mov_b32 s51, 0x3fd99999
	s_mov_b32 s53, 0x3c8543b0
	s_mov_b32 s55, 0xbfe55555
	s_mov_b32 s57, 0x3ff71547
	s_mov_b32 s59, 0xbfe62e42
	s_mov_b32 s61, 0xbc7abc9e
	s_mov_b32 s63, 0x3e928af3
	s_mov_b32 s65, 0x3e5ade15
	s_mov_b32 s67, 0x3ec71dee
	s_mov_b32 s69, 0x3efa0199
	s_mov_b32 s71, 0x3f2a01a0
	s_mov_b32 s73, 0x3f56c16c
	s_mov_b32 s75, 0x3f811111
	s_mov_b32 s77, 0x3fa55555
	s_mov_b32 s79, 0x3fc55555
	s_mov_b32 s81, 0x3fe00000
	s_branch .LBB77_4
.LBB77_3:                               ;   in Loop: Header=BB77_4 Depth=1
	s_wait_alu 0xfffe
	s_or_b32 exec_lo, exec_lo, s6
	v_add_co_u32 v9, vcc_lo, v9, s82
	s_wait_alu 0xfffd
	v_add_co_ci_u32_e64 v10, null, 0, v10, vcc_lo
	v_add_co_u32 v11, vcc_lo, v11, s82
	s_wait_alu 0xfffd
	v_add_co_ci_u32_e64 v12, null, 0, v12, vcc_lo
	;; [unrolled: 3-line block ×5, first 2 shown]
	v_add_co_u32 v22, vcc_lo, v22, s82
	s_add_nc_u64 s[18:19], s[18:19], s[12:13]
	s_wait_alu 0xfffd
	v_add_co_ci_u32_e64 v23, null, 0, v23, vcc_lo
	v_add_co_u32 v27, vcc_lo, v27, s82
	s_wait_alu 0xfffe
	v_cmp_lt_i64_e64 s2, s[18:19], s[14:15]
	s_wait_alu 0xfffd
	v_add_co_ci_u32_e64 v28, null, 0, v28, vcc_lo
	v_add_co_u32 v29, vcc_lo, v29, s82
	s_wait_alu 0xfffd
	v_add_co_ci_u32_e64 v30, null, 0, v30, vcc_lo
	s_and_b32 vcc_lo, exec_lo, s2
	s_wait_alu 0xfffe
	s_cbranch_vccz .LBB77_20
.LBB77_4:                               ; =>This Inner Loop Header: Depth=1
	s_wait_loadcnt 0x0
	v_add_co_u32 v1, s2, v0, s18
	s_wait_alu 0xf1ff
	v_add_co_ci_u32_e64 v2, null, 0, s19, s2
	v_mov_b32_e32 v5, 0
	v_dual_mov_b32 v6, 0 :: v_dual_mov_b32 v7, 0
	s_delay_alu instid0(VALU_DEP_3)
	v_cmp_gt_u64_e64 s4, s[16:17], v[1:2]
	v_mov_b32_e32 v8, 0
	s_and_saveexec_b32 s2, s4
	s_cbranch_execz .LBB77_6
; %bb.5:                                ;   in Loop: Header=BB77_4 Depth=1
	v_add_co_u32 v1, vcc_lo, v9, s8
	s_wait_alu 0xfffd
	v_add_co_ci_u32_e64 v2, null, s9, v10, vcc_lo
	global_load_b64 v[7:8], v[1:2], off
.LBB77_6:                               ;   in Loop: Header=BB77_4 Depth=1
	s_wait_alu 0xfffe
	s_or_b32 exec_lo, exec_lo, s2
	v_add_co_u32 v1, vcc_lo, v21, s18
	s_wait_alu 0xfffd
	v_add_co_ci_u32_e64 v2, null, s19, v24, vcc_lo
	s_delay_alu instid0(VALU_DEP_1)
	v_cmp_gt_u64_e64 s3, s[16:17], v[1:2]
	s_and_saveexec_b32 s2, s3
	s_cbranch_execz .LBB77_8
; %bb.7:                                ;   in Loop: Header=BB77_4 Depth=1
	v_add_co_u32 v1, vcc_lo, v27, s8
	s_wait_alu 0xfffd
	v_add_co_ci_u32_e64 v2, null, s9, v28, vcc_lo
	global_load_b64 v[5:6], v[1:2], off
.LBB77_8:                               ;   in Loop: Header=BB77_4 Depth=1
	s_wait_alu 0xfffe
	s_or_b32 exec_lo, exec_lo, s2
	v_add_co_u32 v3, vcc_lo, v25, s18
	s_wait_alu 0xfffd
	v_add_co_ci_u32_e64 v4, null, s19, v26, vcc_lo
	v_mov_b32_e32 v1, 0
	v_mov_b32_e32 v2, 0
	s_delay_alu instid0(VALU_DEP_3)
	v_cmp_gt_u64_e64 s2, s[16:17], v[3:4]
	v_mov_b32_e32 v3, 0
	v_mov_b32_e32 v4, 0
	s_and_saveexec_b32 s5, s2
	s_cbranch_execz .LBB77_10
; %bb.9:                                ;   in Loop: Header=BB77_4 Depth=1
	v_add_co_u32 v3, vcc_lo, v19, s8
	s_wait_alu 0xfffd
	v_add_co_ci_u32_e64 v4, null, s9, v20, vcc_lo
	global_load_b64 v[3:4], v[3:4], off
.LBB77_10:                              ;   in Loop: Header=BB77_4 Depth=1
	s_wait_alu 0xfffe
	s_or_b32 exec_lo, exec_lo, s5
	v_add_co_u32 v31, vcc_lo, v17, s18
	s_wait_alu 0xfffd
	v_add_co_ci_u32_e64 v32, null, s19, v18, vcc_lo
	s_delay_alu instid0(VALU_DEP_1)
	v_cmp_gt_u64_e32 vcc_lo, s[16:17], v[31:32]
	s_and_saveexec_b32 s6, vcc_lo
	s_cbranch_execnz .LBB77_15
; %bb.11:                               ;   in Loop: Header=BB77_4 Depth=1
	s_wait_alu 0xfffe
	s_or_b32 exec_lo, exec_lo, s6
	s_and_saveexec_b32 s83, s4
	s_cbranch_execnz .LBB77_16
.LBB77_12:                              ;   in Loop: Header=BB77_4 Depth=1
	s_wait_alu 0xfffe
	s_or_b32 exec_lo, exec_lo, s83
	s_and_saveexec_b32 s83, s3
	s_cbranch_execnz .LBB77_17
.LBB77_13:                              ;   in Loop: Header=BB77_4 Depth=1
	s_wait_alu 0xfffe
	s_or_b32 exec_lo, exec_lo, s83
	s_and_saveexec_b32 s7, s2
	s_cbranch_execnz .LBB77_18
.LBB77_14:                              ;   in Loop: Header=BB77_4 Depth=1
	s_wait_alu 0xfffe
	s_or_b32 exec_lo, exec_lo, s7
	s_and_saveexec_b32 s6, vcc_lo
	s_cbranch_execz .LBB77_3
	s_branch .LBB77_19
.LBB77_15:                              ;   in Loop: Header=BB77_4 Depth=1
	v_add_co_u32 v1, s5, v13, s8
	s_wait_alu 0xf1ff
	v_add_co_ci_u32_e64 v2, null, s9, v14, s5
	global_load_b64 v[1:2], v[1:2], off
	s_wait_alu 0xfffe
	s_or_b32 exec_lo, exec_lo, s6
	s_and_saveexec_b32 s83, s4
	s_cbranch_execz .LBB77_12
.LBB77_16:                              ;   in Loop: Header=BB77_4 Depth=1
	s_wait_loadcnt 0x0
	v_cndmask_b32_e64 v8, v8, 0x3ff00000, s33
	v_cndmask_b32_e64 v7, v7, 0, s33
	v_mov_b32_e32 v31, s29
	s_mov_b32 s54, s20
	s_mov_b32 s58, s22
	;; [unrolled: 1-line block ×3, first 2 shown]
	v_cmp_neq_f64_e64 s4, 0, v[7:8]
	v_cmp_neq_f64_e64 s7, v[7:8], |v[7:8]|
	s_wait_alu 0xf1ff
	s_delay_alu instid0(VALU_DEP_2) | instskip(SKIP_1) | instid1(VALU_DEP_1)
	v_cndmask_b32_e64 v32, 0x3ff00000, v31, s4
	v_cndmask_b32_e64 v31, 0, s28, s4
	v_frexp_mant_f64_e64 v[33:34], |v[31:32]|
	v_frexp_exp_i32_f64_e32 v35, v[31:32]
	s_delay_alu instid0(VALU_DEP_2) | instskip(SKIP_1) | instid1(VALU_DEP_1)
	v_cmp_gt_f64_e64 s4, s[20:21], v[33:34]
	s_wait_alu 0xf1ff
	v_subrev_co_ci_u32_e64 v53, null, 0, v35, s4
	v_cndmask_b32_e64 v35, 0, 1, s4
	s_delay_alu instid0(VALU_DEP_1) | instskip(NEXT) | instid1(VALU_DEP_1)
	v_ldexp_f64 v[33:34], v[33:34], v35
	v_add_f64_e32 v[35:36], 1.0, v[33:34]
	v_add_f64_e32 v[41:42], -1.0, v[33:34]
	s_delay_alu instid0(VALU_DEP_2) | instskip(SKIP_1) | instid1(VALU_DEP_1)
	v_rcp_f64_e32 v[37:38], v[35:36]
	v_add_f64_e32 v[43:44], -1.0, v[35:36]
	v_add_f64_e64 v[33:34], v[33:34], -v[43:44]
	s_delay_alu instid0(TRANS32_DEP_1) | instskip(NEXT) | instid1(VALU_DEP_1)
	v_fma_f64 v[39:40], -v[35:36], v[37:38], 1.0
	v_fma_f64 v[37:38], v[39:40], v[37:38], v[37:38]
	s_delay_alu instid0(VALU_DEP_1) | instskip(NEXT) | instid1(VALU_DEP_1)
	v_fma_f64 v[39:40], -v[35:36], v[37:38], 1.0
	v_fma_f64 v[37:38], v[39:40], v[37:38], v[37:38]
	s_delay_alu instid0(VALU_DEP_1) | instskip(NEXT) | instid1(VALU_DEP_1)
	v_mul_f64_e32 v[39:40], v[41:42], v[37:38]
	v_mul_f64_e32 v[45:46], v[35:36], v[39:40]
	s_delay_alu instid0(VALU_DEP_1) | instskip(NEXT) | instid1(VALU_DEP_1)
	v_fma_f64 v[35:36], v[39:40], v[35:36], -v[45:46]
	v_fma_f64 v[33:34], v[39:40], v[33:34], v[35:36]
	s_delay_alu instid0(VALU_DEP_1) | instskip(NEXT) | instid1(VALU_DEP_1)
	v_add_f64_e32 v[35:36], v[45:46], v[33:34]
	v_add_f64_e64 v[43:44], v[41:42], -v[35:36]
	v_add_f64_e64 v[45:46], v[35:36], -v[45:46]
	s_delay_alu instid0(VALU_DEP_2) | instskip(NEXT) | instid1(VALU_DEP_2)
	v_add_f64_e64 v[41:42], v[41:42], -v[43:44]
	v_add_f64_e64 v[33:34], v[45:46], -v[33:34]
	s_delay_alu instid0(VALU_DEP_2) | instskip(NEXT) | instid1(VALU_DEP_1)
	v_add_f64_e64 v[35:36], v[41:42], -v[35:36]
	v_add_f64_e32 v[33:34], v[33:34], v[35:36]
	s_delay_alu instid0(VALU_DEP_1) | instskip(NEXT) | instid1(VALU_DEP_1)
	v_add_f64_e32 v[33:34], v[43:44], v[33:34]
	v_mul_f64_e32 v[33:34], v[37:38], v[33:34]
	s_delay_alu instid0(VALU_DEP_1) | instskip(NEXT) | instid1(VALU_DEP_1)
	v_add_f64_e32 v[35:36], v[39:40], v[33:34]
	v_add_f64_e64 v[37:38], v[35:36], -v[39:40]
	v_mul_f64_e32 v[39:40], v[35:36], v[35:36]
	s_delay_alu instid0(VALU_DEP_2) | instskip(NEXT) | instid1(VALU_DEP_2)
	v_add_f64_e64 v[33:34], v[33:34], -v[37:38]
	v_fma_f64 v[37:38], v[35:36], v[35:36], -v[39:40]
	s_delay_alu instid0(VALU_DEP_2) | instskip(NEXT) | instid1(VALU_DEP_1)
	v_add_f64_e32 v[41:42], v[33:34], v[33:34]
	v_fma_f64 v[37:38], v[35:36], v[41:42], v[37:38]
	s_delay_alu instid0(VALU_DEP_1) | instskip(NEXT) | instid1(VALU_DEP_1)
	v_add_f64_e32 v[41:42], v[39:40], v[37:38]
	v_fma_f64 v[43:44], v[41:42], s[36:37], s[34:35]
	v_add_f64_e64 v[39:40], v[41:42], -v[39:40]
	v_mul_f64_e32 v[49:50], v[35:36], v[41:42]
	s_delay_alu instid0(VALU_DEP_3) | instskip(NEXT) | instid1(VALU_DEP_3)
	v_fma_f64 v[43:44], v[41:42], v[43:44], s[38:39]
	v_add_f64_e64 v[37:38], v[37:38], -v[39:40]
	s_delay_alu instid0(VALU_DEP_3) | instskip(NEXT) | instid1(VALU_DEP_3)
	v_fma_f64 v[51:52], v[41:42], v[35:36], -v[49:50]
	v_fma_f64 v[43:44], v[41:42], v[43:44], s[40:41]
	s_delay_alu instid0(VALU_DEP_1) | instskip(NEXT) | instid1(VALU_DEP_1)
	v_fma_f64 v[43:44], v[41:42], v[43:44], s[42:43]
	v_fma_f64 v[43:44], v[41:42], v[43:44], s[44:45]
	s_delay_alu instid0(VALU_DEP_1) | instskip(NEXT) | instid1(VALU_DEP_1)
	v_fma_f64 v[43:44], v[41:42], v[43:44], s[46:47]
	;; [unrolled: 3-line block ×3, first 2 shown]
	v_mul_f64_e32 v[45:46], v[41:42], v[43:44]
	s_delay_alu instid0(VALU_DEP_1) | instskip(SKIP_2) | instid1(VALU_DEP_3)
	v_fma_f64 v[39:40], v[41:42], v[43:44], -v[45:46]
	v_fma_f64 v[41:42], v[41:42], v[33:34], v[51:52]
	v_ldexp_f64 v[33:34], v[33:34], 1
	v_fma_f64 v[39:40], v[37:38], v[43:44], v[39:40]
	s_delay_alu instid0(VALU_DEP_3) | instskip(SKIP_1) | instid1(VALU_DEP_3)
	v_fma_f64 v[37:38], v[37:38], v[35:36], v[41:42]
	v_ldexp_f64 v[35:36], v[35:36], 1
	v_add_f64_e32 v[43:44], v[45:46], v[39:40]
	s_delay_alu instid0(VALU_DEP_1) | instskip(SKIP_1) | instid1(VALU_DEP_2)
	v_add_f64_e64 v[45:46], v[43:44], -v[45:46]
	v_add_f64_e32 v[47:48], s[20:21], v[43:44]
	v_add_f64_e64 v[39:40], v[39:40], -v[45:46]
	s_wait_alu 0xfffe
	s_delay_alu instid0(VALU_DEP_2) | instskip(SKIP_1) | instid1(VALU_DEP_3)
	v_add_f64_e32 v[45:46], s[54:55], v[47:48]
	v_cmp_lt_f64_e64 s54, |v[31:32]|, 1.0
	v_add_f64_e32 v[39:40], s[52:53], v[39:40]
	s_delay_alu instid0(VALU_DEP_3) | instskip(SKIP_2) | instid1(VALU_DEP_2)
	v_add_f64_e64 v[43:44], v[43:44], -v[45:46]
	s_xor_b32 s7, s7, s54
	v_cmp_class_f64_e64 s54, v[31:32], 0x204
	v_add_f64_e32 v[39:40], v[39:40], v[43:44]
	v_add_f64_e32 v[43:44], v[49:50], v[37:38]
	s_delay_alu instid0(VALU_DEP_2) | instskip(NEXT) | instid1(VALU_DEP_2)
	v_add_f64_e32 v[41:42], v[47:48], v[39:40]
	v_add_f64_e64 v[49:50], v[43:44], -v[49:50]
	s_delay_alu instid0(VALU_DEP_2) | instskip(SKIP_1) | instid1(VALU_DEP_3)
	v_add_f64_e64 v[45:46], v[47:48], -v[41:42]
	v_mul_f64_e32 v[47:48], v[43:44], v[41:42]
	v_add_f64_e64 v[37:38], v[37:38], -v[49:50]
	s_delay_alu instid0(VALU_DEP_3) | instskip(NEXT) | instid1(VALU_DEP_3)
	v_add_f64_e32 v[39:40], v[39:40], v[45:46]
	v_fma_f64 v[45:46], v[43:44], v[41:42], -v[47:48]
	s_delay_alu instid0(VALU_DEP_1) | instskip(NEXT) | instid1(VALU_DEP_1)
	v_fma_f64 v[39:40], v[43:44], v[39:40], v[45:46]
	v_fma_f64 v[37:38], v[37:38], v[41:42], v[39:40]
	v_cvt_f64_i32_e32 v[41:42], v53
	s_delay_alu instid0(VALU_DEP_2) | instskip(NEXT) | instid1(VALU_DEP_1)
	v_add_f64_e32 v[39:40], v[47:48], v[37:38]
	v_add_f64_e64 v[43:44], v[39:40], -v[47:48]
	v_add_f64_e32 v[45:46], v[35:36], v[39:40]
	s_delay_alu instid0(VALU_DEP_4) | instskip(NEXT) | instid1(VALU_DEP_3)
	v_mul_f64_e32 v[47:48], s[22:23], v[41:42]
	v_add_f64_e64 v[37:38], v[37:38], -v[43:44]
	s_delay_alu instid0(VALU_DEP_3) | instskip(NEXT) | instid1(VALU_DEP_3)
	v_add_f64_e64 v[35:36], v[45:46], -v[35:36]
	v_fma_f64 v[43:44], v[41:42], s[22:23], -v[47:48]
	s_delay_alu instid0(VALU_DEP_3) | instskip(NEXT) | instid1(VALU_DEP_3)
	v_add_f64_e32 v[33:34], v[33:34], v[37:38]
	v_add_f64_e64 v[35:36], v[39:40], -v[35:36]
	s_delay_alu instid0(VALU_DEP_3) | instskip(NEXT) | instid1(VALU_DEP_2)
	v_fma_f64 v[37:38], v[41:42], s[30:31], v[43:44]
	v_add_f64_e32 v[33:34], v[33:34], v[35:36]
	s_delay_alu instid0(VALU_DEP_2) | instskip(NEXT) | instid1(VALU_DEP_2)
	v_add_f64_e32 v[35:36], v[47:48], v[37:38]
	v_add_f64_e32 v[39:40], v[45:46], v[33:34]
	s_delay_alu instid0(VALU_DEP_2) | instskip(NEXT) | instid1(VALU_DEP_2)
	v_add_f64_e64 v[47:48], v[35:36], -v[47:48]
	v_add_f64_e32 v[41:42], v[35:36], v[39:40]
	v_add_f64_e64 v[45:46], v[39:40], -v[45:46]
	s_delay_alu instid0(VALU_DEP_3) | instskip(NEXT) | instid1(VALU_DEP_3)
	v_add_f64_e64 v[37:38], v[37:38], -v[47:48]
	v_add_f64_e64 v[43:44], v[41:42], -v[35:36]
	s_delay_alu instid0(VALU_DEP_3) | instskip(NEXT) | instid1(VALU_DEP_2)
	v_add_f64_e64 v[33:34], v[33:34], -v[45:46]
	v_add_f64_e64 v[49:50], v[41:42], -v[43:44]
	;; [unrolled: 1-line block ×3, first 2 shown]
	s_delay_alu instid0(VALU_DEP_3) | instskip(NEXT) | instid1(VALU_DEP_3)
	v_add_f64_e32 v[43:44], v[37:38], v[33:34]
	v_add_f64_e64 v[35:36], v[35:36], -v[49:50]
	s_delay_alu instid0(VALU_DEP_1) | instskip(NEXT) | instid1(VALU_DEP_3)
	v_add_f64_e32 v[35:36], v[39:40], v[35:36]
	v_add_f64_e64 v[39:40], v[43:44], -v[37:38]
	s_delay_alu instid0(VALU_DEP_2) | instskip(NEXT) | instid1(VALU_DEP_2)
	v_add_f64_e32 v[35:36], v[43:44], v[35:36]
	v_add_f64_e64 v[43:44], v[43:44], -v[39:40]
	v_add_f64_e64 v[33:34], v[33:34], -v[39:40]
	s_delay_alu instid0(VALU_DEP_3) | instskip(NEXT) | instid1(VALU_DEP_3)
	v_add_f64_e32 v[45:46], v[41:42], v[35:36]
	v_add_f64_e64 v[37:38], v[37:38], -v[43:44]
	s_delay_alu instid0(VALU_DEP_2) | instskip(NEXT) | instid1(VALU_DEP_2)
	v_add_f64_e64 v[39:40], v[45:46], -v[41:42]
	v_add_f64_e32 v[33:34], v[33:34], v[37:38]
	s_delay_alu instid0(VALU_DEP_2) | instskip(NEXT) | instid1(VALU_DEP_1)
	v_add_f64_e64 v[35:36], v[35:36], -v[39:40]
	v_add_f64_e32 v[33:34], v[33:34], v[35:36]
	s_delay_alu instid0(VALU_DEP_1) | instskip(NEXT) | instid1(VALU_DEP_1)
	v_add_f64_e32 v[35:36], v[45:46], v[33:34]
	v_add_f64_e64 v[37:38], v[35:36], -v[45:46]
	v_mul_f64_e32 v[39:40], v[7:8], v[35:36]
	s_delay_alu instid0(VALU_DEP_2) | instskip(NEXT) | instid1(VALU_DEP_2)
	v_add_f64_e64 v[33:34], v[33:34], -v[37:38]
	v_fma_f64 v[35:36], v[7:8], v[35:36], -v[39:40]
	v_cmp_class_f64_e64 s4, v[39:40], 0x204
	s_delay_alu instid0(VALU_DEP_2) | instskip(NEXT) | instid1(VALU_DEP_1)
	v_fma_f64 v[33:34], v[7:8], v[33:34], v[35:36]
	v_add_f64_e32 v[35:36], v[39:40], v[33:34]
	s_wait_alu 0xf1ff
	s_delay_alu instid0(VALU_DEP_1) | instskip(NEXT) | instid1(VALU_DEP_2)
	v_cndmask_b32_e64 v38, v36, v40, s4
	v_cndmask_b32_e64 v37, v35, v39, s4
	v_add_f64_e64 v[35:36], v[35:36], -v[39:40]
	s_delay_alu instid0(VALU_DEP_2)
	v_mul_f64_e32 v[41:42], s[56:57], v[37:38]
	v_cmp_nlt_f64_e64 s5, 0x40900000, v[37:38]
	v_cmp_neq_f64_e64 s4, 0x7ff00000, |v[37:38]|
	v_cmp_ngt_f64_e64 s6, 0xc090cc00, v[37:38]
	v_add_f64_e64 v[33:34], v[33:34], -v[35:36]
	v_trunc_f64_e32 v[35:36], v[7:8]
	v_rndne_f64_e32 v[41:42], v[41:42]
	s_wait_alu 0xf1ff
	s_delay_alu instid0(VALU_DEP_3) | instskip(NEXT) | instid1(VALU_DEP_4)
	v_cndmask_b32_e64 v34, 0, v34, s4
	v_cndmask_b32_e64 v33, 0, v33, s4
	s_and_b32 s4, s6, s5
	s_delay_alu instid0(VALU_DEP_3) | instskip(SKIP_1) | instid1(VALU_DEP_2)
	v_fma_f64 v[43:44], v[41:42], s[58:59], v[37:38]
	v_cvt_i32_f64_e32 v47, v[41:42]
	v_fma_f64 v[43:44], v[41:42], s[60:61], v[43:44]
	s_delay_alu instid0(VALU_DEP_1) | instskip(NEXT) | instid1(VALU_DEP_1)
	v_fma_f64 v[45:46], v[43:44], s[64:65], s[62:63]
	v_fma_f64 v[45:46], v[43:44], v[45:46], s[66:67]
	s_delay_alu instid0(VALU_DEP_1) | instskip(NEXT) | instid1(VALU_DEP_1)
	v_fma_f64 v[45:46], v[43:44], v[45:46], s[68:69]
	;; [unrolled: 3-line block ×5, first 2 shown]
	v_fma_f64 v[45:46], v[43:44], v[45:46], 1.0
	s_delay_alu instid0(VALU_DEP_1) | instskip(NEXT) | instid1(VALU_DEP_1)
	v_fma_f64 v[41:42], v[43:44], v[45:46], 1.0
	v_ldexp_f64 v[39:40], v[41:42], v47
	v_mul_f64_e32 v[41:42], 0.5, v[7:8]
	s_delay_alu instid0(VALU_DEP_2) | instskip(NEXT) | instid1(VALU_DEP_2)
	v_cndmask_b32_e64 v40, 0x7ff00000, v40, s5
	v_trunc_f64_e32 v[37:38], v[41:42]
	s_wait_alu 0xfffe
	s_delay_alu instid0(VALU_DEP_4) | instskip(SKIP_2) | instid1(VALU_DEP_1)
	v_cndmask_b32_e64 v39, 0, v39, s4
	v_cmp_eq_f64_e64 s4, v[35:36], v[7:8]
	v_cndmask_b32_e64 v40, 0, v40, s6
	v_fma_f64 v[33:34], v[39:40], v[33:34], v[39:40]
	v_cmp_class_f64_e64 s6, v[39:40], 0x204
	v_cmp_neq_f64_e64 s5, v[37:38], v[41:42]
	v_cndmask_b32_e64 v38, 0x7ff00000, 0, s7
	v_cmp_neq_f64_e64 s7, |v[31:32]|, 1.0
	s_wait_alu 0xf1ff
	s_delay_alu instid0(VALU_DEP_4) | instskip(SKIP_2) | instid1(VALU_DEP_2)
	v_cndmask_b32_e64 v34, v34, v40, s6
	v_cndmask_b32_e64 v33, v33, v39, s6
	v_cmp_eq_f64_e64 s6, 0, v[31:32]
	v_cndmask_b32_e64 v37, 0, v33, s4
	s_and_b32 s5, s4, s5
	s_wait_alu 0xfffe
	v_cndmask_b32_e64 v36, 0x3ff00000, v32, s5
	v_cndmask_b32_e64 v35, 0, v32, s5
	v_cmp_gt_f64_e64 s5, 0, v[7:8]
	v_cndmask_b32_e64 v38, 0x3ff00000, v38, s7
	s_delay_alu instid0(VALU_DEP_4) | instskip(NEXT) | instid1(VALU_DEP_1)
	v_bfi_b32 v34, 0x7fffffff, v34, v36
	v_cndmask_b32_e64 v36, 0x7ff80000, v34, s4
	v_cmp_gt_f64_e64 s4, 0, v[31:32]
	s_xor_b32 s5, s5, s6
	v_cndmask_b32_e64 v33, v33, v37, s4
	v_cndmask_b32_e64 v34, v34, v36, s4
	v_cmp_class_f64_e64 s4, v[7:8], 0x204
	s_wait_alu 0xfffe
	v_cndmask_b32_e64 v36, 0x7ff00000, 0, s5
	s_or_b32 s5, s6, s54
	s_delay_alu instid0(VALU_DEP_1)
	v_bfi_b32 v35, 0x7fffffff, v36, v35
	v_cndmask_b32_e64 v34, v34, v38, s4
	s_wait_alu 0xfffe
	s_or_b32 s4, s5, s4
	s_wait_alu 0xfffe
	v_cndmask_b32_e64 v33, v33, 0, s4
	v_cmp_o_f64_e64 s4, v[31:32], v[7:8]
	v_cndmask_b32_e64 v34, v34, v35, s5
	v_add_co_u32 v7, s5, v11, s8
	s_wait_alu 0xf1ff
	v_add_co_ci_u32_e64 v8, null, s9, v12, s5
	s_delay_alu instid0(VALU_DEP_4)
	v_cndmask_b32_e64 v31, 0, v33, s4
	v_cndmask_b32_e64 v32, 0x7ff80000, v34, s4
	global_store_b64 v[7:8], v[31:32], off
	s_or_b32 exec_lo, exec_lo, s83
	s_and_saveexec_b32 s83, s3
	s_cbranch_execz .LBB77_13
.LBB77_17:                              ;   in Loop: Header=BB77_4 Depth=1
	s_wait_loadcnt 0x0
	v_cndmask_b32_e64 v6, v6, 0x3ff00000, s33
	v_cndmask_b32_e64 v5, v5, 0, s33
	v_mov_b32_e32 v7, s29
	s_mov_b32 s54, s20
	s_mov_b32 s58, s22
	;; [unrolled: 1-line block ×3, first 2 shown]
	v_cmp_neq_f64_e64 s3, 0, v[5:6]
	v_cmp_neq_f64_e64 s7, v[5:6], |v[5:6]|
	s_wait_alu 0xf1ff
	s_delay_alu instid0(VALU_DEP_2) | instskip(SKIP_1) | instid1(VALU_DEP_1)
	v_cndmask_b32_e64 v8, 0x3ff00000, v7, s3
	v_cndmask_b32_e64 v7, 0, s28, s3
	v_frexp_mant_f64_e64 v[31:32], |v[7:8]|
	v_cmp_eq_f64_e64 s6, 0, v[7:8]
	s_delay_alu instid0(VALU_DEP_2) | instskip(SKIP_1) | instid1(VALU_DEP_1)
	v_cmp_gt_f64_e64 s3, s[20:21], v[31:32]
	s_wait_alu 0xf1ff
	v_cndmask_b32_e64 v33, 0, 1, s3
	s_delay_alu instid0(VALU_DEP_1) | instskip(NEXT) | instid1(VALU_DEP_1)
	v_ldexp_f64 v[31:32], v[31:32], v33
	v_add_f64_e32 v[33:34], 1.0, v[31:32]
	v_add_f64_e32 v[39:40], -1.0, v[31:32]
	s_delay_alu instid0(VALU_DEP_2) | instskip(SKIP_1) | instid1(VALU_DEP_1)
	v_rcp_f64_e32 v[35:36], v[33:34]
	v_add_f64_e32 v[41:42], -1.0, v[33:34]
	v_add_f64_e64 v[31:32], v[31:32], -v[41:42]
	s_delay_alu instid0(TRANS32_DEP_1) | instskip(NEXT) | instid1(VALU_DEP_1)
	v_fma_f64 v[37:38], -v[33:34], v[35:36], 1.0
	v_fma_f64 v[35:36], v[37:38], v[35:36], v[35:36]
	s_delay_alu instid0(VALU_DEP_1) | instskip(NEXT) | instid1(VALU_DEP_1)
	v_fma_f64 v[37:38], -v[33:34], v[35:36], 1.0
	v_fma_f64 v[35:36], v[37:38], v[35:36], v[35:36]
	s_delay_alu instid0(VALU_DEP_1) | instskip(NEXT) | instid1(VALU_DEP_1)
	v_mul_f64_e32 v[37:38], v[39:40], v[35:36]
	v_mul_f64_e32 v[43:44], v[33:34], v[37:38]
	s_delay_alu instid0(VALU_DEP_1) | instskip(NEXT) | instid1(VALU_DEP_1)
	v_fma_f64 v[33:34], v[37:38], v[33:34], -v[43:44]
	v_fma_f64 v[31:32], v[37:38], v[31:32], v[33:34]
	s_delay_alu instid0(VALU_DEP_1) | instskip(NEXT) | instid1(VALU_DEP_1)
	v_add_f64_e32 v[33:34], v[43:44], v[31:32]
	v_add_f64_e64 v[41:42], v[39:40], -v[33:34]
	v_add_f64_e64 v[43:44], v[33:34], -v[43:44]
	s_delay_alu instid0(VALU_DEP_2) | instskip(NEXT) | instid1(VALU_DEP_2)
	v_add_f64_e64 v[39:40], v[39:40], -v[41:42]
	v_add_f64_e64 v[31:32], v[43:44], -v[31:32]
	s_delay_alu instid0(VALU_DEP_2) | instskip(NEXT) | instid1(VALU_DEP_1)
	v_add_f64_e64 v[33:34], v[39:40], -v[33:34]
	v_add_f64_e32 v[31:32], v[31:32], v[33:34]
	s_delay_alu instid0(VALU_DEP_1) | instskip(NEXT) | instid1(VALU_DEP_1)
	v_add_f64_e32 v[31:32], v[41:42], v[31:32]
	v_mul_f64_e32 v[31:32], v[35:36], v[31:32]
	s_delay_alu instid0(VALU_DEP_1) | instskip(NEXT) | instid1(VALU_DEP_1)
	v_add_f64_e32 v[33:34], v[37:38], v[31:32]
	v_add_f64_e64 v[35:36], v[33:34], -v[37:38]
	v_mul_f64_e32 v[37:38], v[33:34], v[33:34]
	s_delay_alu instid0(VALU_DEP_2) | instskip(NEXT) | instid1(VALU_DEP_2)
	v_add_f64_e64 v[31:32], v[31:32], -v[35:36]
	v_fma_f64 v[35:36], v[33:34], v[33:34], -v[37:38]
	s_delay_alu instid0(VALU_DEP_2) | instskip(NEXT) | instid1(VALU_DEP_1)
	v_add_f64_e32 v[39:40], v[31:32], v[31:32]
	v_fma_f64 v[35:36], v[33:34], v[39:40], v[35:36]
	s_delay_alu instid0(VALU_DEP_1) | instskip(NEXT) | instid1(VALU_DEP_1)
	v_add_f64_e32 v[39:40], v[37:38], v[35:36]
	v_fma_f64 v[41:42], v[39:40], s[36:37], s[34:35]
	v_add_f64_e64 v[37:38], v[39:40], -v[37:38]
	v_mul_f64_e32 v[47:48], v[33:34], v[39:40]
	s_delay_alu instid0(VALU_DEP_3) | instskip(NEXT) | instid1(VALU_DEP_3)
	v_fma_f64 v[41:42], v[39:40], v[41:42], s[38:39]
	v_add_f64_e64 v[35:36], v[35:36], -v[37:38]
	s_delay_alu instid0(VALU_DEP_2) | instskip(NEXT) | instid1(VALU_DEP_1)
	v_fma_f64 v[41:42], v[39:40], v[41:42], s[40:41]
	v_fma_f64 v[41:42], v[39:40], v[41:42], s[42:43]
	s_delay_alu instid0(VALU_DEP_1) | instskip(NEXT) | instid1(VALU_DEP_1)
	v_fma_f64 v[41:42], v[39:40], v[41:42], s[44:45]
	v_fma_f64 v[41:42], v[39:40], v[41:42], s[46:47]
	s_delay_alu instid0(VALU_DEP_1) | instskip(NEXT) | instid1(VALU_DEP_1)
	;; [unrolled: 3-line block ×3, first 2 shown]
	v_mul_f64_e32 v[43:44], v[39:40], v[41:42]
	v_fma_f64 v[37:38], v[39:40], v[41:42], -v[43:44]
	s_delay_alu instid0(VALU_DEP_1) | instskip(NEXT) | instid1(VALU_DEP_1)
	v_fma_f64 v[37:38], v[35:36], v[41:42], v[37:38]
	v_add_f64_e32 v[41:42], v[43:44], v[37:38]
	s_delay_alu instid0(VALU_DEP_1) | instskip(SKIP_2) | instid1(VALU_DEP_2)
	v_add_f64_e32 v[45:46], s[20:21], v[41:42]
	v_add_f64_e64 v[43:44], v[41:42], -v[43:44]
	s_wait_alu 0xfffe
	v_add_f64_e32 v[49:50], s[54:55], v[45:46]
	s_delay_alu instid0(VALU_DEP_2) | instskip(SKIP_2) | instid1(VALU_DEP_4)
	v_add_f64_e64 v[37:38], v[37:38], -v[43:44]
	v_fma_f64 v[43:44], v[39:40], v[33:34], -v[47:48]
	v_cmp_lt_f64_e64 s54, |v[7:8]|, 1.0
	v_add_f64_e64 v[41:42], v[41:42], -v[49:50]
	s_delay_alu instid0(VALU_DEP_4) | instskip(NEXT) | instid1(VALU_DEP_4)
	v_add_f64_e32 v[37:38], s[52:53], v[37:38]
	v_fma_f64 v[39:40], v[39:40], v[31:32], v[43:44]
	v_ldexp_f64 v[31:32], v[31:32], 1
	s_xor_b32 s7, s7, s54
	v_cmp_class_f64_e64 s54, v[7:8], 0x204
	s_delay_alu instid0(VALU_DEP_4) | instskip(NEXT) | instid1(VALU_DEP_4)
	v_add_f64_e32 v[37:38], v[37:38], v[41:42]
	v_fma_f64 v[35:36], v[35:36], v[33:34], v[39:40]
	v_ldexp_f64 v[33:34], v[33:34], 1
	s_delay_alu instid0(VALU_DEP_3) | instskip(NEXT) | instid1(VALU_DEP_3)
	v_add_f64_e32 v[39:40], v[45:46], v[37:38]
	v_add_f64_e32 v[41:42], v[47:48], v[35:36]
	s_delay_alu instid0(VALU_DEP_2) | instskip(NEXT) | instid1(VALU_DEP_2)
	v_add_f64_e64 v[43:44], v[45:46], -v[39:40]
	v_mul_f64_e32 v[45:46], v[41:42], v[39:40]
	v_add_f64_e64 v[47:48], v[41:42], -v[47:48]
	s_delay_alu instid0(VALU_DEP_3) | instskip(NEXT) | instid1(VALU_DEP_3)
	v_add_f64_e32 v[37:38], v[37:38], v[43:44]
	v_fma_f64 v[43:44], v[41:42], v[39:40], -v[45:46]
	s_delay_alu instid0(VALU_DEP_3) | instskip(NEXT) | instid1(VALU_DEP_2)
	v_add_f64_e64 v[35:36], v[35:36], -v[47:48]
	v_fma_f64 v[37:38], v[41:42], v[37:38], v[43:44]
	s_delay_alu instid0(VALU_DEP_1) | instskip(SKIP_1) | instid1(VALU_DEP_2)
	v_fma_f64 v[35:36], v[35:36], v[39:40], v[37:38]
	v_frexp_exp_i32_f64_e32 v39, v[7:8]
	v_add_f64_e32 v[37:38], v[45:46], v[35:36]
	s_delay_alu instid0(VALU_DEP_2) | instskip(NEXT) | instid1(VALU_DEP_1)
	v_subrev_co_ci_u32_e64 v39, null, 0, v39, s3
	v_cvt_f64_i32_e32 v[39:40], v39
	s_delay_alu instid0(VALU_DEP_3) | instskip(SKIP_1) | instid1(VALU_DEP_3)
	v_add_f64_e32 v[41:42], v[33:34], v[37:38]
	v_add_f64_e64 v[43:44], v[37:38], -v[45:46]
	v_mul_f64_e32 v[45:46], s[22:23], v[39:40]
	s_delay_alu instid0(VALU_DEP_3) | instskip(NEXT) | instid1(VALU_DEP_3)
	v_add_f64_e64 v[33:34], v[41:42], -v[33:34]
	v_add_f64_e64 v[35:36], v[35:36], -v[43:44]
	s_delay_alu instid0(VALU_DEP_3) | instskip(NEXT) | instid1(VALU_DEP_3)
	v_fma_f64 v[43:44], v[39:40], s[22:23], -v[45:46]
	v_add_f64_e64 v[33:34], v[37:38], -v[33:34]
	s_delay_alu instid0(VALU_DEP_3) | instskip(NEXT) | instid1(VALU_DEP_3)
	v_add_f64_e32 v[31:32], v[31:32], v[35:36]
	v_fma_f64 v[35:36], v[39:40], s[30:31], v[43:44]
	s_delay_alu instid0(VALU_DEP_2) | instskip(NEXT) | instid1(VALU_DEP_2)
	v_add_f64_e32 v[31:32], v[31:32], v[33:34]
	v_add_f64_e32 v[33:34], v[45:46], v[35:36]
	s_delay_alu instid0(VALU_DEP_2) | instskip(NEXT) | instid1(VALU_DEP_2)
	v_add_f64_e32 v[37:38], v[41:42], v[31:32]
	v_add_f64_e64 v[45:46], v[33:34], -v[45:46]
	s_delay_alu instid0(VALU_DEP_2) | instskip(SKIP_1) | instid1(VALU_DEP_3)
	v_add_f64_e32 v[39:40], v[33:34], v[37:38]
	v_add_f64_e64 v[41:42], v[37:38], -v[41:42]
	v_add_f64_e64 v[35:36], v[35:36], -v[45:46]
	s_delay_alu instid0(VALU_DEP_3) | instskip(NEXT) | instid1(VALU_DEP_3)
	v_add_f64_e64 v[43:44], v[39:40], -v[33:34]
	v_add_f64_e64 v[31:32], v[31:32], -v[41:42]
	s_delay_alu instid0(VALU_DEP_2) | instskip(SKIP_1) | instid1(VALU_DEP_3)
	v_add_f64_e64 v[47:48], v[39:40], -v[43:44]
	v_add_f64_e64 v[37:38], v[37:38], -v[43:44]
	v_add_f64_e32 v[41:42], v[35:36], v[31:32]
	s_delay_alu instid0(VALU_DEP_3) | instskip(NEXT) | instid1(VALU_DEP_1)
	v_add_f64_e64 v[33:34], v[33:34], -v[47:48]
	v_add_f64_e32 v[33:34], v[37:38], v[33:34]
	s_delay_alu instid0(VALU_DEP_3) | instskip(NEXT) | instid1(VALU_DEP_2)
	v_add_f64_e64 v[37:38], v[41:42], -v[35:36]
	v_add_f64_e32 v[33:34], v[41:42], v[33:34]
	s_delay_alu instid0(VALU_DEP_2) | instskip(SKIP_1) | instid1(VALU_DEP_3)
	v_add_f64_e64 v[41:42], v[41:42], -v[37:38]
	v_add_f64_e64 v[31:32], v[31:32], -v[37:38]
	v_add_f64_e32 v[43:44], v[39:40], v[33:34]
	s_delay_alu instid0(VALU_DEP_3) | instskip(NEXT) | instid1(VALU_DEP_2)
	v_add_f64_e64 v[35:36], v[35:36], -v[41:42]
	v_add_f64_e64 v[37:38], v[43:44], -v[39:40]
	s_delay_alu instid0(VALU_DEP_2) | instskip(NEXT) | instid1(VALU_DEP_2)
	v_add_f64_e32 v[31:32], v[31:32], v[35:36]
	v_add_f64_e64 v[33:34], v[33:34], -v[37:38]
	s_delay_alu instid0(VALU_DEP_1) | instskip(NEXT) | instid1(VALU_DEP_1)
	v_add_f64_e32 v[31:32], v[31:32], v[33:34]
	v_add_f64_e32 v[33:34], v[43:44], v[31:32]
	s_delay_alu instid0(VALU_DEP_1) | instskip(SKIP_1) | instid1(VALU_DEP_2)
	v_add_f64_e64 v[35:36], v[33:34], -v[43:44]
	v_mul_f64_e32 v[37:38], v[5:6], v[33:34]
	v_add_f64_e64 v[31:32], v[31:32], -v[35:36]
	s_delay_alu instid0(VALU_DEP_2) | instskip(SKIP_1) | instid1(VALU_DEP_2)
	v_fma_f64 v[33:34], v[5:6], v[33:34], -v[37:38]
	v_cmp_class_f64_e64 s3, v[37:38], 0x204
	v_fma_f64 v[31:32], v[5:6], v[31:32], v[33:34]
	s_delay_alu instid0(VALU_DEP_1) | instskip(SKIP_1) | instid1(VALU_DEP_1)
	v_add_f64_e32 v[33:34], v[37:38], v[31:32]
	s_wait_alu 0xf1ff
	v_cndmask_b32_e64 v36, v34, v38, s3
	s_delay_alu instid0(VALU_DEP_2) | instskip(SKIP_1) | instid1(VALU_DEP_2)
	v_cndmask_b32_e64 v35, v33, v37, s3
	v_add_f64_e64 v[33:34], v[33:34], -v[37:38]
	v_mul_f64_e32 v[39:40], s[56:57], v[35:36]
	v_cmp_nlt_f64_e64 s4, 0x40900000, v[35:36]
	v_cmp_neq_f64_e64 s3, 0x7ff00000, |v[35:36]|
	v_cmp_ngt_f64_e64 s5, 0xc090cc00, v[35:36]
	v_add_f64_e64 v[31:32], v[31:32], -v[33:34]
	v_trunc_f64_e32 v[33:34], v[5:6]
	v_rndne_f64_e32 v[39:40], v[39:40]
	s_wait_alu 0xf1ff
	s_delay_alu instid0(VALU_DEP_3) | instskip(NEXT) | instid1(VALU_DEP_4)
	v_cndmask_b32_e64 v32, 0, v32, s3
	v_cndmask_b32_e64 v31, 0, v31, s3
	s_and_b32 s3, s5, s4
	s_delay_alu instid0(VALU_DEP_3) | instskip(SKIP_1) | instid1(VALU_DEP_2)
	v_fma_f64 v[41:42], v[39:40], s[58:59], v[35:36]
	v_cvt_i32_f64_e32 v45, v[39:40]
	v_fma_f64 v[41:42], v[39:40], s[60:61], v[41:42]
	s_delay_alu instid0(VALU_DEP_1) | instskip(NEXT) | instid1(VALU_DEP_1)
	v_fma_f64 v[43:44], v[41:42], s[64:65], s[62:63]
	v_fma_f64 v[43:44], v[41:42], v[43:44], s[66:67]
	s_delay_alu instid0(VALU_DEP_1) | instskip(NEXT) | instid1(VALU_DEP_1)
	v_fma_f64 v[43:44], v[41:42], v[43:44], s[68:69]
	;; [unrolled: 3-line block ×5, first 2 shown]
	v_fma_f64 v[43:44], v[41:42], v[43:44], 1.0
	s_delay_alu instid0(VALU_DEP_1) | instskip(NEXT) | instid1(VALU_DEP_1)
	v_fma_f64 v[39:40], v[41:42], v[43:44], 1.0
	v_ldexp_f64 v[37:38], v[39:40], v45
	v_mul_f64_e32 v[39:40], 0.5, v[5:6]
	s_delay_alu instid0(VALU_DEP_2) | instskip(NEXT) | instid1(VALU_DEP_2)
	v_cndmask_b32_e64 v38, 0x7ff00000, v38, s4
	v_trunc_f64_e32 v[35:36], v[39:40]
	s_wait_alu 0xfffe
	s_delay_alu instid0(VALU_DEP_4) | instskip(SKIP_2) | instid1(VALU_DEP_1)
	v_cndmask_b32_e64 v37, 0, v37, s3
	v_cmp_eq_f64_e64 s3, v[33:34], v[5:6]
	v_cndmask_b32_e64 v38, 0, v38, s5
	v_fma_f64 v[31:32], v[37:38], v[31:32], v[37:38]
	v_cmp_class_f64_e64 s5, v[37:38], 0x204
	v_cmp_neq_f64_e64 s4, v[35:36], v[39:40]
	v_cndmask_b32_e64 v35, 0x7ff00000, 0, s7
	v_cmp_neq_f64_e64 s7, |v[7:8]|, 1.0
	s_wait_alu 0xf1ff
	s_delay_alu instid0(VALU_DEP_4) | instskip(SKIP_2) | instid1(VALU_DEP_2)
	v_cndmask_b32_e64 v32, v32, v38, s5
	v_cndmask_b32_e64 v31, v31, v37, s5
	v_cmp_gt_f64_e64 s5, 0, v[5:6]
	v_cndmask_b32_e64 v34, 0, v31, s3
	s_and_b32 s4, s3, s4
	s_wait_alu 0xfffe
	v_cndmask_b32_e64 v33, 0x3ff00000, v8, s4
	v_cndmask_b32_e64 v35, 0x3ff00000, v35, s7
	s_delay_alu instid0(VALU_DEP_2) | instskip(NEXT) | instid1(VALU_DEP_1)
	v_bfi_b32 v32, 0x7fffffff, v32, v33
	v_cndmask_b32_e64 v33, 0x7ff80000, v32, s3
	v_cmp_gt_f64_e64 s3, 0, v[7:8]
	s_xor_b32 s5, s5, s6
	v_cndmask_b32_e64 v31, v31, v34, s3
	v_cndmask_b32_e64 v32, v32, v33, s3
	v_cmp_class_f64_e64 s3, v[5:6], 0x204
	v_cndmask_b32_e64 v34, 0, v8, s4
	s_or_b32 s4, s6, s54
	s_wait_alu 0xfffe
	v_cndmask_b32_e64 v33, 0x7ff00000, 0, s5
	s_delay_alu instid0(VALU_DEP_1)
	v_bfi_b32 v33, 0x7fffffff, v33, v34
	v_cndmask_b32_e64 v32, v32, v35, s3
	s_or_b32 s3, s4, s3
	s_wait_alu 0xfffe
	v_cndmask_b32_e64 v31, v31, 0, s3
	v_cmp_o_f64_e64 s3, v[7:8], v[5:6]
	v_cndmask_b32_e64 v32, v32, v33, s4
	s_wait_alu 0xf1ff
	s_delay_alu instid0(VALU_DEP_2) | instskip(NEXT) | instid1(VALU_DEP_2)
	v_cndmask_b32_e64 v5, 0, v31, s3
	v_cndmask_b32_e64 v6, 0x7ff80000, v32, s3
	v_add_co_u32 v7, s3, v29, s8
	s_wait_alu 0xf1ff
	v_add_co_ci_u32_e64 v8, null, s9, v30, s3
	global_store_b64 v[7:8], v[5:6], off
	s_or_b32 exec_lo, exec_lo, s83
	s_and_saveexec_b32 s7, s2
	s_cbranch_execz .LBB77_14
.LBB77_18:                              ;   in Loop: Header=BB77_4 Depth=1
	s_wait_loadcnt 0x0
	v_cndmask_b32_e64 v4, v4, 0x3ff00000, s33
	v_cndmask_b32_e64 v3, v3, 0, s33
	v_mov_b32_e32 v5, s29
	s_mov_b32 s54, s20
	s_mov_b32 s58, s22
	;; [unrolled: 1-line block ×3, first 2 shown]
	v_cmp_neq_f64_e64 s2, 0, v[3:4]
	v_cmp_neq_f64_e64 s6, v[3:4], |v[3:4]|
	s_wait_alu 0xf1ff
	s_delay_alu instid0(VALU_DEP_2) | instskip(SKIP_1) | instid1(VALU_DEP_1)
	v_cndmask_b32_e64 v6, 0x3ff00000, v5, s2
	v_cndmask_b32_e64 v5, 0, s28, s2
	v_frexp_mant_f64_e64 v[7:8], |v[5:6]|
	v_cmp_eq_f64_e64 s5, 0, v[5:6]
	s_delay_alu instid0(VALU_DEP_2) | instskip(SKIP_1) | instid1(VALU_DEP_1)
	v_cmp_gt_f64_e64 s2, s[20:21], v[7:8]
	s_wait_alu 0xf1ff
	v_cndmask_b32_e64 v31, 0, 1, s2
	s_delay_alu instid0(VALU_DEP_1) | instskip(NEXT) | instid1(VALU_DEP_1)
	v_ldexp_f64 v[7:8], v[7:8], v31
	v_add_f64_e32 v[31:32], 1.0, v[7:8]
	v_add_f64_e32 v[37:38], -1.0, v[7:8]
	s_delay_alu instid0(VALU_DEP_2) | instskip(SKIP_1) | instid1(VALU_DEP_1)
	v_rcp_f64_e32 v[33:34], v[31:32]
	v_add_f64_e32 v[39:40], -1.0, v[31:32]
	v_add_f64_e64 v[7:8], v[7:8], -v[39:40]
	s_delay_alu instid0(TRANS32_DEP_1) | instskip(NEXT) | instid1(VALU_DEP_1)
	v_fma_f64 v[35:36], -v[31:32], v[33:34], 1.0
	v_fma_f64 v[33:34], v[35:36], v[33:34], v[33:34]
	s_delay_alu instid0(VALU_DEP_1) | instskip(NEXT) | instid1(VALU_DEP_1)
	v_fma_f64 v[35:36], -v[31:32], v[33:34], 1.0
	v_fma_f64 v[33:34], v[35:36], v[33:34], v[33:34]
	s_delay_alu instid0(VALU_DEP_1) | instskip(NEXT) | instid1(VALU_DEP_1)
	v_mul_f64_e32 v[35:36], v[37:38], v[33:34]
	v_mul_f64_e32 v[41:42], v[31:32], v[35:36]
	s_delay_alu instid0(VALU_DEP_1) | instskip(NEXT) | instid1(VALU_DEP_1)
	v_fma_f64 v[31:32], v[35:36], v[31:32], -v[41:42]
	v_fma_f64 v[7:8], v[35:36], v[7:8], v[31:32]
	s_delay_alu instid0(VALU_DEP_1) | instskip(NEXT) | instid1(VALU_DEP_1)
	v_add_f64_e32 v[31:32], v[41:42], v[7:8]
	v_add_f64_e64 v[39:40], v[37:38], -v[31:32]
	v_add_f64_e64 v[41:42], v[31:32], -v[41:42]
	s_delay_alu instid0(VALU_DEP_2) | instskip(NEXT) | instid1(VALU_DEP_2)
	v_add_f64_e64 v[37:38], v[37:38], -v[39:40]
	v_add_f64_e64 v[7:8], v[41:42], -v[7:8]
	s_delay_alu instid0(VALU_DEP_2) | instskip(NEXT) | instid1(VALU_DEP_1)
	v_add_f64_e64 v[31:32], v[37:38], -v[31:32]
	v_add_f64_e32 v[7:8], v[7:8], v[31:32]
	s_delay_alu instid0(VALU_DEP_1) | instskip(NEXT) | instid1(VALU_DEP_1)
	v_add_f64_e32 v[7:8], v[39:40], v[7:8]
	v_mul_f64_e32 v[7:8], v[33:34], v[7:8]
	s_delay_alu instid0(VALU_DEP_1) | instskip(NEXT) | instid1(VALU_DEP_1)
	v_add_f64_e32 v[31:32], v[35:36], v[7:8]
	v_add_f64_e64 v[33:34], v[31:32], -v[35:36]
	v_mul_f64_e32 v[35:36], v[31:32], v[31:32]
	s_delay_alu instid0(VALU_DEP_2) | instskip(NEXT) | instid1(VALU_DEP_2)
	v_add_f64_e64 v[7:8], v[7:8], -v[33:34]
	v_fma_f64 v[33:34], v[31:32], v[31:32], -v[35:36]
	s_delay_alu instid0(VALU_DEP_2) | instskip(NEXT) | instid1(VALU_DEP_1)
	v_add_f64_e32 v[37:38], v[7:8], v[7:8]
	v_fma_f64 v[33:34], v[31:32], v[37:38], v[33:34]
	s_delay_alu instid0(VALU_DEP_1) | instskip(NEXT) | instid1(VALU_DEP_1)
	v_add_f64_e32 v[37:38], v[35:36], v[33:34]
	v_fma_f64 v[39:40], v[37:38], s[36:37], s[34:35]
	v_add_f64_e64 v[35:36], v[37:38], -v[35:36]
	v_mul_f64_e32 v[45:46], v[31:32], v[37:38]
	s_delay_alu instid0(VALU_DEP_3) | instskip(NEXT) | instid1(VALU_DEP_3)
	v_fma_f64 v[39:40], v[37:38], v[39:40], s[38:39]
	v_add_f64_e64 v[33:34], v[33:34], -v[35:36]
	s_delay_alu instid0(VALU_DEP_2) | instskip(NEXT) | instid1(VALU_DEP_1)
	v_fma_f64 v[39:40], v[37:38], v[39:40], s[40:41]
	v_fma_f64 v[39:40], v[37:38], v[39:40], s[42:43]
	s_delay_alu instid0(VALU_DEP_1) | instskip(NEXT) | instid1(VALU_DEP_1)
	v_fma_f64 v[39:40], v[37:38], v[39:40], s[44:45]
	v_fma_f64 v[39:40], v[37:38], v[39:40], s[46:47]
	s_delay_alu instid0(VALU_DEP_1) | instskip(NEXT) | instid1(VALU_DEP_1)
	;; [unrolled: 3-line block ×3, first 2 shown]
	v_mul_f64_e32 v[41:42], v[37:38], v[39:40]
	v_fma_f64 v[35:36], v[37:38], v[39:40], -v[41:42]
	s_delay_alu instid0(VALU_DEP_1) | instskip(NEXT) | instid1(VALU_DEP_1)
	v_fma_f64 v[35:36], v[33:34], v[39:40], v[35:36]
	v_add_f64_e32 v[39:40], v[41:42], v[35:36]
	s_delay_alu instid0(VALU_DEP_1) | instskip(SKIP_2) | instid1(VALU_DEP_2)
	v_add_f64_e32 v[43:44], s[20:21], v[39:40]
	v_add_f64_e64 v[41:42], v[39:40], -v[41:42]
	s_wait_alu 0xfffe
	v_add_f64_e32 v[47:48], s[54:55], v[43:44]
	s_delay_alu instid0(VALU_DEP_2) | instskip(SKIP_2) | instid1(VALU_DEP_4)
	v_add_f64_e64 v[35:36], v[35:36], -v[41:42]
	v_fma_f64 v[41:42], v[37:38], v[31:32], -v[45:46]
	v_cmp_lt_f64_e64 s54, |v[5:6]|, 1.0
	v_add_f64_e64 v[39:40], v[39:40], -v[47:48]
	s_delay_alu instid0(VALU_DEP_4) | instskip(NEXT) | instid1(VALU_DEP_4)
	v_add_f64_e32 v[35:36], s[52:53], v[35:36]
	v_fma_f64 v[37:38], v[37:38], v[7:8], v[41:42]
	v_ldexp_f64 v[7:8], v[7:8], 1
	s_xor_b32 s6, s6, s54
	v_cmp_class_f64_e64 s54, v[5:6], 0x204
	s_delay_alu instid0(VALU_DEP_4) | instskip(NEXT) | instid1(VALU_DEP_4)
	v_add_f64_e32 v[35:36], v[35:36], v[39:40]
	v_fma_f64 v[33:34], v[33:34], v[31:32], v[37:38]
	v_ldexp_f64 v[31:32], v[31:32], 1
	s_delay_alu instid0(VALU_DEP_3) | instskip(NEXT) | instid1(VALU_DEP_3)
	v_add_f64_e32 v[37:38], v[43:44], v[35:36]
	v_add_f64_e32 v[39:40], v[45:46], v[33:34]
	s_delay_alu instid0(VALU_DEP_2) | instskip(NEXT) | instid1(VALU_DEP_2)
	v_add_f64_e64 v[41:42], v[43:44], -v[37:38]
	v_mul_f64_e32 v[43:44], v[39:40], v[37:38]
	v_add_f64_e64 v[45:46], v[39:40], -v[45:46]
	s_delay_alu instid0(VALU_DEP_3) | instskip(NEXT) | instid1(VALU_DEP_3)
	v_add_f64_e32 v[35:36], v[35:36], v[41:42]
	v_fma_f64 v[41:42], v[39:40], v[37:38], -v[43:44]
	s_delay_alu instid0(VALU_DEP_3) | instskip(NEXT) | instid1(VALU_DEP_2)
	v_add_f64_e64 v[33:34], v[33:34], -v[45:46]
	v_fma_f64 v[35:36], v[39:40], v[35:36], v[41:42]
	s_delay_alu instid0(VALU_DEP_1) | instskip(SKIP_1) | instid1(VALU_DEP_2)
	v_fma_f64 v[33:34], v[33:34], v[37:38], v[35:36]
	v_frexp_exp_i32_f64_e32 v37, v[5:6]
	v_add_f64_e32 v[35:36], v[43:44], v[33:34]
	s_delay_alu instid0(VALU_DEP_2) | instskip(NEXT) | instid1(VALU_DEP_1)
	v_subrev_co_ci_u32_e64 v37, null, 0, v37, s2
	v_cvt_f64_i32_e32 v[37:38], v37
	s_delay_alu instid0(VALU_DEP_3) | instskip(SKIP_1) | instid1(VALU_DEP_3)
	v_add_f64_e32 v[39:40], v[31:32], v[35:36]
	v_add_f64_e64 v[41:42], v[35:36], -v[43:44]
	v_mul_f64_e32 v[43:44], s[22:23], v[37:38]
	s_delay_alu instid0(VALU_DEP_3) | instskip(NEXT) | instid1(VALU_DEP_3)
	v_add_f64_e64 v[31:32], v[39:40], -v[31:32]
	v_add_f64_e64 v[33:34], v[33:34], -v[41:42]
	s_delay_alu instid0(VALU_DEP_3) | instskip(NEXT) | instid1(VALU_DEP_3)
	v_fma_f64 v[41:42], v[37:38], s[22:23], -v[43:44]
	v_add_f64_e64 v[31:32], v[35:36], -v[31:32]
	s_delay_alu instid0(VALU_DEP_3) | instskip(NEXT) | instid1(VALU_DEP_3)
	v_add_f64_e32 v[7:8], v[7:8], v[33:34]
	v_fma_f64 v[33:34], v[37:38], s[30:31], v[41:42]
	s_delay_alu instid0(VALU_DEP_2) | instskip(NEXT) | instid1(VALU_DEP_2)
	v_add_f64_e32 v[7:8], v[7:8], v[31:32]
	v_add_f64_e32 v[31:32], v[43:44], v[33:34]
	s_delay_alu instid0(VALU_DEP_2) | instskip(NEXT) | instid1(VALU_DEP_2)
	v_add_f64_e32 v[35:36], v[39:40], v[7:8]
	v_add_f64_e64 v[43:44], v[31:32], -v[43:44]
	s_delay_alu instid0(VALU_DEP_2) | instskip(SKIP_1) | instid1(VALU_DEP_3)
	v_add_f64_e32 v[37:38], v[31:32], v[35:36]
	v_add_f64_e64 v[39:40], v[35:36], -v[39:40]
	v_add_f64_e64 v[33:34], v[33:34], -v[43:44]
	s_delay_alu instid0(VALU_DEP_3) | instskip(NEXT) | instid1(VALU_DEP_3)
	v_add_f64_e64 v[41:42], v[37:38], -v[31:32]
	v_add_f64_e64 v[7:8], v[7:8], -v[39:40]
	s_delay_alu instid0(VALU_DEP_2) | instskip(SKIP_1) | instid1(VALU_DEP_3)
	v_add_f64_e64 v[45:46], v[37:38], -v[41:42]
	v_add_f64_e64 v[35:36], v[35:36], -v[41:42]
	v_add_f64_e32 v[39:40], v[33:34], v[7:8]
	s_delay_alu instid0(VALU_DEP_3) | instskip(NEXT) | instid1(VALU_DEP_1)
	v_add_f64_e64 v[31:32], v[31:32], -v[45:46]
	v_add_f64_e32 v[31:32], v[35:36], v[31:32]
	s_delay_alu instid0(VALU_DEP_3) | instskip(NEXT) | instid1(VALU_DEP_2)
	v_add_f64_e64 v[35:36], v[39:40], -v[33:34]
	v_add_f64_e32 v[31:32], v[39:40], v[31:32]
	s_delay_alu instid0(VALU_DEP_2) | instskip(SKIP_1) | instid1(VALU_DEP_3)
	v_add_f64_e64 v[39:40], v[39:40], -v[35:36]
	v_add_f64_e64 v[7:8], v[7:8], -v[35:36]
	v_add_f64_e32 v[41:42], v[37:38], v[31:32]
	s_delay_alu instid0(VALU_DEP_3) | instskip(NEXT) | instid1(VALU_DEP_2)
	v_add_f64_e64 v[33:34], v[33:34], -v[39:40]
	v_add_f64_e64 v[35:36], v[41:42], -v[37:38]
	s_delay_alu instid0(VALU_DEP_2) | instskip(NEXT) | instid1(VALU_DEP_2)
	v_add_f64_e32 v[7:8], v[7:8], v[33:34]
	v_add_f64_e64 v[31:32], v[31:32], -v[35:36]
	s_delay_alu instid0(VALU_DEP_1) | instskip(NEXT) | instid1(VALU_DEP_1)
	v_add_f64_e32 v[7:8], v[7:8], v[31:32]
	v_add_f64_e32 v[31:32], v[41:42], v[7:8]
	s_delay_alu instid0(VALU_DEP_1) | instskip(SKIP_1) | instid1(VALU_DEP_2)
	v_add_f64_e64 v[33:34], v[31:32], -v[41:42]
	v_mul_f64_e32 v[35:36], v[3:4], v[31:32]
	v_add_f64_e64 v[7:8], v[7:8], -v[33:34]
	s_delay_alu instid0(VALU_DEP_2) | instskip(SKIP_1) | instid1(VALU_DEP_2)
	v_fma_f64 v[31:32], v[3:4], v[31:32], -v[35:36]
	v_cmp_class_f64_e64 s2, v[35:36], 0x204
	v_fma_f64 v[7:8], v[3:4], v[7:8], v[31:32]
	s_delay_alu instid0(VALU_DEP_1) | instskip(SKIP_1) | instid1(VALU_DEP_1)
	v_add_f64_e32 v[31:32], v[35:36], v[7:8]
	s_wait_alu 0xf1ff
	v_cndmask_b32_e64 v34, v32, v36, s2
	s_delay_alu instid0(VALU_DEP_2) | instskip(SKIP_1) | instid1(VALU_DEP_2)
	v_cndmask_b32_e64 v33, v31, v35, s2
	v_add_f64_e64 v[31:32], v[31:32], -v[35:36]
	v_mul_f64_e32 v[37:38], s[56:57], v[33:34]
	v_cmp_nlt_f64_e64 s3, 0x40900000, v[33:34]
	v_cmp_neq_f64_e64 s2, 0x7ff00000, |v[33:34]|
	v_cmp_ngt_f64_e64 s4, 0xc090cc00, v[33:34]
	v_add_f64_e64 v[7:8], v[7:8], -v[31:32]
	v_trunc_f64_e32 v[31:32], v[3:4]
	v_rndne_f64_e32 v[37:38], v[37:38]
	s_wait_alu 0xf1ff
	s_delay_alu instid0(VALU_DEP_3) | instskip(NEXT) | instid1(VALU_DEP_4)
	v_cndmask_b32_e64 v8, 0, v8, s2
	v_cndmask_b32_e64 v7, 0, v7, s2
	s_and_b32 s2, s4, s3
	s_delay_alu instid0(VALU_DEP_3) | instskip(SKIP_1) | instid1(VALU_DEP_2)
	v_fma_f64 v[39:40], v[37:38], s[58:59], v[33:34]
	v_cvt_i32_f64_e32 v43, v[37:38]
	v_fma_f64 v[39:40], v[37:38], s[60:61], v[39:40]
	s_delay_alu instid0(VALU_DEP_1) | instskip(NEXT) | instid1(VALU_DEP_1)
	v_fma_f64 v[41:42], v[39:40], s[64:65], s[62:63]
	v_fma_f64 v[41:42], v[39:40], v[41:42], s[66:67]
	s_delay_alu instid0(VALU_DEP_1) | instskip(NEXT) | instid1(VALU_DEP_1)
	v_fma_f64 v[41:42], v[39:40], v[41:42], s[68:69]
	v_fma_f64 v[41:42], v[39:40], v[41:42], s[70:71]
	s_delay_alu instid0(VALU_DEP_1) | instskip(NEXT) | instid1(VALU_DEP_1)
	v_fma_f64 v[41:42], v[39:40], v[41:42], s[72:73]
	v_fma_f64 v[41:42], v[39:40], v[41:42], s[74:75]
	s_delay_alu instid0(VALU_DEP_1) | instskip(NEXT) | instid1(VALU_DEP_1)
	v_fma_f64 v[41:42], v[39:40], v[41:42], s[76:77]
	v_fma_f64 v[41:42], v[39:40], v[41:42], s[78:79]
	s_delay_alu instid0(VALU_DEP_1) | instskip(NEXT) | instid1(VALU_DEP_1)
	v_fma_f64 v[41:42], v[39:40], v[41:42], s[80:81]
	v_fma_f64 v[41:42], v[39:40], v[41:42], 1.0
	s_delay_alu instid0(VALU_DEP_1) | instskip(NEXT) | instid1(VALU_DEP_1)
	v_fma_f64 v[37:38], v[39:40], v[41:42], 1.0
	v_ldexp_f64 v[35:36], v[37:38], v43
	v_mul_f64_e32 v[37:38], 0.5, v[3:4]
	s_delay_alu instid0(VALU_DEP_2) | instskip(NEXT) | instid1(VALU_DEP_2)
	v_cndmask_b32_e64 v36, 0x7ff00000, v36, s3
	v_trunc_f64_e32 v[33:34], v[37:38]
	s_wait_alu 0xfffe
	s_delay_alu instid0(VALU_DEP_4) | instskip(SKIP_2) | instid1(VALU_DEP_1)
	v_cndmask_b32_e64 v35, 0, v35, s2
	v_cmp_eq_f64_e64 s2, v[31:32], v[3:4]
	v_cndmask_b32_e64 v36, 0, v36, s4
	v_fma_f64 v[7:8], v[35:36], v[7:8], v[35:36]
	v_cmp_class_f64_e64 s4, v[35:36], 0x204
	v_cmp_neq_f64_e64 s3, v[33:34], v[37:38]
	v_cndmask_b32_e64 v33, 0x7ff00000, 0, s6
	v_cmp_neq_f64_e64 s6, |v[5:6]|, 1.0
	s_wait_alu 0xf1ff
	s_delay_alu instid0(VALU_DEP_4) | instskip(SKIP_2) | instid1(VALU_DEP_2)
	v_cndmask_b32_e64 v8, v8, v36, s4
	v_cndmask_b32_e64 v7, v7, v35, s4
	v_cmp_gt_f64_e64 s4, 0, v[3:4]
	v_cndmask_b32_e64 v32, 0, v7, s2
	s_and_b32 s3, s2, s3
	s_wait_alu 0xfffe
	v_cndmask_b32_e64 v31, 0x3ff00000, v6, s3
	v_cndmask_b32_e64 v33, 0x3ff00000, v33, s6
	s_delay_alu instid0(VALU_DEP_2) | instskip(NEXT) | instid1(VALU_DEP_1)
	v_bfi_b32 v8, 0x7fffffff, v8, v31
	v_cndmask_b32_e64 v31, 0x7ff80000, v8, s2
	v_cmp_gt_f64_e64 s2, 0, v[5:6]
	s_xor_b32 s4, s4, s5
	v_cndmask_b32_e64 v7, v7, v32, s2
	v_cndmask_b32_e64 v8, v8, v31, s2
	v_cmp_class_f64_e64 s2, v[3:4], 0x204
	v_cndmask_b32_e64 v32, 0, v6, s3
	s_or_b32 s3, s5, s54
	s_wait_alu 0xfffe
	v_cndmask_b32_e64 v31, 0x7ff00000, 0, s4
	s_delay_alu instid0(VALU_DEP_1)
	v_bfi_b32 v31, 0x7fffffff, v31, v32
	v_cndmask_b32_e64 v8, v8, v33, s2
	s_or_b32 s2, s3, s2
	s_wait_alu 0xfffe
	v_cndmask_b32_e64 v7, v7, 0, s2
	v_cmp_o_f64_e64 s2, v[5:6], v[3:4]
	v_cndmask_b32_e64 v8, v8, v31, s3
	s_wait_alu 0xf1ff
	s_delay_alu instid0(VALU_DEP_2) | instskip(NEXT) | instid1(VALU_DEP_2)
	v_cndmask_b32_e64 v3, 0, v7, s2
	v_cndmask_b32_e64 v4, 0x7ff80000, v8, s2
	v_add_co_u32 v5, s2, v22, s8
	s_wait_alu 0xf1ff
	v_add_co_ci_u32_e64 v6, null, s9, v23, s2
	global_store_b64 v[5:6], v[3:4], off
	s_or_b32 exec_lo, exec_lo, s7
	s_and_saveexec_b32 s6, vcc_lo
	s_cbranch_execz .LBB77_3
.LBB77_19:                              ;   in Loop: Header=BB77_4 Depth=1
	s_wait_loadcnt 0x0
	v_cndmask_b32_e64 v2, v2, 0x3ff00000, s33
	v_cndmask_b32_e64 v1, v1, 0, s33
	v_mov_b32_e32 v3, s29
	s_mov_b32 s54, s20
	s_mov_b32 s58, s22
	;; [unrolled: 1-line block ×3, first 2 shown]
	v_cmp_neq_f64_e32 vcc_lo, 0, v[1:2]
	v_cmp_neq_f64_e64 s5, v[1:2], |v[1:2]|
	s_wait_alu 0xfffd
	v_cndmask_b32_e32 v4, 0x3ff00000, v3, vcc_lo
	v_cndmask_b32_e64 v3, 0, s28, vcc_lo
	s_delay_alu instid0(VALU_DEP_1) | instskip(SKIP_2) | instid1(VALU_DEP_3)
	v_frexp_mant_f64_e64 v[5:6], |v[3:4]|
	v_cmp_lt_f64_e64 s7, |v[3:4]|, 1.0
	v_cmp_eq_f64_e64 s4, 0, v[3:4]
	v_cmp_gt_f64_e32 vcc_lo, s[20:21], v[5:6]
	s_xor_b32 s5, s5, s7
	v_cmp_class_f64_e64 s7, v[3:4], 0x204
	s_wait_alu 0xfffd
	v_cndmask_b32_e64 v7, 0, 1, vcc_lo
	s_delay_alu instid0(VALU_DEP_1) | instskip(NEXT) | instid1(VALU_DEP_1)
	v_ldexp_f64 v[5:6], v[5:6], v7
	v_add_f64_e32 v[7:8], 1.0, v[5:6]
	v_add_f64_e32 v[35:36], -1.0, v[5:6]
	s_delay_alu instid0(VALU_DEP_2) | instskip(SKIP_1) | instid1(VALU_DEP_1)
	v_rcp_f64_e32 v[31:32], v[7:8]
	v_add_f64_e32 v[37:38], -1.0, v[7:8]
	v_add_f64_e64 v[5:6], v[5:6], -v[37:38]
	s_delay_alu instid0(TRANS32_DEP_1) | instskip(NEXT) | instid1(VALU_DEP_1)
	v_fma_f64 v[33:34], -v[7:8], v[31:32], 1.0
	v_fma_f64 v[31:32], v[33:34], v[31:32], v[31:32]
	s_delay_alu instid0(VALU_DEP_1) | instskip(NEXT) | instid1(VALU_DEP_1)
	v_fma_f64 v[33:34], -v[7:8], v[31:32], 1.0
	v_fma_f64 v[31:32], v[33:34], v[31:32], v[31:32]
	s_delay_alu instid0(VALU_DEP_1) | instskip(NEXT) | instid1(VALU_DEP_1)
	v_mul_f64_e32 v[33:34], v[35:36], v[31:32]
	v_mul_f64_e32 v[39:40], v[7:8], v[33:34]
	s_delay_alu instid0(VALU_DEP_1) | instskip(NEXT) | instid1(VALU_DEP_1)
	v_fma_f64 v[7:8], v[33:34], v[7:8], -v[39:40]
	v_fma_f64 v[5:6], v[33:34], v[5:6], v[7:8]
	s_delay_alu instid0(VALU_DEP_1) | instskip(NEXT) | instid1(VALU_DEP_1)
	v_add_f64_e32 v[7:8], v[39:40], v[5:6]
	v_add_f64_e64 v[37:38], v[35:36], -v[7:8]
	v_add_f64_e64 v[39:40], v[7:8], -v[39:40]
	s_delay_alu instid0(VALU_DEP_2) | instskip(NEXT) | instid1(VALU_DEP_2)
	v_add_f64_e64 v[35:36], v[35:36], -v[37:38]
	v_add_f64_e64 v[5:6], v[39:40], -v[5:6]
	s_delay_alu instid0(VALU_DEP_2) | instskip(NEXT) | instid1(VALU_DEP_1)
	v_add_f64_e64 v[7:8], v[35:36], -v[7:8]
	v_add_f64_e32 v[5:6], v[5:6], v[7:8]
	s_delay_alu instid0(VALU_DEP_1) | instskip(NEXT) | instid1(VALU_DEP_1)
	v_add_f64_e32 v[5:6], v[37:38], v[5:6]
	v_mul_f64_e32 v[5:6], v[31:32], v[5:6]
	s_delay_alu instid0(VALU_DEP_1) | instskip(NEXT) | instid1(VALU_DEP_1)
	v_add_f64_e32 v[7:8], v[33:34], v[5:6]
	v_add_f64_e64 v[31:32], v[7:8], -v[33:34]
	v_mul_f64_e32 v[33:34], v[7:8], v[7:8]
	s_delay_alu instid0(VALU_DEP_2) | instskip(NEXT) | instid1(VALU_DEP_2)
	v_add_f64_e64 v[5:6], v[5:6], -v[31:32]
	v_fma_f64 v[31:32], v[7:8], v[7:8], -v[33:34]
	s_delay_alu instid0(VALU_DEP_2) | instskip(NEXT) | instid1(VALU_DEP_1)
	v_add_f64_e32 v[35:36], v[5:6], v[5:6]
	v_fma_f64 v[31:32], v[7:8], v[35:36], v[31:32]
	s_delay_alu instid0(VALU_DEP_1) | instskip(NEXT) | instid1(VALU_DEP_1)
	v_add_f64_e32 v[35:36], v[33:34], v[31:32]
	v_fma_f64 v[37:38], v[35:36], s[36:37], s[34:35]
	v_add_f64_e64 v[33:34], v[35:36], -v[33:34]
	v_mul_f64_e32 v[43:44], v[7:8], v[35:36]
	s_delay_alu instid0(VALU_DEP_3) | instskip(NEXT) | instid1(VALU_DEP_3)
	v_fma_f64 v[37:38], v[35:36], v[37:38], s[38:39]
	v_add_f64_e64 v[31:32], v[31:32], -v[33:34]
	s_delay_alu instid0(VALU_DEP_2) | instskip(NEXT) | instid1(VALU_DEP_1)
	v_fma_f64 v[37:38], v[35:36], v[37:38], s[40:41]
	v_fma_f64 v[37:38], v[35:36], v[37:38], s[42:43]
	s_delay_alu instid0(VALU_DEP_1) | instskip(NEXT) | instid1(VALU_DEP_1)
	v_fma_f64 v[37:38], v[35:36], v[37:38], s[44:45]
	v_fma_f64 v[37:38], v[35:36], v[37:38], s[46:47]
	s_delay_alu instid0(VALU_DEP_1) | instskip(NEXT) | instid1(VALU_DEP_1)
	;; [unrolled: 3-line block ×3, first 2 shown]
	v_mul_f64_e32 v[39:40], v[35:36], v[37:38]
	v_fma_f64 v[33:34], v[35:36], v[37:38], -v[39:40]
	s_delay_alu instid0(VALU_DEP_1) | instskip(NEXT) | instid1(VALU_DEP_1)
	v_fma_f64 v[33:34], v[31:32], v[37:38], v[33:34]
	v_add_f64_e32 v[37:38], v[39:40], v[33:34]
	s_delay_alu instid0(VALU_DEP_1) | instskip(SKIP_2) | instid1(VALU_DEP_2)
	v_add_f64_e32 v[41:42], s[20:21], v[37:38]
	v_add_f64_e64 v[39:40], v[37:38], -v[39:40]
	s_wait_alu 0xfffe
	v_add_f64_e32 v[45:46], s[54:55], v[41:42]
	s_delay_alu instid0(VALU_DEP_2) | instskip(SKIP_1) | instid1(VALU_DEP_3)
	v_add_f64_e64 v[33:34], v[33:34], -v[39:40]
	v_fma_f64 v[39:40], v[35:36], v[7:8], -v[43:44]
	v_add_f64_e64 v[37:38], v[37:38], -v[45:46]
	s_delay_alu instid0(VALU_DEP_3) | instskip(NEXT) | instid1(VALU_DEP_3)
	v_add_f64_e32 v[33:34], s[52:53], v[33:34]
	v_fma_f64 v[35:36], v[35:36], v[5:6], v[39:40]
	v_ldexp_f64 v[5:6], v[5:6], 1
	s_delay_alu instid0(VALU_DEP_3) | instskip(NEXT) | instid1(VALU_DEP_3)
	v_add_f64_e32 v[33:34], v[33:34], v[37:38]
	v_fma_f64 v[31:32], v[31:32], v[7:8], v[35:36]
	v_ldexp_f64 v[7:8], v[7:8], 1
	s_delay_alu instid0(VALU_DEP_3) | instskip(NEXT) | instid1(VALU_DEP_3)
	v_add_f64_e32 v[35:36], v[41:42], v[33:34]
	v_add_f64_e32 v[37:38], v[43:44], v[31:32]
	s_delay_alu instid0(VALU_DEP_2) | instskip(NEXT) | instid1(VALU_DEP_2)
	v_add_f64_e64 v[39:40], v[41:42], -v[35:36]
	v_mul_f64_e32 v[41:42], v[37:38], v[35:36]
	v_add_f64_e64 v[43:44], v[37:38], -v[43:44]
	s_delay_alu instid0(VALU_DEP_3) | instskip(NEXT) | instid1(VALU_DEP_3)
	v_add_f64_e32 v[33:34], v[33:34], v[39:40]
	v_fma_f64 v[39:40], v[37:38], v[35:36], -v[41:42]
	s_delay_alu instid0(VALU_DEP_3) | instskip(NEXT) | instid1(VALU_DEP_2)
	v_add_f64_e64 v[31:32], v[31:32], -v[43:44]
	v_fma_f64 v[33:34], v[37:38], v[33:34], v[39:40]
	s_delay_alu instid0(VALU_DEP_1) | instskip(SKIP_1) | instid1(VALU_DEP_2)
	v_fma_f64 v[31:32], v[31:32], v[35:36], v[33:34]
	v_frexp_exp_i32_f64_e32 v35, v[3:4]
	v_add_f64_e32 v[33:34], v[41:42], v[31:32]
	s_delay_alu instid0(VALU_DEP_2) | instskip(NEXT) | instid1(VALU_DEP_1)
	v_subrev_co_ci_u32_e64 v35, null, 0, v35, vcc_lo
	v_cvt_f64_i32_e32 v[35:36], v35
	s_delay_alu instid0(VALU_DEP_3) | instskip(SKIP_1) | instid1(VALU_DEP_3)
	v_add_f64_e32 v[37:38], v[7:8], v[33:34]
	v_add_f64_e64 v[39:40], v[33:34], -v[41:42]
	v_mul_f64_e32 v[41:42], s[22:23], v[35:36]
	s_delay_alu instid0(VALU_DEP_3) | instskip(NEXT) | instid1(VALU_DEP_3)
	v_add_f64_e64 v[7:8], v[37:38], -v[7:8]
	v_add_f64_e64 v[31:32], v[31:32], -v[39:40]
	s_delay_alu instid0(VALU_DEP_3) | instskip(NEXT) | instid1(VALU_DEP_3)
	v_fma_f64 v[39:40], v[35:36], s[22:23], -v[41:42]
	v_add_f64_e64 v[7:8], v[33:34], -v[7:8]
	s_delay_alu instid0(VALU_DEP_3) | instskip(NEXT) | instid1(VALU_DEP_3)
	v_add_f64_e32 v[5:6], v[5:6], v[31:32]
	v_fma_f64 v[31:32], v[35:36], s[30:31], v[39:40]
	s_delay_alu instid0(VALU_DEP_2) | instskip(NEXT) | instid1(VALU_DEP_2)
	v_add_f64_e32 v[5:6], v[5:6], v[7:8]
	v_add_f64_e32 v[7:8], v[41:42], v[31:32]
	s_delay_alu instid0(VALU_DEP_2) | instskip(NEXT) | instid1(VALU_DEP_2)
	v_add_f64_e32 v[33:34], v[37:38], v[5:6]
	v_add_f64_e64 v[41:42], v[7:8], -v[41:42]
	s_delay_alu instid0(VALU_DEP_2) | instskip(SKIP_1) | instid1(VALU_DEP_3)
	v_add_f64_e32 v[35:36], v[7:8], v[33:34]
	v_add_f64_e64 v[37:38], v[33:34], -v[37:38]
	v_add_f64_e64 v[31:32], v[31:32], -v[41:42]
	s_delay_alu instid0(VALU_DEP_3) | instskip(NEXT) | instid1(VALU_DEP_3)
	v_add_f64_e64 v[39:40], v[35:36], -v[7:8]
	v_add_f64_e64 v[5:6], v[5:6], -v[37:38]
	s_delay_alu instid0(VALU_DEP_2) | instskip(SKIP_1) | instid1(VALU_DEP_3)
	v_add_f64_e64 v[43:44], v[35:36], -v[39:40]
	v_add_f64_e64 v[33:34], v[33:34], -v[39:40]
	v_add_f64_e32 v[37:38], v[31:32], v[5:6]
	s_delay_alu instid0(VALU_DEP_3) | instskip(NEXT) | instid1(VALU_DEP_1)
	v_add_f64_e64 v[7:8], v[7:8], -v[43:44]
	v_add_f64_e32 v[7:8], v[33:34], v[7:8]
	s_delay_alu instid0(VALU_DEP_3) | instskip(NEXT) | instid1(VALU_DEP_2)
	v_add_f64_e64 v[33:34], v[37:38], -v[31:32]
	v_add_f64_e32 v[7:8], v[37:38], v[7:8]
	s_delay_alu instid0(VALU_DEP_2) | instskip(SKIP_1) | instid1(VALU_DEP_3)
	v_add_f64_e64 v[37:38], v[37:38], -v[33:34]
	v_add_f64_e64 v[5:6], v[5:6], -v[33:34]
	v_add_f64_e32 v[39:40], v[35:36], v[7:8]
	s_delay_alu instid0(VALU_DEP_3) | instskip(NEXT) | instid1(VALU_DEP_2)
	v_add_f64_e64 v[31:32], v[31:32], -v[37:38]
	v_add_f64_e64 v[33:34], v[39:40], -v[35:36]
	s_delay_alu instid0(VALU_DEP_2) | instskip(NEXT) | instid1(VALU_DEP_2)
	v_add_f64_e32 v[5:6], v[5:6], v[31:32]
	v_add_f64_e64 v[7:8], v[7:8], -v[33:34]
	s_delay_alu instid0(VALU_DEP_1) | instskip(NEXT) | instid1(VALU_DEP_1)
	v_add_f64_e32 v[5:6], v[5:6], v[7:8]
	v_add_f64_e32 v[7:8], v[39:40], v[5:6]
	s_delay_alu instid0(VALU_DEP_1) | instskip(SKIP_1) | instid1(VALU_DEP_2)
	v_add_f64_e64 v[31:32], v[7:8], -v[39:40]
	v_mul_f64_e32 v[33:34], v[1:2], v[7:8]
	v_add_f64_e64 v[5:6], v[5:6], -v[31:32]
	s_delay_alu instid0(VALU_DEP_2) | instskip(SKIP_1) | instid1(VALU_DEP_2)
	v_fma_f64 v[7:8], v[1:2], v[7:8], -v[33:34]
	v_cmp_class_f64_e64 vcc_lo, v[33:34], 0x204
	v_fma_f64 v[5:6], v[1:2], v[5:6], v[7:8]
	s_delay_alu instid0(VALU_DEP_1) | instskip(SKIP_1) | instid1(VALU_DEP_1)
	v_add_f64_e32 v[7:8], v[33:34], v[5:6]
	s_wait_alu 0xfffd
	v_dual_cndmask_b32 v32, v8, v34 :: v_dual_cndmask_b32 v31, v7, v33
	v_add_f64_e64 v[7:8], v[7:8], -v[33:34]
	s_delay_alu instid0(VALU_DEP_2) | instskip(NEXT) | instid1(VALU_DEP_2)
	v_cmp_neq_f64_e64 vcc_lo, 0x7ff00000, |v[31:32]|
	v_add_f64_e64 v[5:6], v[5:6], -v[7:8]
	v_trunc_f64_e32 v[7:8], v[1:2]
	s_wait_alu 0xfffd
	s_delay_alu instid0(VALU_DEP_2) | instskip(SKIP_4) | instid1(VALU_DEP_4)
	v_cndmask_b32_e32 v6, 0, v6, vcc_lo
	v_mul_f64_e32 v[35:36], s[56:57], v[31:32]
	v_cmp_nlt_f64_e64 s2, 0x40900000, v[31:32]
	v_cmp_ngt_f64_e64 s3, 0xc090cc00, v[31:32]
	v_cndmask_b32_e32 v5, 0, v5, vcc_lo
	v_rndne_f64_e32 v[35:36], v[35:36]
	s_and_b32 vcc_lo, s3, s2
	s_delay_alu instid0(VALU_DEP_1) | instskip(SKIP_1) | instid1(VALU_DEP_2)
	v_fma_f64 v[37:38], v[35:36], s[58:59], v[31:32]
	v_cvt_i32_f64_e32 v41, v[35:36]
	v_fma_f64 v[37:38], v[35:36], s[60:61], v[37:38]
	s_delay_alu instid0(VALU_DEP_1) | instskip(NEXT) | instid1(VALU_DEP_1)
	v_fma_f64 v[39:40], v[37:38], s[64:65], s[62:63]
	v_fma_f64 v[39:40], v[37:38], v[39:40], s[66:67]
	s_delay_alu instid0(VALU_DEP_1) | instskip(NEXT) | instid1(VALU_DEP_1)
	v_fma_f64 v[39:40], v[37:38], v[39:40], s[68:69]
	v_fma_f64 v[39:40], v[37:38], v[39:40], s[70:71]
	s_delay_alu instid0(VALU_DEP_1) | instskip(NEXT) | instid1(VALU_DEP_1)
	v_fma_f64 v[39:40], v[37:38], v[39:40], s[72:73]
	v_fma_f64 v[39:40], v[37:38], v[39:40], s[74:75]
	s_delay_alu instid0(VALU_DEP_1) | instskip(NEXT) | instid1(VALU_DEP_1)
	v_fma_f64 v[39:40], v[37:38], v[39:40], s[76:77]
	v_fma_f64 v[39:40], v[37:38], v[39:40], s[78:79]
	s_delay_alu instid0(VALU_DEP_1) | instskip(NEXT) | instid1(VALU_DEP_1)
	v_fma_f64 v[39:40], v[37:38], v[39:40], s[80:81]
	v_fma_f64 v[39:40], v[37:38], v[39:40], 1.0
	s_delay_alu instid0(VALU_DEP_1) | instskip(NEXT) | instid1(VALU_DEP_1)
	v_fma_f64 v[35:36], v[37:38], v[39:40], 1.0
	v_ldexp_f64 v[33:34], v[35:36], v41
	v_mul_f64_e32 v[35:36], 0.5, v[1:2]
	s_delay_alu instid0(VALU_DEP_2) | instskip(NEXT) | instid1(VALU_DEP_2)
	v_cndmask_b32_e64 v34, 0x7ff00000, v34, s2
	v_trunc_f64_e32 v[31:32], v[35:36]
	s_delay_alu instid0(VALU_DEP_2) | instskip(NEXT) | instid1(VALU_DEP_2)
	v_cndmask_b32_e64 v34, 0, v34, s3
	v_cmp_neq_f64_e64 s2, v[31:32], v[35:36]
	v_cndmask_b32_e64 v31, 0x7ff00000, 0, s5
	v_cmp_neq_f64_e64 s5, |v[3:4]|, 1.0
	s_wait_alu 0xf1ff
	s_delay_alu instid0(VALU_DEP_1) | instskip(SKIP_3) | instid1(VALU_DEP_2)
	v_cndmask_b32_e64 v31, 0x3ff00000, v31, s5
	s_wait_alu 0xfffe
	v_cndmask_b32_e32 v33, 0, v33, vcc_lo
	v_cmp_eq_f64_e32 vcc_lo, v[7:8], v[1:2]
	v_fma_f64 v[5:6], v[33:34], v[5:6], v[33:34]
	v_cmp_class_f64_e64 s3, v[33:34], 0x204
	s_and_b32 s2, vcc_lo, s2
	s_wait_alu 0xfffe
	v_cndmask_b32_e64 v7, 0x3ff00000, v4, s2
	v_cndmask_b32_e64 v6, v6, v34, s3
	;; [unrolled: 1-line block ×3, first 2 shown]
	v_cmp_gt_f64_e64 s3, 0, v[1:2]
	s_delay_alu instid0(VALU_DEP_3) | instskip(NEXT) | instid1(VALU_DEP_3)
	v_bfi_b32 v6, 0x7fffffff, v6, v7
	v_cndmask_b32_e32 v8, 0, v5, vcc_lo
	s_delay_alu instid0(VALU_DEP_2) | instskip(SKIP_3) | instid1(VALU_DEP_2)
	v_cndmask_b32_e32 v7, 0x7ff80000, v6, vcc_lo
	v_cmp_gt_f64_e32 vcc_lo, 0, v[3:4]
	s_xor_b32 s3, s3, s4
	s_wait_alu 0xfffd
	v_dual_cndmask_b32 v5, v5, v8 :: v_dual_cndmask_b32 v6, v6, v7
	v_cmp_class_f64_e64 vcc_lo, v[1:2], 0x204
	s_wait_alu 0xfffe
	v_cndmask_b32_e64 v7, 0x7ff00000, 0, s3
	v_cndmask_b32_e64 v8, 0, v4, s2
	s_or_b32 s2, s4, s7
	s_delay_alu instid0(VALU_DEP_1) | instskip(SKIP_3) | instid1(VALU_DEP_1)
	v_bfi_b32 v7, 0x7fffffff, v7, v8
	s_wait_alu 0xfffd
	v_cndmask_b32_e32 v6, v6, v31, vcc_lo
	s_wait_alu 0xfffe
	v_cndmask_b32_e64 v6, v6, v7, s2
	s_or_b32 s2, s2, vcc_lo
	v_cmp_o_f64_e32 vcc_lo, v[3:4], v[1:2]
	s_wait_alu 0xfffe
	v_cndmask_b32_e64 v5, v5, 0, s2
	s_wait_alu 0xfffd
	s_delay_alu instid0(VALU_DEP_1)
	v_cndmask_b32_e32 v1, 0, v5, vcc_lo
	v_cndmask_b32_e32 v2, 0x7ff80000, v6, vcc_lo
	v_add_co_u32 v3, vcc_lo, v15, s8
	s_wait_alu 0xfffd
	v_add_co_ci_u32_e64 v4, null, s9, v16, vcc_lo
	global_store_b64 v[3:4], v[1:2], off
	s_branch .LBB77_3
.LBB77_20:
	s_mov_b32 s2, 0
.LBB77_21:
	s_wait_alu 0xfffe
	s_and_not1_b32 vcc_lo, exec_lo, s2
	s_wait_alu 0xfffe
	s_cbranch_vccnz .LBB77_25
; %bb.22:
	v_cmp_gt_i64_e64 s2, 0x10000, s[10:11]
	s_wait_loadcnt 0x0
	v_dual_mov_b32 v2, 0 :: v_dual_lshlrev_b32 v1, 2, v0
	s_mov_b32 s23, 0
	s_and_b32 s2, s2, exec_lo
	s_cselect_b32 s31, s11, 0
	s_cselect_b32 s30, s10, 0x10000
	s_mov_b32 s2, exec_lo
	s_wait_alu 0xfffe
	v_cmpx_gt_i64_e64 s[30:31], v[1:2]
	s_cbranch_execz .LBB77_25
; %bb.23:
	v_cmp_eq_f64_e64 s33, s[28:29], 1.0
	s_load_b32 s0, s[0:1], 0xc64
	v_dual_mov_b32 v1, v2 :: v_dual_lshlrev_b32 v2, 5, v0
	v_mov_b32_e32 v18, s29
	s_mov_b32 s34, 0x55555555
	s_mov_b32 s36, 0x968915a9
	;; [unrolled: 1-line block ×16, first 2 shown]
	s_wait_kmcnt 0x0
	s_and_b32 s29, s0, 0xffff
	v_add_co_u32 v19, s0, s8, v2
	s_delay_alu instid0(VALU_DEP_1)
	v_add_co_ci_u32_e64 v20, null, s9, 0, s0
	s_mov_b32 s72, 0x623fde64
	s_mov_b32 s74, 0x7c89e6b0
	;; [unrolled: 1-line block ×14, first 2 shown]
	s_wait_alu 0xfffe
	s_lshl_b32 s88, s29, 5
	s_mov_b32 s47, 0x3fc745d1
	s_mov_b32 s49, 0x3fcc71c7
	;; [unrolled: 1-line block ×24, first 2 shown]
.LBB77_24:                              ; =>This Inner Loop Header: Depth=1
	v_add_co_u32 v2, vcc_lo, s24, v19
	s_wait_alu 0xfffd
	v_add_co_ci_u32_e64 v3, null, s25, v20, vcc_lo
	s_clause 0x1
	global_load_b128 v[6:9], v[2:3], off
	global_load_b128 v[2:5], v[2:3], off offset:16
	s_wait_loadcnt 0x1
	v_cndmask_b32_e64 v7, v7, 0x3ff00000, s33
	v_cndmask_b32_e64 v6, v6, 0, s33
	;; [unrolled: 1-line block ×4, first 2 shown]
	s_wait_loadcnt 0x0
	v_cndmask_b32_e64 v3, v3, 0x3ff00000, s33
	v_cndmask_b32_e64 v2, v2, 0, s33
	v_cmp_neq_f64_e32 vcc_lo, 0, v[6:7]
	v_cndmask_b32_e64 v5, v5, 0x3ff00000, s33
	v_cmp_neq_f64_e64 s0, 0, v[8:9]
	v_cndmask_b32_e64 v4, v4, 0, s33
	v_cmp_neq_f64_e64 s1, 0, v[2:3]
	v_cmp_neq_f64_e64 s91, v[2:3], |v[2:3]|
	v_cmp_neq_f64_e64 s89, v[6:7], |v[6:7]|
	;; [unrolled: 1-line block ×3, first 2 shown]
	v_cmp_neq_f64_e64 s2, 0, v[4:5]
	v_cmp_neq_f64_e64 s92, v[4:5], |v[4:5]|
	v_cmp_gt_f64_e64 s3, 0, v[4:5]
	s_wait_alu 0xfffd
	v_cndmask_b32_e32 v17, 0x3ff00000, v18, vcc_lo
	v_cndmask_b32_e64 v16, 0, s28, vcc_lo
	s_wait_alu 0xf1ff
	v_cndmask_b32_e64 v15, 0x3ff00000, v18, s0
	v_cndmask_b32_e64 v14, 0, s28, s0
	;; [unrolled: 1-line block ×4, first 2 shown]
	v_frexp_mant_f64_e64 v[21:22], |v[16:17]|
	v_cmp_lt_f64_e64 s93, |v[16:17]|, 1.0
	v_frexp_mant_f64_e64 v[23:24], |v[14:15]|
	v_cndmask_b32_e64 v11, 0x3ff00000, v18, s2
	v_cndmask_b32_e64 v10, 0, s28, s2
	v_frexp_mant_f64_e64 v[25:26], |v[12:13]|
	v_cmp_lt_f64_e64 s97, |v[12:13]|, 1.0
	v_cmp_lt_f64_e64 s95, |v[14:15]|, 1.0
	v_cmp_class_f64_e64 s96, v[14:15], 0x204
	v_frexp_mant_f64_e64 v[27:28], |v[10:11]|
	v_cmp_lt_f64_e64 s99, |v[10:11]|, 1.0
	v_cmp_class_f64_e64 s98, v[12:13], 0x204
	v_cmp_class_f64_e64 s100, v[10:11], 0x204
	;; [unrolled: 1-line block ×3, first 2 shown]
	v_cmp_gt_f64_e64 s0, s[34:35], v[21:22]
	v_cmp_gt_f64_e64 s1, s[34:35], v[23:24]
	;; [unrolled: 1-line block ×3, first 2 shown]
	v_cmp_gt_f64_e32 vcc_lo, s[34:35], v[27:28]
	s_wait_alu 0xf1ff
	s_delay_alu instid0(VALU_DEP_4) | instskip(NEXT) | instid1(VALU_DEP_4)
	v_cndmask_b32_e64 v29, 0, 1, s0
	v_cndmask_b32_e64 v30, 0, 1, s1
	s_delay_alu instid0(VALU_DEP_2) | instskip(SKIP_1) | instid1(VALU_DEP_3)
	v_ldexp_f64 v[21:22], v[21:22], v29
	v_cndmask_b32_e64 v31, 0, 1, s2
	v_ldexp_f64 v[23:24], v[23:24], v30
	s_wait_alu 0xfffd
	v_cndmask_b32_e64 v32, 0, 1, vcc_lo
	s_delay_alu instid0(VALU_DEP_3) | instskip(NEXT) | instid1(VALU_DEP_2)
	v_ldexp_f64 v[25:26], v[25:26], v31
	v_ldexp_f64 v[27:28], v[27:28], v32
	v_add_f64_e32 v[29:30], 1.0, v[21:22]
	v_add_f64_e32 v[37:38], -1.0, v[21:22]
	v_add_f64_e32 v[31:32], 1.0, v[23:24]
	v_add_f64_e32 v[39:40], -1.0, v[23:24]
	v_add_f64_e32 v[33:34], 1.0, v[25:26]
	v_add_f64_e32 v[41:42], -1.0, v[25:26]
	v_add_f64_e32 v[35:36], 1.0, v[27:28]
	v_add_f64_e32 v[43:44], -1.0, v[27:28]
	v_rcp_f64_e32 v[47:48], v[29:30]
	v_add_f64_e32 v[45:46], -1.0, v[29:30]
	v_rcp_f64_e32 v[55:56], v[31:32]
	v_add_f64_e32 v[49:50], -1.0, v[31:32]
	;; [unrolled: 2-line block ×4, first 2 shown]
	s_delay_alu instid0(VALU_DEP_4) | instskip(SKIP_2) | instid1(TRANS32_DEP_3)
	v_add_f64_e64 v[21:22], v[21:22], -v[45:46]
	v_fma_f64 v[45:46], -v[29:30], v[47:48], 1.0
	v_add_f64_e64 v[23:24], v[23:24], -v[49:50]
	v_fma_f64 v[49:50], -v[31:32], v[55:56], 1.0
	v_add_f64_e64 v[25:26], v[25:26], -v[51:52]
	s_delay_alu instid0(TRANS32_DEP_2) | instskip(SKIP_1) | instid1(TRANS32_DEP_1)
	v_fma_f64 v[51:52], -v[33:34], v[57:58], 1.0
	v_add_f64_e64 v[27:28], v[27:28], -v[53:54]
	v_fma_f64 v[53:54], -v[35:36], v[59:60], 1.0
	v_fma_f64 v[45:46], v[45:46], v[47:48], v[47:48]
	v_fma_f64 v[47:48], v[49:50], v[55:56], v[55:56]
	;; [unrolled: 1-line block ×3, first 2 shown]
	s_delay_alu instid0(VALU_DEP_4) | instskip(NEXT) | instid1(VALU_DEP_4)
	v_fma_f64 v[51:52], v[53:54], v[59:60], v[59:60]
	v_fma_f64 v[53:54], -v[29:30], v[45:46], 1.0
	s_delay_alu instid0(VALU_DEP_4) | instskip(NEXT) | instid1(VALU_DEP_4)
	v_fma_f64 v[55:56], -v[31:32], v[47:48], 1.0
	v_fma_f64 v[57:58], -v[33:34], v[49:50], 1.0
	s_delay_alu instid0(VALU_DEP_4) | instskip(NEXT) | instid1(VALU_DEP_4)
	v_fma_f64 v[59:60], -v[35:36], v[51:52], 1.0
	v_fma_f64 v[45:46], v[53:54], v[45:46], v[45:46]
	s_delay_alu instid0(VALU_DEP_4) | instskip(NEXT) | instid1(VALU_DEP_4)
	v_fma_f64 v[47:48], v[55:56], v[47:48], v[47:48]
	v_fma_f64 v[49:50], v[57:58], v[49:50], v[49:50]
	s_delay_alu instid0(VALU_DEP_4) | instskip(NEXT) | instid1(VALU_DEP_4)
	v_fma_f64 v[51:52], v[59:60], v[51:52], v[51:52]
	v_mul_f64_e32 v[53:54], v[37:38], v[45:46]
	s_delay_alu instid0(VALU_DEP_4) | instskip(NEXT) | instid1(VALU_DEP_4)
	v_mul_f64_e32 v[55:56], v[39:40], v[47:48]
	v_mul_f64_e32 v[57:58], v[41:42], v[49:50]
	s_delay_alu instid0(VALU_DEP_4) | instskip(NEXT) | instid1(VALU_DEP_4)
	v_mul_f64_e32 v[59:60], v[43:44], v[51:52]
	;; [unrolled: 3-line block ×4, first 2 shown]
	v_fma_f64 v[29:30], v[53:54], v[29:30], -v[61:62]
	s_delay_alu instid0(VALU_DEP_4) | instskip(NEXT) | instid1(VALU_DEP_4)
	v_fma_f64 v[31:32], v[55:56], v[31:32], -v[63:64]
	v_fma_f64 v[33:34], v[57:58], v[33:34], -v[65:66]
	s_delay_alu instid0(VALU_DEP_4) | instskip(NEXT) | instid1(VALU_DEP_4)
	v_fma_f64 v[35:36], v[59:60], v[35:36], -v[67:68]
	v_fma_f64 v[21:22], v[53:54], v[21:22], v[29:30]
	s_delay_alu instid0(VALU_DEP_4) | instskip(NEXT) | instid1(VALU_DEP_4)
	v_fma_f64 v[23:24], v[55:56], v[23:24], v[31:32]
	v_fma_f64 v[25:26], v[57:58], v[25:26], v[33:34]
	s_delay_alu instid0(VALU_DEP_4) | instskip(NEXT) | instid1(VALU_DEP_4)
	v_fma_f64 v[27:28], v[59:60], v[27:28], v[35:36]
	v_add_f64_e32 v[29:30], v[61:62], v[21:22]
	s_delay_alu instid0(VALU_DEP_4) | instskip(NEXT) | instid1(VALU_DEP_4)
	v_add_f64_e32 v[31:32], v[63:64], v[23:24]
	v_add_f64_e32 v[33:34], v[65:66], v[25:26]
	s_delay_alu instid0(VALU_DEP_4) | instskip(NEXT) | instid1(VALU_DEP_4)
	v_add_f64_e32 v[35:36], v[67:68], v[27:28]
	v_add_f64_e64 v[69:70], v[37:38], -v[29:30]
	v_add_f64_e64 v[61:62], v[29:30], -v[61:62]
	;; [unrolled: 1-line block ×20, first 2 shown]
	s_delay_alu instid0(VALU_DEP_4) | instskip(NEXT) | instid1(VALU_DEP_4)
	v_add_f64_e32 v[21:22], v[21:22], v[29:30]
	v_add_f64_e32 v[23:24], v[23:24], v[31:32]
	s_delay_alu instid0(VALU_DEP_4) | instskip(NEXT) | instid1(VALU_DEP_4)
	v_add_f64_e32 v[25:26], v[25:26], v[33:34]
	v_add_f64_e32 v[27:28], v[27:28], v[35:36]
	;; [unrolled: 3-line block ×4, first 2 shown]
	s_delay_alu instid0(VALU_DEP_4) | instskip(NEXT) | instid1(VALU_DEP_4)
	v_mul_f64_e32 v[21:22], v[45:46], v[21:22]
	v_mul_f64_e32 v[23:24], v[47:48], v[23:24]
	s_delay_alu instid0(VALU_DEP_4) | instskip(NEXT) | instid1(VALU_DEP_4)
	v_mul_f64_e32 v[25:26], v[49:50], v[25:26]
	v_mul_f64_e32 v[27:28], v[51:52], v[27:28]
	s_delay_alu instid0(VALU_DEP_4) | instskip(NEXT) | instid1(VALU_DEP_4)
	v_add_f64_e32 v[29:30], v[53:54], v[21:22]
	v_add_f64_e32 v[31:32], v[55:56], v[23:24]
	s_delay_alu instid0(VALU_DEP_4) | instskip(NEXT) | instid1(VALU_DEP_4)
	v_add_f64_e32 v[33:34], v[57:58], v[25:26]
	v_add_f64_e32 v[35:36], v[59:60], v[27:28]
	s_delay_alu instid0(VALU_DEP_4)
	v_add_f64_e64 v[37:38], v[29:30], -v[53:54]
	v_mul_f64_e32 v[43:44], v[29:30], v[29:30]
	v_add_f64_e64 v[39:40], v[31:32], -v[55:56]
	v_mul_f64_e32 v[45:46], v[31:32], v[31:32]
	;; [unrolled: 2-line block ×4, first 2 shown]
	v_add_f64_e64 v[21:22], v[21:22], -v[37:38]
	v_fma_f64 v[37:38], v[29:30], v[29:30], -v[43:44]
	v_add_f64_e64 v[23:24], v[23:24], -v[39:40]
	v_fma_f64 v[39:40], v[31:32], v[31:32], -v[45:46]
	;; [unrolled: 2-line block ×4, first 2 shown]
	v_add_f64_e32 v[53:54], v[21:22], v[21:22]
	v_add_f64_e32 v[55:56], v[23:24], v[23:24]
	;; [unrolled: 1-line block ×4, first 2 shown]
	s_delay_alu instid0(VALU_DEP_4) | instskip(NEXT) | instid1(VALU_DEP_4)
	v_fma_f64 v[37:38], v[29:30], v[53:54], v[37:38]
	v_fma_f64 v[39:40], v[31:32], v[55:56], v[39:40]
	s_delay_alu instid0(VALU_DEP_4) | instskip(NEXT) | instid1(VALU_DEP_4)
	v_fma_f64 v[41:42], v[33:34], v[57:58], v[41:42]
	v_fma_f64 v[47:48], v[35:36], v[59:60], v[47:48]
	s_delay_alu instid0(VALU_DEP_4) | instskip(NEXT) | instid1(VALU_DEP_4)
	v_add_f64_e32 v[53:54], v[43:44], v[37:38]
	v_add_f64_e32 v[55:56], v[45:46], v[39:40]
	s_delay_alu instid0(VALU_DEP_4) | instskip(NEXT) | instid1(VALU_DEP_4)
	v_add_f64_e32 v[57:58], v[49:50], v[41:42]
	v_add_f64_e32 v[59:60], v[51:52], v[47:48]
	s_delay_alu instid0(VALU_DEP_4)
	v_fma_f64 v[61:62], v[53:54], s[38:39], s[36:37]
	v_add_f64_e64 v[43:44], v[53:54], -v[43:44]
	v_fma_f64 v[63:64], v[55:56], s[38:39], s[36:37]
	v_mul_f64_e32 v[65:66], v[29:30], v[53:54]
	v_add_f64_e64 v[45:46], v[55:56], -v[45:46]
	v_mul_f64_e32 v[67:68], v[31:32], v[55:56]
	v_add_f64_e64 v[49:50], v[57:58], -v[49:50]
	v_fma_f64 v[69:70], v[57:58], s[38:39], s[36:37]
	v_mul_f64_e32 v[71:72], v[33:34], v[57:58]
	v_add_f64_e64 v[51:52], v[59:60], -v[51:52]
	v_fma_f64 v[73:74], v[59:60], s[38:39], s[36:37]
	v_mul_f64_e32 v[75:76], v[35:36], v[59:60]
	v_fma_f64 v[61:62], v[53:54], v[61:62], s[40:41]
	v_add_f64_e64 v[37:38], v[37:38], -v[43:44]
	v_fma_f64 v[63:64], v[55:56], v[63:64], s[40:41]
	v_fma_f64 v[43:44], v[53:54], v[29:30], -v[65:66]
	v_add_f64_e64 v[39:40], v[39:40], -v[45:46]
	v_fma_f64 v[45:46], v[55:56], v[31:32], -v[67:68]
	v_add_f64_e64 v[41:42], v[41:42], -v[49:50]
	v_fma_f64 v[49:50], v[57:58], v[69:70], s[40:41]
	v_fma_f64 v[69:70], v[57:58], v[33:34], -v[71:72]
	v_add_f64_e64 v[47:48], v[47:48], -v[51:52]
	v_fma_f64 v[51:52], v[59:60], v[73:74], s[40:41]
	v_fma_f64 v[73:74], v[59:60], v[35:36], -v[75:76]
	v_fma_f64 v[61:62], v[53:54], v[61:62], s[42:43]
	v_fma_f64 v[63:64], v[55:56], v[63:64], s[42:43]
	;; [unrolled: 1-line block ×3, first 2 shown]
	v_ldexp_f64 v[21:22], v[21:22], 1
	v_fma_f64 v[45:46], v[55:56], v[23:24], v[45:46]
	v_ldexp_f64 v[23:24], v[23:24], 1
	v_fma_f64 v[49:50], v[57:58], v[49:50], s[42:43]
	v_fma_f64 v[69:70], v[57:58], v[25:26], v[69:70]
	v_ldexp_f64 v[25:26], v[25:26], 1
	v_fma_f64 v[51:52], v[59:60], v[51:52], s[42:43]
	v_fma_f64 v[73:74], v[59:60], v[27:28], v[73:74]
	v_ldexp_f64 v[27:28], v[27:28], 1
	v_fma_f64 v[61:62], v[53:54], v[61:62], s[44:45]
	v_fma_f64 v[63:64], v[55:56], v[63:64], s[44:45]
	v_fma_f64 v[49:50], v[57:58], v[49:50], s[44:45]
	;; [unrolled: 1-line block ×3, first 2 shown]
	s_wait_alu 0xfffe
	s_delay_alu instid0(VALU_DEP_4) | instskip(NEXT) | instid1(VALU_DEP_4)
	v_fma_f64 v[61:62], v[53:54], v[61:62], s[46:47]
	v_fma_f64 v[63:64], v[55:56], v[63:64], s[46:47]
	s_delay_alu instid0(VALU_DEP_4) | instskip(NEXT) | instid1(VALU_DEP_4)
	v_fma_f64 v[49:50], v[57:58], v[49:50], s[46:47]
	v_fma_f64 v[51:52], v[59:60], v[51:52], s[46:47]
	;; [unrolled: 3-line block ×8, first 2 shown]
	s_delay_alu instid0(VALU_DEP_4) | instskip(NEXT) | instid1(VALU_DEP_4)
	v_mul_f64_e32 v[77:78], v[53:54], v[61:62]
	v_mul_f64_e32 v[79:80], v[55:56], v[63:64]
	s_delay_alu instid0(VALU_DEP_4) | instskip(NEXT) | instid1(VALU_DEP_4)
	v_mul_f64_e32 v[81:82], v[57:58], v[49:50]
	v_mul_f64_e32 v[83:84], v[59:60], v[51:52]
	s_delay_alu instid0(VALU_DEP_4) | instskip(NEXT) | instid1(VALU_DEP_4)
	v_fma_f64 v[53:54], v[53:54], v[61:62], -v[77:78]
	v_fma_f64 v[55:56], v[55:56], v[63:64], -v[79:80]
	s_delay_alu instid0(VALU_DEP_4) | instskip(NEXT) | instid1(VALU_DEP_4)
	v_fma_f64 v[57:58], v[57:58], v[49:50], -v[81:82]
	v_fma_f64 v[59:60], v[59:60], v[51:52], -v[83:84]
	s_delay_alu instid0(VALU_DEP_4)
	v_fma_f64 v[53:54], v[37:38], v[61:62], v[53:54]
	v_fma_f64 v[37:38], v[37:38], v[29:30], v[43:44]
	;; [unrolled: 1-line block ×5, first 2 shown]
	v_ldexp_f64 v[29:30], v[29:30], 1
	v_ldexp_f64 v[31:32], v[31:32], 1
	v_fma_f64 v[49:50], v[41:42], v[49:50], v[57:58]
	v_fma_f64 v[41:42], v[41:42], v[33:34], v[69:70]
	v_ldexp_f64 v[33:34], v[33:34], 1
	v_fma_f64 v[51:52], v[47:48], v[51:52], v[59:60]
	v_ldexp_f64 v[35:36], v[35:36], 1
	v_add_f64_e32 v[57:58], v[77:78], v[53:54]
	v_add_f64_e32 v[59:60], v[79:80], v[55:56]
	;; [unrolled: 1-line block ×4, first 2 shown]
	s_delay_alu instid0(VALU_DEP_4)
	v_add_f64_e64 v[77:78], v[57:58], -v[77:78]
	v_add_f64_e32 v[85:86], s[34:35], v[57:58]
	v_add_f64_e64 v[79:80], v[59:60], -v[79:80]
	v_add_f64_e32 v[87:88], s[34:35], v[59:60]
	;; [unrolled: 2-line block ×3, first 2 shown]
	v_add_f64_e64 v[83:84], v[63:64], -v[83:84]
	v_add_f64_e64 v[53:54], v[53:54], -v[77:78]
	v_add_f64_e32 v[77:78], s[34:35], v[63:64]
	v_add_f64_e64 v[55:56], v[55:56], -v[79:80]
	v_add_f64_e32 v[79:80], s[58:59], v[85:86]
	;; [unrolled: 2-line block ×4, first 2 shown]
	v_add_f64_e32 v[53:54], s[60:61], v[53:54]
	v_add_f64_e32 v[55:56], s[60:61], v[55:56]
	v_add_f64_e64 v[57:58], v[57:58], -v[79:80]
	v_add_f64_e32 v[79:80], s[58:59], v[77:78]
	v_add_f64_e32 v[49:50], s[60:61], v[49:50]
	v_add_f64_e64 v[59:60], v[59:60], -v[81:82]
	v_add_f64_e32 v[51:52], s[60:61], v[51:52]
	v_add_f64_e64 v[61:62], v[61:62], -v[83:84]
	v_add_f64_e32 v[45:46], v[53:54], v[57:58]
	v_add_f64_e64 v[63:64], v[63:64], -v[79:80]
	v_add_f64_e32 v[53:54], v[65:66], v[37:38]
	v_add_f64_e32 v[57:58], v[71:72], v[41:42]
	;; [unrolled: 1-line block ×8, first 2 shown]
	v_add_f64_e64 v[65:66], v[53:54], -v[65:66]
	v_add_f64_e64 v[71:72], v[57:58], -v[71:72]
	v_add_f64_e32 v[63:64], v[87:88], v[47:48]
	v_add_f64_e64 v[67:68], v[55:56], -v[67:68]
	v_add_f64_e64 v[75:76], v[59:60], -v[75:76]
	v_add_f64_e32 v[69:70], v[89:90], v[49:50]
	v_mul_f64_e32 v[79:80], v[53:54], v[61:62]
	v_add_f64_e32 v[73:74], v[77:78], v[51:52]
	v_add_f64_e64 v[37:38], v[37:38], -v[65:66]
	v_add_f64_e64 v[65:66], v[85:86], -v[61:62]
	v_add_f64_e64 v[41:42], v[41:42], -v[71:72]
	v_add_f64_e64 v[81:82], v[87:88], -v[63:64]
	v_mul_f64_e32 v[83:84], v[55:56], v[63:64]
	v_add_f64_e64 v[39:40], v[39:40], -v[67:68]
	v_add_f64_e64 v[85:86], v[89:90], -v[69:70]
	v_mul_f64_e32 v[87:88], v[57:58], v[69:70]
	v_add_f64_e64 v[43:44], v[43:44], -v[75:76]
	v_add_f64_e64 v[77:78], v[77:78], -v[73:74]
	v_mul_f64_e32 v[89:90], v[59:60], v[73:74]
	v_add_f64_e32 v[45:46], v[45:46], v[65:66]
	v_fma_f64 v[65:66], v[53:54], v[61:62], -v[79:80]
	v_add_f64_e32 v[47:48], v[47:48], v[81:82]
	v_fma_f64 v[81:82], v[55:56], v[63:64], -v[83:84]
	;; [unrolled: 2-line block ×4, first 2 shown]
	v_fma_f64 v[45:46], v[53:54], v[45:46], v[65:66]
	v_frexp_exp_i32_f64_e32 v53, v[16:17]
	v_fma_f64 v[47:48], v[55:56], v[47:48], v[81:82]
	v_frexp_exp_i32_f64_e32 v54, v[14:15]
	v_frexp_exp_i32_f64_e32 v55, v[12:13]
	v_fma_f64 v[49:50], v[57:58], v[49:50], v[85:86]
	v_frexp_exp_i32_f64_e32 v56, v[10:11]
	v_fma_f64 v[51:52], v[59:60], v[51:52], v[77:78]
	v_fma_f64 v[37:38], v[37:38], v[61:62], v[45:46]
	v_subrev_co_ci_u32_e64 v53, null, 0, v53, s0
	v_fma_f64 v[39:40], v[39:40], v[63:64], v[47:48]
	v_subrev_co_ci_u32_e64 v57, null, 0, v54, s1
	;; [unrolled: 2-line block ×3, first 2 shown]
	v_cvt_f64_i32_e32 v[53:54], v53
	v_subrev_co_ci_u32_e64 v59, null, 0, v56, vcc_lo
	v_cvt_f64_i32_e32 v[55:56], v57
	s_delay_alu instid0(VALU_DEP_4) | instskip(NEXT) | instid1(VALU_DEP_3)
	v_cvt_f64_i32_e32 v[57:58], v58
	v_cvt_f64_i32_e32 v[59:60], v59
	v_fma_f64 v[43:44], v[43:44], v[73:74], v[51:52]
	v_add_f64_e32 v[45:46], v[79:80], v[37:38]
	v_add_f64_e32 v[47:48], v[83:84], v[39:40]
	;; [unrolled: 1-line block ×3, first 2 shown]
	v_mul_f64_e32 v[77:78], s[54:55], v[53:54]
	v_mul_f64_e32 v[81:82], s[54:55], v[57:58]
	v_add_f64_e32 v[51:52], v[89:90], v[43:44]
	v_add_f64_e32 v[61:62], v[29:30], v[45:46]
	v_add_f64_e64 v[63:64], v[45:46], -v[79:80]
	v_mul_f64_e32 v[79:80], s[54:55], v[55:56]
	v_add_f64_e32 v[65:66], v[31:32], v[47:48]
	v_add_f64_e64 v[67:68], v[47:48], -v[83:84]
	v_mul_f64_e32 v[83:84], s[54:55], v[59:60]
	v_add_f64_e32 v[69:70], v[33:34], v[49:50]
	v_add_f64_e64 v[71:72], v[49:50], -v[87:88]
	v_add_f64_e32 v[73:74], v[35:36], v[51:52]
	v_add_f64_e64 v[75:76], v[51:52], -v[89:90]
	v_add_f64_e64 v[29:30], v[61:62], -v[29:30]
	;; [unrolled: 1-line block ×3, first 2 shown]
	v_fma_f64 v[63:64], v[53:54], s[54:55], -v[77:78]
	v_add_f64_e64 v[31:32], v[65:66], -v[31:32]
	v_add_f64_e64 v[39:40], v[39:40], -v[67:68]
	v_fma_f64 v[67:68], v[55:56], s[54:55], -v[79:80]
	v_add_f64_e64 v[33:34], v[69:70], -v[33:34]
	v_add_f64_e64 v[41:42], v[41:42], -v[71:72]
	;; [unrolled: 3-line block ×3, first 2 shown]
	v_add_f64_e64 v[29:30], v[45:46], -v[29:30]
	v_add_f64_e32 v[21:22], v[21:22], v[37:38]
	v_fma_f64 v[75:76], v[59:60], s[54:55], -v[83:84]
	v_add_f64_e64 v[31:32], v[47:48], -v[31:32]
	v_add_f64_e32 v[23:24], v[23:24], v[39:40]
	v_fma_f64 v[37:38], v[53:54], s[56:57], v[63:64]
	v_add_f64_e64 v[33:34], v[49:50], -v[33:34]
	v_add_f64_e32 v[25:26], v[25:26], v[41:42]
	v_fma_f64 v[39:40], v[55:56], s[56:57], v[67:68]
	v_fma_f64 v[41:42], v[57:58], s[56:57], v[71:72]
	v_add_f64_e64 v[35:36], v[51:52], -v[35:36]
	v_add_f64_e32 v[27:28], v[27:28], v[43:44]
	v_add_f64_e32 v[21:22], v[21:22], v[29:30]
	v_fma_f64 v[43:44], v[59:60], s[56:57], v[75:76]
	v_add_f64_e32 v[23:24], v[23:24], v[31:32]
	v_add_f64_e32 v[29:30], v[77:78], v[37:38]
	;; [unrolled: 1-line block ×9, first 2 shown]
	v_add_f64_e64 v[63:64], v[29:30], -v[77:78]
	v_add_f64_e32 v[49:50], v[69:70], v[25:26]
	v_add_f64_e64 v[67:68], v[31:32], -v[79:80]
	v_add_f64_e64 v[81:82], v[33:34], -v[81:82]
	v_add_f64_e32 v[51:52], v[73:74], v[27:28]
	v_add_f64_e32 v[53:54], v[29:30], v[45:46]
	v_add_f64_e64 v[61:62], v[45:46], -v[61:62]
	v_add_f64_e64 v[83:84], v[35:36], -v[83:84]
	v_add_f64_e32 v[55:56], v[31:32], v[47:48]
	v_add_f64_e64 v[37:38], v[37:38], -v[63:64]
	v_add_f64_e64 v[63:64], v[47:48], -v[65:66]
	;; [unrolled: 3-line block ×3, first 2 shown]
	v_add_f64_e64 v[41:42], v[41:42], -v[81:82]
	v_trunc_f64_e32 v[81:82], v[8:9]
	v_add_f64_e32 v[59:60], v[35:36], v[51:52]
	v_add_f64_e64 v[69:70], v[51:52], -v[73:74]
	v_add_f64_e64 v[71:72], v[53:54], -v[29:30]
	;; [unrolled: 1-line block ×5, first 2 shown]
	v_mul_f64_e32 v[83:84], 0.5, v[8:9]
	v_add_f64_e64 v[23:24], v[23:24], -v[63:64]
	v_add_f64_e64 v[77:78], v[57:58], -v[33:34]
	;; [unrolled: 1-line block ×3, first 2 shown]
	v_cmp_eq_f64_e64 s4, v[81:82], v[8:9]
	v_add_f64_e64 v[79:80], v[59:60], -v[35:36]
	v_add_f64_e64 v[27:28], v[27:28], -v[69:70]
	;; [unrolled: 1-line block ×4, first 2 shown]
	v_add_f64_e32 v[61:62], v[37:38], v[21:22]
	v_add_f64_e64 v[85:86], v[55:56], -v[75:76]
	v_add_f64_e64 v[47:48], v[47:48], -v[75:76]
	v_add_f64_e32 v[63:64], v[39:40], v[23:24]
	v_add_f64_e64 v[87:88], v[57:58], -v[77:78]
	v_add_f64_e64 v[49:50], v[49:50], -v[77:78]
	v_add_f64_e32 v[65:66], v[41:42], v[25:26]
	v_trunc_f64_e32 v[77:78], v[6:7]
	v_add_f64_e64 v[89:90], v[59:60], -v[79:80]
	v_add_f64_e64 v[51:52], v[51:52], -v[79:80]
	;; [unrolled: 1-line block ×3, first 2 shown]
	v_add_f64_e32 v[67:68], v[43:44], v[27:28]
	v_mul_f64_e32 v[79:80], 0.5, v[6:7]
	v_add_f64_e64 v[31:32], v[31:32], -v[85:86]
	v_trunc_f64_e32 v[85:86], v[2:3]
	v_add_f64_e64 v[33:34], v[33:34], -v[87:88]
	v_mul_f64_e32 v[87:88], 0.5, v[2:3]
	v_add_f64_e64 v[35:36], v[35:36], -v[89:90]
	v_trunc_f64_e32 v[89:90], v[4:5]
	v_add_f64_e32 v[29:30], v[45:46], v[29:30]
	v_add_f64_e64 v[45:46], v[61:62], -v[37:38]
	v_trunc_f64_e32 v[81:82], v[79:80]
	v_add_f64_e32 v[31:32], v[47:48], v[31:32]
	v_add_f64_e64 v[47:48], v[63:64], -v[39:40]
	v_cmp_eq_f64_e64 s5, v[85:86], v[2:3]
	v_add_f64_e32 v[33:34], v[49:50], v[33:34]
	v_add_f64_e64 v[49:50], v[65:66], -v[41:42]
	v_add_f64_e32 v[35:36], v[51:52], v[35:36]
	v_add_f64_e64 v[51:52], v[67:68], -v[43:44]
	;; [unrolled: 2-line block ×3, first 2 shown]
	v_add_f64_e64 v[21:22], v[21:22], -v[45:46]
	v_add_f64_e32 v[31:32], v[63:64], v[31:32]
	v_add_f64_e64 v[63:64], v[63:64], -v[47:48]
	v_add_f64_e64 v[23:24], v[23:24], -v[47:48]
	v_add_f64_e32 v[33:34], v[65:66], v[33:34]
	v_add_f64_e64 v[65:66], v[65:66], -v[49:50]
	v_add_f64_e64 v[25:26], v[25:26], -v[49:50]
	v_cmp_eq_f64_e64 s6, v[89:90], v[4:5]
	v_cmp_neq_f64_e64 s19, v[81:82], v[79:80]
	v_add_f64_e32 v[35:36], v[67:68], v[35:36]
	v_add_f64_e64 v[67:68], v[67:68], -v[51:52]
	v_add_f64_e32 v[69:70], v[53:54], v[29:30]
	v_add_f64_e64 v[37:38], v[37:38], -v[61:62]
	v_add_f64_e64 v[27:28], v[27:28], -v[51:52]
	v_add_f64_e32 v[71:72], v[55:56], v[31:32]
	v_add_f64_e64 v[39:40], v[39:40], -v[63:64]
	v_add_f64_e32 v[73:74], v[57:58], v[33:34]
	;; [unrolled: 2-line block ×3, first 2 shown]
	v_add_f64_e64 v[43:44], v[43:44], -v[67:68]
	v_add_f64_e64 v[45:46], v[69:70], -v[53:54]
	v_add_f64_e32 v[21:22], v[21:22], v[37:38]
	v_add_f64_e64 v[47:48], v[71:72], -v[55:56]
	v_add_f64_e32 v[23:24], v[23:24], v[39:40]
	;; [unrolled: 2-line block ×4, first 2 shown]
	v_add_f64_e64 v[29:30], v[29:30], -v[45:46]
	v_add_f64_e64 v[31:32], v[31:32], -v[47:48]
	;; [unrolled: 1-line block ×4, first 2 shown]
	s_delay_alu instid0(VALU_DEP_4) | instskip(NEXT) | instid1(VALU_DEP_4)
	v_add_f64_e32 v[21:22], v[21:22], v[29:30]
	v_add_f64_e32 v[23:24], v[23:24], v[31:32]
	s_delay_alu instid0(VALU_DEP_4) | instskip(NEXT) | instid1(VALU_DEP_4)
	v_add_f64_e32 v[25:26], v[25:26], v[33:34]
	v_add_f64_e32 v[27:28], v[27:28], v[35:36]
	;; [unrolled: 3-line block ×4, first 2 shown]
	s_delay_alu instid0(VALU_DEP_4)
	v_add_f64_e64 v[37:38], v[29:30], -v[69:70]
	v_mul_f64_e32 v[39:40], v[6:7], v[29:30]
	v_add_f64_e64 v[41:42], v[31:32], -v[71:72]
	v_mul_f64_e32 v[43:44], v[8:9], v[31:32]
	;; [unrolled: 2-line block ×4, first 2 shown]
	v_add_f64_e64 v[21:22], v[21:22], -v[37:38]
	v_fma_f64 v[29:30], v[6:7], v[29:30], -v[39:40]
	v_cmp_class_f64_e64 vcc_lo, v[39:40], 0x204
	v_add_f64_e64 v[23:24], v[23:24], -v[41:42]
	v_fma_f64 v[31:32], v[8:9], v[31:32], -v[43:44]
	v_cmp_class_f64_e64 s0, v[43:44], 0x204
	v_add_f64_e64 v[25:26], v[25:26], -v[45:46]
	v_fma_f64 v[33:34], v[2:3], v[33:34], -v[47:48]
	v_cmp_class_f64_e64 s1, v[47:48], 0x204
	;; [unrolled: 3-line block ×3, first 2 shown]
	v_fma_f64 v[21:22], v[6:7], v[21:22], v[29:30]
	v_fma_f64 v[23:24], v[8:9], v[23:24], v[31:32]
	;; [unrolled: 1-line block ×4, first 2 shown]
	s_delay_alu instid0(VALU_DEP_4) | instskip(NEXT) | instid1(VALU_DEP_4)
	v_add_f64_e32 v[29:30], v[39:40], v[21:22]
	v_add_f64_e32 v[31:32], v[43:44], v[23:24]
	s_delay_alu instid0(VALU_DEP_4) | instskip(NEXT) | instid1(VALU_DEP_4)
	v_add_f64_e32 v[33:34], v[47:48], v[25:26]
	v_add_f64_e32 v[35:36], v[51:52], v[27:28]
	s_wait_alu 0xfffd
	s_delay_alu instid0(VALU_DEP_4)
	v_dual_cndmask_b32 v38, v30, v40 :: v_dual_cndmask_b32 v37, v29, v39
	v_add_f64_e64 v[29:30], v[29:30], -v[39:40]
	s_wait_alu 0xf1ff
	v_cndmask_b32_e64 v42, v32, v44, s0
	v_cndmask_b32_e64 v41, v31, v43, s0
	v_add_f64_e64 v[31:32], v[31:32], -v[43:44]
	v_cndmask_b32_e64 v46, v34, v48, s1
	v_cndmask_b32_e64 v45, v33, v47, s1
	v_mul_f64_e32 v[53:54], s[62:63], v[37:38]
	v_mul_f64_e32 v[55:56], s[62:63], v[41:42]
	v_cmp_nlt_f64_e64 s14, 0x40900000, v[37:38]
	v_cmp_nlt_f64_e64 s11, 0x40900000, v[41:42]
	v_mul_f64_e32 v[57:58], s[62:63], v[45:46]
	v_cmp_neq_f64_e64 s7, 0x7ff00000, |v[37:38]|
	v_cmp_ngt_f64_e64 s15, 0xc090cc00, v[37:38]
	v_add_f64_e64 v[33:34], v[33:34], -v[47:48]
	v_cmp_nlt_f64_e64 s12, 0x40900000, v[45:46]
	v_cmp_ngt_f64_e64 s16, 0xc090cc00, v[41:42]
	v_cmp_ngt_f64_e64 s17, 0xc090cc00, v[45:46]
	v_cmp_neq_f64_e64 s8, 0x7ff00000, |v[41:42]|
	v_cmp_neq_f64_e64 s9, 0x7ff00000, |v[45:46]|
	v_cmp_gt_f64_e64 s0, 0, v[8:9]
	v_cmp_gt_f64_e32 vcc_lo, 0, v[6:7]
	v_cmp_gt_f64_e64 s1, 0, v[2:3]
	v_cndmask_b32_e64 v50, v36, v52, s2
	v_cndmask_b32_e64 v49, v35, v51, s2
	v_add_f64_e64 v[35:36], v[35:36], -v[51:52]
	v_cmp_eq_f64_e64 s2, v[77:78], v[6:7]
	v_mul_f64_e32 v[77:78], 0.5, v[4:5]
	v_add_f64_e64 v[21:22], v[21:22], -v[29:30]
	v_mul_f64_e32 v[59:60], s[62:63], v[49:50]
	v_cmp_nlt_f64_e64 s13, 0x40900000, v[49:50]
	v_cmp_ngt_f64_e64 s18, 0xc090cc00, v[49:50]
	v_cmp_neq_f64_e64 s10, 0x7ff00000, |v[49:50]|
	v_rndne_f64_e32 v[53:54], v[53:54]
	v_rndne_f64_e32 v[55:56], v[55:56]
	v_add_f64_e64 v[23:24], v[23:24], -v[31:32]
	v_rndne_f64_e32 v[57:58], v[57:58]
	v_add_f64_e64 v[25:26], v[25:26], -v[33:34]
	v_add_f64_e64 v[27:28], v[27:28], -v[35:36]
	s_wait_alu 0xf1ff
	v_cndmask_b32_e64 v22, 0, v22, s7
	v_rndne_f64_e32 v[59:60], v[59:60]
	v_cndmask_b32_e64 v21, 0, v21, s7
	s_and_b32 s7, s15, s14
	v_fma_f64 v[61:62], v[53:54], s[64:65], v[37:38]
	v_fma_f64 v[63:64], v[55:56], s[64:65], v[41:42]
	v_cvt_i32_f64_e32 v91, v[53:54]
	v_cvt_i32_f64_e32 v92, v[55:56]
	v_fma_f64 v[65:66], v[57:58], s[64:65], v[45:46]
	v_cvt_i32_f64_e32 v93, v[57:58]
	v_cndmask_b32_e64 v24, 0, v24, s8
	v_cndmask_b32_e64 v23, 0, v23, s8
	;; [unrolled: 1-line block ×6, first 2 shown]
	v_fma_f64 v[67:68], v[59:60], s[64:65], v[49:50]
	v_cvt_i32_f64_e32 v94, v[59:60]
	v_fma_f64 v[61:62], v[53:54], s[66:67], v[61:62]
	v_fma_f64 v[63:64], v[55:56], s[66:67], v[63:64]
	;; [unrolled: 1-line block ×4, first 2 shown]
	s_delay_alu instid0(VALU_DEP_4) | instskip(NEXT) | instid1(VALU_DEP_4)
	v_fma_f64 v[69:70], v[61:62], s[70:71], s[68:69]
	v_fma_f64 v[71:72], v[63:64], s[70:71], s[68:69]
	s_delay_alu instid0(VALU_DEP_4) | instskip(NEXT) | instid1(VALU_DEP_4)
	v_fma_f64 v[73:74], v[65:66], s[70:71], s[68:69]
	v_fma_f64 v[75:76], v[67:68], s[70:71], s[68:69]
	;; [unrolled: 3-line block ×18, first 2 shown]
	s_delay_alu instid0(VALU_DEP_4) | instskip(NEXT) | instid1(VALU_DEP_4)
	v_fma_f64 v[69:70], v[61:62], v[69:70], 1.0
	v_fma_f64 v[71:72], v[63:64], v[71:72], 1.0
	s_delay_alu instid0(VALU_DEP_4) | instskip(NEXT) | instid1(VALU_DEP_4)
	v_fma_f64 v[73:74], v[65:66], v[73:74], 1.0
	v_fma_f64 v[75:76], v[67:68], v[75:76], 1.0
	;; [unrolled: 3-line block ×3, first 2 shown]
	v_trunc_f64_e32 v[61:62], v[83:84]
	v_trunc_f64_e32 v[63:64], v[87:88]
	v_fma_f64 v[57:58], v[65:66], v[73:74], 1.0
	v_fma_f64 v[59:60], v[67:68], v[75:76], 1.0
	v_ldexp_f64 v[39:40], v[53:54], v91
	v_ldexp_f64 v[43:44], v[55:56], v92
	v_trunc_f64_e32 v[53:54], v[77:78]
	v_cmp_neq_f64_e64 s20, v[61:62], v[83:84]
	v_ldexp_f64 v[47:48], v[57:58], v93
	v_cmp_neq_f64_e64 s21, v[63:64], v[87:88]
	v_ldexp_f64 v[51:52], v[59:60], v94
	v_cndmask_b32_e64 v29, 0x7ff00000, v40, s14
	v_cndmask_b32_e64 v31, 0x7ff00000, v44, s11
	v_cmp_neq_f64_e64 s22, v[53:54], v[77:78]
	v_cmp_eq_f64_e64 s14, 0, v[10:11]
	v_cndmask_b32_e64 v33, 0x7ff00000, v48, s12
	v_cndmask_b32_e64 v30, 0, v29, s15
	s_wait_alu 0xfffe
	v_cndmask_b32_e64 v29, 0, v39, s7
	s_and_b32 s7, s16, s11
	v_cndmask_b32_e64 v32, 0, v31, s16
	s_wait_alu 0xfffe
	v_cndmask_b32_e64 v31, 0, v43, s7
	s_and_b32 s7, s17, s12
	v_cndmask_b32_e64 v34, 0, v33, s17
	s_wait_alu 0xfffe
	v_cndmask_b32_e64 v33, 0, v47, s7
	s_and_b32 s7, s18, s13
	v_fma_f64 v[21:22], v[29:30], v[21:22], v[29:30]
	v_fma_f64 v[23:24], v[31:32], v[23:24], v[31:32]
	v_cmp_class_f64_e64 s8, v[31:32], 0x204
	v_cmp_eq_f64_e64 s12, 0, v[14:15]
	v_cmp_eq_f64_e64 s11, 0, v[16:17]
	v_fma_f64 v[25:26], v[33:34], v[25:26], v[33:34]
	v_cmp_class_f64_e64 s9, v[33:34], 0x204
	s_and_b32 s15, s2, s19
	s_and_b32 s16, s4, s20
	s_wait_alu 0xfffe
	v_cndmask_b32_e64 v37, 0x3ff00000, v17, s15
	v_cndmask_b32_e64 v38, 0x3ff00000, v15, s16
	s_and_b32 s17, s5, s21
	s_wait_alu 0xfffe
	v_cndmask_b32_e64 v39, 0x3ff00000, v13, s17
	v_cndmask_b32_e64 v35, 0x7ff00000, v52, s13
	v_cmp_eq_f64_e64 s13, 0, v[12:13]
	s_delay_alu instid0(VALU_DEP_2)
	v_cndmask_b32_e64 v36, 0, v35, s18
	v_cndmask_b32_e64 v35, 0, v51, s7
	v_cmp_class_f64_e64 s7, v[29:30], 0x204
	s_and_b32 s18, s6, s22
	s_wait_alu 0xfffe
	v_cndmask_b32_e64 v40, 0x3ff00000, v11, s18
	v_fma_f64 v[27:28], v[35:36], v[27:28], v[35:36]
	v_cmp_class_f64_e64 s10, v[35:36], 0x204
	v_cndmask_b32_e64 v24, v24, v32, s8
	s_xor_b32 s0, s0, s12
	v_cndmask_b32_e64 v23, v23, v31, s8
	v_cmp_neq_f64_e64 s8, |v[16:17]|, 1.0
	v_cndmask_b32_e64 v26, v26, v34, s9
	v_bfi_b32 v24, 0x7fffffff, v24, v38
	v_cndmask_b32_e64 v25, v25, v33, s9
	v_cndmask_b32_e64 v32, 0, v23, s4
	s_delay_alu instid0(VALU_DEP_4) | instskip(NEXT) | instid1(VALU_DEP_4)
	v_bfi_b32 v26, 0x7fffffff, v26, v39
	v_cndmask_b32_e64 v31, 0x7ff80000, v24, s4
	v_cmp_gt_f64_e64 s4, 0, v[14:15]
	v_cndmask_b32_e64 v34, 0, v25, s5
	s_delay_alu instid0(VALU_DEP_4)
	v_cndmask_b32_e64 v33, 0x7ff80000, v26, s5
	v_cmp_gt_f64_e64 s5, 0, v[12:13]
	s_xor_b32 s1, s1, s13
	v_cndmask_b32_e64 v22, v22, v30, s7
	v_cndmask_b32_e64 v21, v21, v29, s7
	s_xor_b32 s7, s89, s93
	v_cndmask_b32_e64 v28, v28, v36, s10
	s_delay_alu instid0(VALU_DEP_3)
	v_bfi_b32 v22, 0x7fffffff, v22, v37
	s_wait_alu 0xfffe
	v_cndmask_b32_e64 v37, 0x7ff00000, 0, s7
	s_xor_b32 s7, vcc_lo, s11
	v_cmp_neq_f64_e64 vcc_lo, |v[14:15]|, 1.0
	v_bfi_b32 v28, 0x7fffffff, v28, v40
	v_cndmask_b32_e64 v40, 0x7ff00000, 0, s0
	s_xor_b32 s0, s91, s97
	v_cndmask_b32_e64 v29, 0x7ff80000, v22, s2
	s_wait_alu 0xfffe
	v_cndmask_b32_e64 v41, 0x7ff00000, 0, s0
	v_cmp_neq_f64_e64 s0, |v[12:13]|, 1.0
	v_cndmask_b32_e64 v30, 0, v21, s2
	v_cmp_gt_f64_e64 s2, 0, v[16:17]
	v_cndmask_b32_e64 v38, 0x7ff00000, 0, s7
	s_xor_b32 s7, s90, s95
	v_cndmask_b32_e64 v27, v27, v35, s10
	s_wait_alu 0xfffe
	v_cndmask_b32_e64 v39, 0x7ff00000, 0, s7
	v_cndmask_b32_e64 v35, 0x7ff80000, v28, s6
	s_xor_b32 s7, s92, s99
	v_cndmask_b32_e64 v23, v23, v32, s4
	v_cndmask_b32_e64 v36, 0, v27, s6
	v_cmp_gt_f64_e64 s6, 0, v[10:11]
	v_cndmask_b32_e64 v24, v24, v31, s4
	v_cmp_class_f64_e64 s4, v[4:5], 0x204
	s_wait_alu 0xfffe
	v_cndmask_b32_e64 v42, 0x7ff00000, 0, s7
	v_cmp_neq_f64_e64 s7, |v[10:11]|, 1.0
	v_cndmask_b32_e64 v32, 0, v15, s16
	v_cndmask_b32_e64 v37, 0x3ff00000, v37, s8
	;; [unrolled: 1-line block ×5, first 2 shown]
	v_bfi_b32 v32, 0x7fffffff, v40, v32
	s_or_b32 s5, s14, s100
	v_bfi_b32 v31, 0x7fffffff, v38, v31
	v_cndmask_b32_e64 v33, 0, v13, s17
	v_cndmask_b32_e64 v34, 0, v11, s18
	s_wait_alu 0xfffd
	v_cndmask_b32_e32 v39, 0x3ff00000, v39, vcc_lo
	v_cmp_class_f64_e64 vcc_lo, v[6:7], 0x204
	v_cndmask_b32_e64 v41, 0x3ff00000, v41, s0
	v_cmp_class_f64_e64 s0, v[8:9], 0x204
	v_cndmask_b32_e64 v21, v21, v30, s2
	v_cndmask_b32_e64 v22, v22, v29, s2
	v_cmp_class_f64_e64 s2, v[2:3], 0x204
	v_cndmask_b32_e64 v29, 0x7ff00000, 0, s1
	s_xor_b32 s1, s3, s14
	s_or_b32 s3, s13, s98
	s_wait_alu 0xfffe
	v_cndmask_b32_e64 v30, 0x7ff00000, 0, s1
	s_or_b32 s1, s12, s96
	v_bfi_b32 v29, 0x7fffffff, v29, v33
	v_cndmask_b32_e64 v27, v27, v36, s6
	v_cndmask_b32_e64 v28, v28, v35, s6
	s_or_b32 s6, s11, s94
	v_bfi_b32 v30, 0x7fffffff, v30, v34
	v_cndmask_b32_e64 v42, 0x3ff00000, v42, s7
	s_delay_alu instid0(VALU_DEP_1) | instskip(NEXT) | instid1(VALU_DEP_1)
	v_cndmask_b32_e64 v28, v28, v42, s4
	v_cndmask_b32_e64 v28, v28, v30, s5
	s_wait_alu 0xfffd
	v_cndmask_b32_e32 v22, v22, v37, vcc_lo
	s_wait_alu 0xfffe
	s_delay_alu instid0(VALU_DEP_1)
	v_cndmask_b32_e64 v22, v22, v31, s6
	v_cndmask_b32_e64 v24, v24, v39, s0
	s_or_b32 s0, s1, s0
	s_or_b32 s6, s6, vcc_lo
	v_cndmask_b32_e64 v26, v26, v41, s2
	v_cmp_o_f64_e32 vcc_lo, v[16:17], v[6:7]
	v_cndmask_b32_e64 v24, v24, v32, s1
	s_or_b32 s1, s3, s2
	s_or_b32 s2, s5, s4
	s_wait_alu 0xfffe
	v_cndmask_b32_e64 v6, v23, 0, s0
	v_cmp_o_f64_e64 s0, v[14:15], v[8:9]
	v_cndmask_b32_e64 v7, v25, 0, s1
	v_cmp_o_f64_e64 s1, v[12:13], v[2:3]
	;; [unrolled: 2-line block ×3, first 2 shown]
	v_cndmask_b32_e64 v26, v26, v29, s3
	v_add_co_u32 v0, s3, v0, s29
	s_wait_alu 0xf1ff
	v_add_co_ci_u32_e64 v1, null, 0, v1, s3
	v_cndmask_b32_e64 v21, v21, 0, s6
	v_add_co_u32 v10, s3, s26, v19
	s_delay_alu instid0(VALU_DEP_3)
	v_lshlrev_b64_e32 v[2:3], 2, v[0:1]
	s_wait_alu 0xf1ff
	v_add_co_ci_u32_e64 v11, null, s27, v20, s3
	v_add_co_u32 v19, s3, v19, s88
	s_wait_alu 0xf1ff
	v_add_co_ci_u32_e64 v20, null, 0, v20, s3
	v_cmp_le_i64_e64 s4, s[30:31], v[2:3]
	s_or_b32 s23, s4, s23
	s_wait_alu 0xfffd
	v_cndmask_b32_e32 v2, 0, v21, vcc_lo
	v_cndmask_b32_e32 v3, 0x7ff80000, v22, vcc_lo
	v_cndmask_b32_e64 v4, 0, v6, s0
	v_cndmask_b32_e64 v5, 0x7ff80000, v24, s0
	;; [unrolled: 1-line block ×6, first 2 shown]
	s_clause 0x1
	global_store_b128 v[10:11], v[2:5], off
	global_store_b128 v[10:11], v[6:9], off offset:16
	s_wait_alu 0xfffe
	s_and_not1_b32 exec_lo, exec_lo, s23
	s_cbranch_execnz .LBB77_24
.LBB77_25:
	s_endpgm
	.section	.rodata,"a",@progbits
	.p2align	6, 0x0
	.amdhsa_kernel _ZN2at6native12_GLOBAL__N_125multi_tensor_apply_kernelINS1_18TensorListMetadataILi2EEENS1_21BinaryOpScalarFunctorIdLi2ELi1ELi1EEEJNS1_21reverse_power_functorIdEEdEEEvT_T0_DpT1_
		.amdhsa_group_segment_fixed_size 0
		.amdhsa_private_segment_fixed_size 0
		.amdhsa_kernarg_size 3416
		.amdhsa_user_sgpr_count 2
		.amdhsa_user_sgpr_dispatch_ptr 0
		.amdhsa_user_sgpr_queue_ptr 0
		.amdhsa_user_sgpr_kernarg_segment_ptr 1
		.amdhsa_user_sgpr_dispatch_id 0
		.amdhsa_user_sgpr_private_segment_size 0
		.amdhsa_wavefront_size32 1
		.amdhsa_uses_dynamic_stack 0
		.amdhsa_enable_private_segment 0
		.amdhsa_system_sgpr_workgroup_id_x 1
		.amdhsa_system_sgpr_workgroup_id_y 0
		.amdhsa_system_sgpr_workgroup_id_z 0
		.amdhsa_system_sgpr_workgroup_info 0
		.amdhsa_system_vgpr_workitem_id 0
		.amdhsa_next_free_vgpr 95
		.amdhsa_next_free_sgpr 101
		.amdhsa_reserve_vcc 1
		.amdhsa_float_round_mode_32 0
		.amdhsa_float_round_mode_16_64 0
		.amdhsa_float_denorm_mode_32 3
		.amdhsa_float_denorm_mode_16_64 3
		.amdhsa_fp16_overflow 0
		.amdhsa_workgroup_processor_mode 1
		.amdhsa_memory_ordered 1
		.amdhsa_forward_progress 1
		.amdhsa_inst_pref_size 118
		.amdhsa_round_robin_scheduling 0
		.amdhsa_exception_fp_ieee_invalid_op 0
		.amdhsa_exception_fp_denorm_src 0
		.amdhsa_exception_fp_ieee_div_zero 0
		.amdhsa_exception_fp_ieee_overflow 0
		.amdhsa_exception_fp_ieee_underflow 0
		.amdhsa_exception_fp_ieee_inexact 0
		.amdhsa_exception_int_div_zero 0
	.end_amdhsa_kernel
	.section	.text._ZN2at6native12_GLOBAL__N_125multi_tensor_apply_kernelINS1_18TensorListMetadataILi2EEENS1_21BinaryOpScalarFunctorIdLi2ELi1ELi1EEEJNS1_21reverse_power_functorIdEEdEEEvT_T0_DpT1_,"axG",@progbits,_ZN2at6native12_GLOBAL__N_125multi_tensor_apply_kernelINS1_18TensorListMetadataILi2EEENS1_21BinaryOpScalarFunctorIdLi2ELi1ELi1EEEJNS1_21reverse_power_functorIdEEdEEEvT_T0_DpT1_,comdat
.Lfunc_end77:
	.size	_ZN2at6native12_GLOBAL__N_125multi_tensor_apply_kernelINS1_18TensorListMetadataILi2EEENS1_21BinaryOpScalarFunctorIdLi2ELi1ELi1EEEJNS1_21reverse_power_functorIdEEdEEEvT_T0_DpT1_, .Lfunc_end77-_ZN2at6native12_GLOBAL__N_125multi_tensor_apply_kernelINS1_18TensorListMetadataILi2EEENS1_21BinaryOpScalarFunctorIdLi2ELi1ELi1EEEJNS1_21reverse_power_functorIdEEdEEEvT_T0_DpT1_
                                        ; -- End function
	.set _ZN2at6native12_GLOBAL__N_125multi_tensor_apply_kernelINS1_18TensorListMetadataILi2EEENS1_21BinaryOpScalarFunctorIdLi2ELi1ELi1EEEJNS1_21reverse_power_functorIdEEdEEEvT_T0_DpT1_.num_vgpr, 95
	.set _ZN2at6native12_GLOBAL__N_125multi_tensor_apply_kernelINS1_18TensorListMetadataILi2EEENS1_21BinaryOpScalarFunctorIdLi2ELi1ELi1EEEJNS1_21reverse_power_functorIdEEdEEEvT_T0_DpT1_.num_agpr, 0
	.set _ZN2at6native12_GLOBAL__N_125multi_tensor_apply_kernelINS1_18TensorListMetadataILi2EEENS1_21BinaryOpScalarFunctorIdLi2ELi1ELi1EEEJNS1_21reverse_power_functorIdEEdEEEvT_T0_DpT1_.numbered_sgpr, 101
	.set _ZN2at6native12_GLOBAL__N_125multi_tensor_apply_kernelINS1_18TensorListMetadataILi2EEENS1_21BinaryOpScalarFunctorIdLi2ELi1ELi1EEEJNS1_21reverse_power_functorIdEEdEEEvT_T0_DpT1_.num_named_barrier, 0
	.set _ZN2at6native12_GLOBAL__N_125multi_tensor_apply_kernelINS1_18TensorListMetadataILi2EEENS1_21BinaryOpScalarFunctorIdLi2ELi1ELi1EEEJNS1_21reverse_power_functorIdEEdEEEvT_T0_DpT1_.private_seg_size, 0
	.set _ZN2at6native12_GLOBAL__N_125multi_tensor_apply_kernelINS1_18TensorListMetadataILi2EEENS1_21BinaryOpScalarFunctorIdLi2ELi1ELi1EEEJNS1_21reverse_power_functorIdEEdEEEvT_T0_DpT1_.uses_vcc, 1
	.set _ZN2at6native12_GLOBAL__N_125multi_tensor_apply_kernelINS1_18TensorListMetadataILi2EEENS1_21BinaryOpScalarFunctorIdLi2ELi1ELi1EEEJNS1_21reverse_power_functorIdEEdEEEvT_T0_DpT1_.uses_flat_scratch, 0
	.set _ZN2at6native12_GLOBAL__N_125multi_tensor_apply_kernelINS1_18TensorListMetadataILi2EEENS1_21BinaryOpScalarFunctorIdLi2ELi1ELi1EEEJNS1_21reverse_power_functorIdEEdEEEvT_T0_DpT1_.has_dyn_sized_stack, 0
	.set _ZN2at6native12_GLOBAL__N_125multi_tensor_apply_kernelINS1_18TensorListMetadataILi2EEENS1_21BinaryOpScalarFunctorIdLi2ELi1ELi1EEEJNS1_21reverse_power_functorIdEEdEEEvT_T0_DpT1_.has_recursion, 0
	.set _ZN2at6native12_GLOBAL__N_125multi_tensor_apply_kernelINS1_18TensorListMetadataILi2EEENS1_21BinaryOpScalarFunctorIdLi2ELi1ELi1EEEJNS1_21reverse_power_functorIdEEdEEEvT_T0_DpT1_.has_indirect_call, 0
	.section	.AMDGPU.csdata,"",@progbits
; Kernel info:
; codeLenInByte = 15052
; TotalNumSgprs: 103
; NumVgprs: 95
; ScratchSize: 0
; MemoryBound: 0
; FloatMode: 240
; IeeeMode: 1
; LDSByteSize: 0 bytes/workgroup (compile time only)
; SGPRBlocks: 0
; VGPRBlocks: 11
; NumSGPRsForWavesPerEU: 103
; NumVGPRsForWavesPerEU: 95
; Occupancy: 16
; WaveLimiterHint : 0
; COMPUTE_PGM_RSRC2:SCRATCH_EN: 0
; COMPUTE_PGM_RSRC2:USER_SGPR: 2
; COMPUTE_PGM_RSRC2:TRAP_HANDLER: 0
; COMPUTE_PGM_RSRC2:TGID_X_EN: 1
; COMPUTE_PGM_RSRC2:TGID_Y_EN: 0
; COMPUTE_PGM_RSRC2:TGID_Z_EN: 0
; COMPUTE_PGM_RSRC2:TIDIG_COMP_CNT: 0
	.section	.text._ZN2at6native12_GLOBAL__N_125multi_tensor_apply_kernelINS1_18TensorListMetadataILi2EEENS1_21BinaryOpScalarFunctorIfLi2ELi1ELi1EEEJNS1_21reverse_power_functorIfEEfEEEvT_T0_DpT1_,"axG",@progbits,_ZN2at6native12_GLOBAL__N_125multi_tensor_apply_kernelINS1_18TensorListMetadataILi2EEENS1_21BinaryOpScalarFunctorIfLi2ELi1ELi1EEEJNS1_21reverse_power_functorIfEEfEEEvT_T0_DpT1_,comdat
	.globl	_ZN2at6native12_GLOBAL__N_125multi_tensor_apply_kernelINS1_18TensorListMetadataILi2EEENS1_21BinaryOpScalarFunctorIfLi2ELi1ELi1EEEJNS1_21reverse_power_functorIfEEfEEEvT_T0_DpT1_ ; -- Begin function _ZN2at6native12_GLOBAL__N_125multi_tensor_apply_kernelINS1_18TensorListMetadataILi2EEENS1_21BinaryOpScalarFunctorIfLi2ELi1ELi1EEEJNS1_21reverse_power_functorIfEEfEEEvT_T0_DpT1_
	.p2align	8
	.type	_ZN2at6native12_GLOBAL__N_125multi_tensor_apply_kernelINS1_18TensorListMetadataILi2EEENS1_21BinaryOpScalarFunctorIfLi2ELi1ELi1EEEJNS1_21reverse_power_functorIfEEfEEEvT_T0_DpT1_,@function
_ZN2at6native12_GLOBAL__N_125multi_tensor_apply_kernelINS1_18TensorListMetadataILi2EEENS1_21BinaryOpScalarFunctorIfLi2ELi1ELi1EEEJNS1_21reverse_power_functorIfEEfEEEvT_T0_DpT1_: ; @_ZN2at6native12_GLOBAL__N_125multi_tensor_apply_kernelINS1_18TensorListMetadataILi2EEENS1_21BinaryOpScalarFunctorIfLi2ELi1ELi1EEEJNS1_21reverse_power_functorIfEEfEEEvT_T0_DpT1_
; %bb.0:
	s_load_u8 s8, s[0:1], ttmp9 offset:0x600
	s_mov_b32 s2, ttmp9
	s_mov_b32 s3, 0
	s_delay_alu instid0(SALU_CYCLE_1)
	s_mul_u64 s[4:5], s[2:3], 3
	s_add_nc_u64 s[6:7], s[0:1], s[2:3]
	s_mov_b32 s11, s3
	s_add_nc_u64 s[4:5], s[6:7], s[4:5]
	s_mov_b32 s13, s3
	s_load_b32 s4, s[4:5], 0x740
	s_wait_kmcnt 0x0
	s_lshl_b32 s2, s8, 3
	s_clause 0x3
	s_load_b64 s[22:23], s[0:1], s2 offset:0x0
	s_load_b64 s[24:25], s[0:1], s2 offset:0x200
	s_load_b64 s[6:7], s[0:1], s2 offset:0x400
	s_load_b32 s28, s[0:1], 0xc4c
	s_ashr_i32 s5, s4, 31
	s_delay_alu instid0(SALU_CYCLE_1)
	s_lshl_b64 s[8:9], s[4:5], 18
	s_lshl_b64 s[4:5], s[4:5], 16
	s_wait_kmcnt 0x0
	s_add_nc_u64 s[14:15], s[22:23], s[8:9]
	s_and_b32 s10, s24, 15
	s_and_b32 s12, s6, 3
	;; [unrolled: 1-line block ×3, first 2 shown]
	s_or_b64 s[10:11], s[10:11], s[12:13]
	s_delay_alu instid0(SALU_CYCLE_1)
	s_or_b64 s[2:3], s[10:11], s[2:3]
	s_sub_nc_u64 s[10:11], s[6:7], s[4:5]
	s_cmp_eq_u64 s[2:3], 0
	s_mov_b32 s2, -1
	s_cbranch_scc1 .LBB78_21
; %bb.1:
	v_cmp_lt_i64_e64 s2, s[10:11], 1
	s_and_b32 vcc_lo, exec_lo, s2
	s_cbranch_vccnz .LBB78_20
; %bb.2:
	s_load_b32 s2, s[0:1], 0xc5c
	v_cmp_gt_i64_e64 s3, 0x10000, s[10:11]
	v_cmp_gt_u64_e64 s4, 0x10000, s[10:11]
	v_dual_mov_b32 v10, 0 :: v_dual_lshlrev_b32 v9, 2, v0
	s_mov_b32 s13, 0
	s_mov_b64 s[18:19], 0
	s_and_b32 s3, s3, exec_lo
	s_cselect_b32 s15, s11, 0
	s_cselect_b32 s14, s10, 0x10000
	v_add_co_u32 v1, s5, s22, v9
	s_delay_alu instid0(VALU_DEP_1)
	v_add_co_ci_u32_e64 v2, null, s23, 0, s5
	s_mov_b32 s21, 0x3e76c4e1
	s_wait_kmcnt 0x0
	s_and_b32 s2, s2, 0xffff
	s_and_b32 s3, s4, exec_lo
	s_cselect_b32 s17, s11, 0
	s_cselect_b32 s16, s10, 0x10000
	s_lshl_b32 s3, s2, 1
	s_cmp_eq_f32 s28, 1.0
	v_add_co_u32 v3, s4, s24, v9
	s_wait_alu 0xf1ff
	v_add_co_ci_u32_e64 v4, null, s25, 0, s4
	s_mul_i32 s4, s2, 3
	s_cselect_b32 s7, -1, 0
	s_lshl_b32 s5, s2, 3
	v_mad_co_u64_u32 v[7:8], null, s2, 12, v[9:10]
	s_wait_alu 0xfffe
	v_add_co_u32 v14, s5, s5, v9
	v_add_co_u32 v9, s4, s4, v0
	s_wait_alu 0xf1ff
	v_add_co_ci_u32_e64 v10, null, 0, 0, s4
	v_add_co_u32 v13, s4, v0, s2
	v_add_co_u32 v5, vcc_lo, s22, v7
	v_add_co_ci_u32_e64 v15, null, 0, 0, s5
	s_delay_alu instid0(VALU_DEP_3)
	v_lshlrev_b32_e32 v21, 2, v13
	v_add_co_ci_u32_e64 v6, null, s23, v8, vcc_lo
	v_add_co_u32 v7, vcc_lo, s24, v7
	v_add_co_u32 v17, s3, s3, v0
	s_wait_alu 0xfffd
	v_add_co_ci_u32_e64 v8, null, s25, v8, vcc_lo
	v_add_co_u32 v11, vcc_lo, s22, v14
	s_wait_alu 0xf1ff
	v_add_co_ci_u32_e64 v18, null, 0, 0, s3
	v_add_co_u32 v19, s3, s22, v21
	s_wait_alu 0xfffd
	v_add_co_ci_u32_e64 v12, null, s23, v15, vcc_lo
	v_add_co_u32 v14, vcc_lo, s24, v14
	s_wait_alu 0xf1ff
	v_add_co_ci_u32_e64 v20, null, s23, 0, s3
	v_add_co_u32 v21, s3, s24, v21
	s_wait_alu 0xfffd
	v_add_co_ci_u32_e64 v15, null, s25, v15, vcc_lo
	v_add_co_ci_u32_e64 v16, null, 0, 0, s4
	s_wait_alu 0xf1ff
	v_add_co_ci_u32_e64 v22, null, s25, 0, s3
	s_lshl_b32 s12, s2, 2
	s_lshl_b32 s20, s2, 4
	s_branch .LBB78_4
.LBB78_3:                               ;   in Loop: Header=BB78_4 Depth=1
	s_wait_alu 0xfffe
	s_or_b32 exec_lo, exec_lo, s5
	v_add_co_u32 v1, vcc_lo, v1, s20
	s_wait_alu 0xfffd
	v_add_co_ci_u32_e64 v2, null, 0, v2, vcc_lo
	v_add_co_u32 v3, vcc_lo, v3, s20
	s_wait_alu 0xfffd
	v_add_co_ci_u32_e64 v4, null, 0, v4, vcc_lo
	;; [unrolled: 3-line block ×5, first 2 shown]
	v_add_co_u32 v14, vcc_lo, v14, s20
	s_add_nc_u64 s[18:19], s[18:19], s[12:13]
	s_wait_alu 0xfffd
	v_add_co_ci_u32_e64 v15, null, 0, v15, vcc_lo
	v_add_co_u32 v19, vcc_lo, v19, s20
	s_wait_alu 0xfffe
	v_cmp_lt_i64_e64 s2, s[18:19], s[14:15]
	s_wait_alu 0xfffd
	v_add_co_ci_u32_e64 v20, null, 0, v20, vcc_lo
	v_add_co_u32 v21, vcc_lo, v21, s20
	s_wait_alu 0xfffd
	v_add_co_ci_u32_e64 v22, null, 0, v22, vcc_lo
	s_and_b32 vcc_lo, exec_lo, s2
	s_wait_alu 0xfffe
	s_cbranch_vccz .LBB78_20
.LBB78_4:                               ; =>This Inner Loop Header: Depth=1
	s_wait_loadcnt 0x0
	v_add_co_u32 v23, s2, v0, s18
	s_wait_alu 0xf1ff
	v_add_co_ci_u32_e64 v24, null, 0, s19, s2
	v_mov_b32_e32 v26, 0
	s_delay_alu instid0(VALU_DEP_2)
	v_cmp_gt_u64_e64 s4, s[16:17], v[23:24]
	s_and_saveexec_b32 s2, s4
	s_cbranch_execz .LBB78_6
; %bb.5:                                ;   in Loop: Header=BB78_4 Depth=1
	v_add_co_u32 v23, vcc_lo, v1, s8
	s_wait_alu 0xfffd
	v_add_co_ci_u32_e64 v24, null, s9, v2, vcc_lo
	global_load_b32 v26, v[23:24], off
.LBB78_6:                               ;   in Loop: Header=BB78_4 Depth=1
	s_wait_alu 0xfffe
	s_or_b32 exec_lo, exec_lo, s2
	v_add_co_u32 v23, vcc_lo, v13, s18
	s_wait_alu 0xfffd
	v_add_co_ci_u32_e64 v24, null, s19, v16, vcc_lo
	v_mov_b32_e32 v25, 0
	s_delay_alu instid0(VALU_DEP_2)
	v_cmp_gt_u64_e64 s3, s[16:17], v[23:24]
	v_mov_b32_e32 v24, 0
	s_and_saveexec_b32 s2, s3
	s_cbranch_execz .LBB78_8
; %bb.7:                                ;   in Loop: Header=BB78_4 Depth=1
	v_add_co_u32 v27, vcc_lo, v19, s8
	s_wait_alu 0xfffd
	v_add_co_ci_u32_e64 v28, null, s9, v20, vcc_lo
	global_load_b32 v25, v[27:28], off
.LBB78_8:                               ;   in Loop: Header=BB78_4 Depth=1
	s_wait_alu 0xfffe
	s_or_b32 exec_lo, exec_lo, s2
	v_add_co_u32 v27, vcc_lo, v17, s18
	s_wait_alu 0xfffd
	v_add_co_ci_u32_e64 v28, null, s19, v18, vcc_lo
	s_delay_alu instid0(VALU_DEP_1)
	v_cmp_gt_u64_e64 s2, s[16:17], v[27:28]
	s_and_saveexec_b32 s5, s2
	s_cbranch_execz .LBB78_10
; %bb.9:                                ;   in Loop: Header=BB78_4 Depth=1
	v_add_co_u32 v23, vcc_lo, v11, s8
	s_wait_alu 0xfffd
	v_add_co_ci_u32_e64 v24, null, s9, v12, vcc_lo
	global_load_b32 v24, v[23:24], off
.LBB78_10:                              ;   in Loop: Header=BB78_4 Depth=1
	s_wait_alu 0xfffe
	s_or_b32 exec_lo, exec_lo, s5
	v_add_co_u32 v27, vcc_lo, v9, s18
	s_wait_alu 0xfffd
	v_add_co_ci_u32_e64 v28, null, s19, v10, vcc_lo
	v_mov_b32_e32 v23, 0
	s_delay_alu instid0(VALU_DEP_2)
	v_cmp_gt_u64_e32 vcc_lo, s[16:17], v[27:28]
	s_and_saveexec_b32 s6, vcc_lo
	s_cbranch_execnz .LBB78_15
; %bb.11:                               ;   in Loop: Header=BB78_4 Depth=1
	s_wait_alu 0xfffe
	s_or_b32 exec_lo, exec_lo, s6
	s_and_saveexec_b32 s26, s4
	s_cbranch_execnz .LBB78_16
.LBB78_12:                              ;   in Loop: Header=BB78_4 Depth=1
	s_wait_alu 0xfffe
	s_or_b32 exec_lo, exec_lo, s26
	s_and_saveexec_b32 s26, s3
	s_cbranch_execnz .LBB78_17
.LBB78_13:                              ;   in Loop: Header=BB78_4 Depth=1
	s_wait_alu 0xfffe
	s_or_b32 exec_lo, exec_lo, s26
	s_and_saveexec_b32 s6, s2
	s_cbranch_execnz .LBB78_18
.LBB78_14:                              ;   in Loop: Header=BB78_4 Depth=1
	s_wait_alu 0xfffe
	s_or_b32 exec_lo, exec_lo, s6
	s_and_saveexec_b32 s5, vcc_lo
	s_cbranch_execz .LBB78_3
	s_branch .LBB78_19
.LBB78_15:                              ;   in Loop: Header=BB78_4 Depth=1
	v_add_co_u32 v27, s5, v5, s8
	s_wait_alu 0xf1ff
	v_add_co_ci_u32_e64 v28, null, s9, v6, s5
	global_load_b32 v23, v[27:28], off
	s_wait_alu 0xfffe
	s_or_b32 exec_lo, exec_lo, s6
	s_and_saveexec_b32 s26, s4
	s_cbranch_execz .LBB78_12
.LBB78_16:                              ;   in Loop: Header=BB78_4 Depth=1
	s_wait_loadcnt 0x0
	v_cndmask_b32_e64 v28, v26, 1.0, s7
	s_delay_alu instid0(VALU_DEP_1) | instskip(SKIP_2) | instid1(VALU_DEP_2)
	v_cmp_neq_f32_e64 s4, 0, v28
	v_cmp_neq_f32_e64 s27, v28, |v28|
	s_wait_alu 0xf1ff
	v_cndmask_b32_e64 v29, 1.0, s28, s4
	s_delay_alu instid0(VALU_DEP_1)
	v_cvt_f64_f32_e64 v[26:27], |v29|
	v_cmp_lt_f32_e64 s29, |v29|, 1.0
	v_cmp_eq_f32_e64 s6, 0, v29
	s_xor_b32 s27, s27, s29
	v_frexp_exp_i32_f64_e32 v26, v[26:27]
	v_frexp_mant_f32_e64 v27, |v29|
	s_delay_alu instid0(VALU_DEP_1) | instskip(SKIP_1) | instid1(VALU_DEP_1)
	v_cmp_gt_f32_e64 s4, 0x3f2aaaab, v27
	s_wait_alu 0xf1ff
	v_cndmask_b32_e64 v30, 1.0, 2.0, s4
	s_delay_alu instid0(VALU_DEP_1) | instskip(NEXT) | instid1(VALU_DEP_1)
	v_mul_f32_e32 v27, v27, v30
	v_add_f32_e32 v30, 1.0, v27
	v_add_f32_e32 v32, -1.0, v27
	s_delay_alu instid0(VALU_DEP_2) | instskip(NEXT) | instid1(VALU_DEP_1)
	v_add_f32_e32 v34, -1.0, v30
	v_sub_f32_e32 v27, v27, v34
	v_rcp_f32_e32 v31, v30
	v_subrev_co_ci_u32_e64 v26, null, 0, v26, s4
	s_delay_alu instid0(TRANS32_DEP_1) | instskip(NEXT) | instid1(VALU_DEP_2)
	v_mul_f32_e32 v33, v32, v31
	v_cvt_f32_i32_e32 v26, v26
	s_delay_alu instid0(VALU_DEP_2) | instskip(NEXT) | instid1(VALU_DEP_1)
	v_mul_f32_e32 v35, v30, v33
	v_fma_f32 v30, v33, v30, -v35
	s_delay_alu instid0(VALU_DEP_1) | instskip(NEXT) | instid1(VALU_DEP_1)
	v_fmac_f32_e32 v30, v33, v27
	v_add_f32_e32 v27, v35, v30
	s_delay_alu instid0(VALU_DEP_1) | instskip(NEXT) | instid1(VALU_DEP_1)
	v_sub_f32_e32 v35, v27, v35
	v_sub_f32_e32 v30, v35, v30
	;; [unrolled: 1-line block ×3, first 2 shown]
	s_delay_alu instid0(VALU_DEP_1) | instskip(NEXT) | instid1(VALU_DEP_1)
	v_sub_f32_e32 v32, v32, v34
	v_sub_f32_e32 v27, v32, v27
	s_delay_alu instid0(VALU_DEP_1) | instskip(NEXT) | instid1(VALU_DEP_1)
	v_add_f32_e32 v27, v30, v27
	v_add_f32_e32 v27, v34, v27
	s_delay_alu instid0(VALU_DEP_1) | instskip(NEXT) | instid1(VALU_DEP_1)
	v_mul_f32_e32 v27, v31, v27
	v_add_f32_e32 v30, v33, v27
	s_delay_alu instid0(VALU_DEP_1) | instskip(NEXT) | instid1(VALU_DEP_1)
	v_sub_f32_e32 v31, v30, v33
	v_dual_mul_f32 v32, v30, v30 :: v_dual_sub_f32 v27, v27, v31
	s_delay_alu instid0(VALU_DEP_1) | instskip(NEXT) | instid1(VALU_DEP_2)
	v_fma_f32 v31, v30, v30, -v32
	v_add_f32_e32 v33, v27, v27
	s_delay_alu instid0(VALU_DEP_1) | instskip(NEXT) | instid1(VALU_DEP_1)
	v_fmac_f32_e32 v31, v30, v33
	v_add_f32_e32 v33, v32, v31
	s_delay_alu instid0(VALU_DEP_1) | instskip(SKIP_1) | instid1(VALU_DEP_1)
	v_fmaak_f32 v34, s21, v33, 0x3e91f4c4
	v_sub_f32_e32 v32, v33, v32
	v_dual_fmaak_f32 v34, v33, v34, 0x3ecccdef :: v_dual_sub_f32 v31, v31, v32
	s_delay_alu instid0(VALU_DEP_1) | instskip(NEXT) | instid1(VALU_DEP_1)
	v_mul_f32_e32 v35, v33, v34
	v_fma_f32 v32, v33, v34, -v35
	s_delay_alu instid0(VALU_DEP_1) | instskip(NEXT) | instid1(VALU_DEP_1)
	v_fmac_f32_e32 v32, v31, v34
	v_add_f32_e32 v34, v35, v32
	s_delay_alu instid0(VALU_DEP_1) | instskip(NEXT) | instid1(VALU_DEP_1)
	v_dual_sub_f32 v35, v34, v35 :: v_dual_add_f32 v36, 0x3f2aaaaa, v34
	v_dual_sub_f32 v32, v32, v35 :: v_dual_add_f32 v35, 0xbf2aaaaa, v36
	s_delay_alu instid0(VALU_DEP_1) | instskip(NEXT) | instid1(VALU_DEP_2)
	v_dual_add_f32 v32, 0x31739010, v32 :: v_dual_mul_f32 v37, v30, v33
	v_sub_f32_e32 v34, v34, v35
	s_delay_alu instid0(VALU_DEP_2) | instskip(NEXT) | instid1(VALU_DEP_2)
	v_fma_f32 v38, v33, v30, -v37
	v_add_f32_e32 v32, v32, v34
	s_delay_alu instid0(VALU_DEP_2) | instskip(SKIP_1) | instid1(VALU_DEP_2)
	v_fmac_f32_e32 v38, v33, v27
	v_ldexp_f32 v27, v27, 1
	v_dual_fmac_f32 v38, v31, v30 :: v_dual_add_f32 v31, v36, v32
	v_ldexp_f32 v30, v30, 1
	s_delay_alu instid0(VALU_DEP_2) | instskip(NEXT) | instid1(VALU_DEP_1)
	v_dual_add_f32 v33, v37, v38 :: v_dual_sub_f32 v34, v36, v31
	v_dual_mul_f32 v35, v33, v31 :: v_dual_add_f32 v32, v32, v34
	v_sub_f32_e32 v36, v33, v37
	s_delay_alu instid0(VALU_DEP_2) | instskip(NEXT) | instid1(VALU_DEP_2)
	v_fma_f32 v34, v33, v31, -v35
	v_sub_f32_e32 v36, v38, v36
	s_delay_alu instid0(VALU_DEP_2) | instskip(NEXT) | instid1(VALU_DEP_1)
	v_fmac_f32_e32 v34, v33, v32
	v_fmac_f32_e32 v34, v36, v31
	s_delay_alu instid0(VALU_DEP_1) | instskip(NEXT) | instid1(VALU_DEP_1)
	v_add_f32_e32 v31, v35, v34
	v_add_f32_e32 v33, v30, v31
	v_dual_sub_f32 v32, v31, v35 :: v_dual_mul_f32 v35, 0x3f317218, v26
	s_delay_alu instid0(VALU_DEP_2) | instskip(NEXT) | instid1(VALU_DEP_2)
	v_sub_f32_e32 v30, v33, v30
	v_sub_f32_e32 v32, v34, v32
	s_delay_alu instid0(VALU_DEP_3) | instskip(NEXT) | instid1(VALU_DEP_3)
	v_fma_f32 v34, 0x3f317218, v26, -v35
	v_sub_f32_e32 v30, v31, v30
	s_delay_alu instid0(VALU_DEP_2) | instskip(NEXT) | instid1(VALU_DEP_1)
	v_dual_add_f32 v27, v27, v32 :: v_dual_fmac_f32 v34, 0xb102e308, v26
	v_add_f32_e32 v26, v27, v30
	s_delay_alu instid0(VALU_DEP_2) | instskip(NEXT) | instid1(VALU_DEP_1)
	v_add_f32_e32 v27, v35, v34
	v_dual_add_f32 v30, v33, v26 :: v_dual_sub_f32 v35, v27, v35
	s_delay_alu instid0(VALU_DEP_1) | instskip(NEXT) | instid1(VALU_DEP_1)
	v_add_f32_e32 v31, v27, v30
	v_dual_sub_f32 v33, v30, v33 :: v_dual_sub_f32 v32, v31, v27
	s_delay_alu instid0(VALU_DEP_1) | instskip(SKIP_1) | instid1(VALU_DEP_2)
	v_sub_f32_e32 v36, v31, v32
	v_sub_f32_e32 v30, v30, v32
	v_dual_sub_f32 v27, v27, v36 :: v_dual_sub_f32 v34, v34, v35
	s_delay_alu instid0(VALU_DEP_1) | instskip(SKIP_1) | instid1(VALU_DEP_1)
	v_add_f32_e32 v27, v30, v27
	v_sub_f32_e32 v26, v26, v33
	v_add_f32_e32 v32, v34, v26
	s_delay_alu instid0(VALU_DEP_1) | instskip(NEXT) | instid1(VALU_DEP_1)
	v_add_f32_e32 v27, v32, v27
	v_dual_sub_f32 v30, v32, v34 :: v_dual_add_f32 v33, v31, v27
	s_delay_alu instid0(VALU_DEP_1) | instskip(NEXT) | instid1(VALU_DEP_1)
	v_dual_sub_f32 v32, v32, v30 :: v_dual_sub_f32 v31, v33, v31
	v_dual_sub_f32 v27, v27, v31 :: v_dual_sub_f32 v26, v26, v30
	s_delay_alu instid0(VALU_DEP_2) | instskip(NEXT) | instid1(VALU_DEP_1)
	v_sub_f32_e32 v30, v34, v32
	v_add_f32_e32 v26, v26, v30
	s_delay_alu instid0(VALU_DEP_1) | instskip(NEXT) | instid1(VALU_DEP_1)
	v_add_f32_e32 v26, v26, v27
	v_add_f32_e32 v27, v33, v26
	s_delay_alu instid0(VALU_DEP_1) | instskip(NEXT) | instid1(VALU_DEP_1)
	v_dual_sub_f32 v30, v27, v33 :: v_dual_mul_f32 v31, v28, v27
	v_sub_f32_e32 v26, v26, v30
	s_delay_alu instid0(VALU_DEP_2) | instskip(SKIP_1) | instid1(VALU_DEP_2)
	v_fma_f32 v27, v28, v27, -v31
	v_cmp_class_f32_e64 s4, v31, 0x204
	v_fmac_f32_e32 v27, v28, v26
	s_delay_alu instid0(VALU_DEP_1) | instskip(SKIP_1) | instid1(VALU_DEP_1)
	v_add_f32_e32 v26, v31, v27
	s_wait_alu 0xf1ff
	v_cndmask_b32_e64 v30, v26, v31, s4
	s_delay_alu instid0(VALU_DEP_1) | instskip(SKIP_1) | instid1(VALU_DEP_1)
	v_cmp_eq_f32_e64 s4, 0x42b17218, v30
	s_wait_alu 0xf1ff
	v_cndmask_b32_e64 v32, 0, 0x37000000, s4
	v_cmp_neq_f32_e64 s4, 0x7f800000, |v30|
	s_delay_alu instid0(VALU_DEP_2) | instskip(SKIP_1) | instid1(VALU_DEP_2)
	v_sub_f32_e32 v33, v30, v32
	v_sub_f32_e32 v26, v26, v31
	v_mul_f32_e32 v34, 0x3fb8aa3b, v33
	s_delay_alu instid0(VALU_DEP_2) | instskip(SKIP_2) | instid1(VALU_DEP_4)
	v_sub_f32_e32 v26, v27, v26
	v_trunc_f32_e32 v27, v28
	v_cmp_nlt_f32_e64 s5, 0x42b17218, v33
	v_fma_f32 v35, 0x3fb8aa3b, v33, -v34
	v_rndne_f32_e32 v36, v34
	s_wait_alu 0xf1ff
	v_cndmask_b32_e64 v26, 0, v26, s4
	v_cmp_ngt_f32_e64 s4, 0xc2ce8ed0, v33
	s_delay_alu instid0(VALU_DEP_3) | instskip(SKIP_1) | instid1(VALU_DEP_4)
	v_dual_fmac_f32 v35, 0x32a5705f, v33 :: v_dual_sub_f32 v34, v34, v36
	v_cvt_i32_f32_e32 v31, v36
	v_add_f32_e32 v26, v32, v26
	s_delay_alu instid0(VALU_DEP_3) | instskip(NEXT) | instid1(VALU_DEP_1)
	v_add_f32_e32 v34, v34, v35
	v_exp_f32_e32 v34, v34
	s_delay_alu instid0(TRANS32_DEP_1) | instskip(SKIP_2) | instid1(VALU_DEP_2)
	v_ldexp_f32 v31, v34, v31
	v_mul_f32_e32 v34, 0.5, v28
	s_wait_alu 0xf1ff
	v_cndmask_b32_e64 v30, 0, v31, s4
	s_delay_alu instid0(VALU_DEP_2) | instskip(SKIP_1) | instid1(VALU_DEP_3)
	v_trunc_f32_e32 v31, v34
	v_cmp_eq_f32_e64 s4, v27, v28
	v_cndmask_b32_e64 v27, 0x7f800000, v30, s5
	s_delay_alu instid0(VALU_DEP_3) | instskip(NEXT) | instid1(VALU_DEP_2)
	v_cmp_neq_f32_e64 s5, v31, v34
	v_fma_f32 v26, v27, v26, v27
	s_and_b32 s5, s4, s5
	s_wait_alu 0xfffe
	v_cndmask_b32_e64 v30, 0, v29, s5
	v_cndmask_b32_e64 v31, 1.0, v29, s5
	v_cmp_class_f32_e64 s5, v27, 0x204
	s_wait_alu 0xf1ff
	s_delay_alu instid0(VALU_DEP_1) | instskip(SKIP_2) | instid1(VALU_DEP_3)
	v_cndmask_b32_e64 v26, v26, v27, s5
	v_cmp_gt_f32_e64 s5, 0, v28
	v_cndmask_b32_e64 v27, 0x7f800000, 0, s27
	v_bfi_b32 v26, 0x7fffffff, v26, v31
	s_delay_alu instid0(VALU_DEP_1)
	v_cndmask_b32_e64 v31, 0x7fc00000, v26, s4
	s_xor_b32 s4, s5, s6
	v_cmp_class_f32_e64 s5, v29, 0x204
	s_wait_alu 0xfffe
	v_cndmask_b32_e64 v32, 0x7f800000, 0, s4
	v_cmp_neq_f32_e64 s4, |v29|, 1.0
	s_delay_alu instid0(VALU_DEP_2) | instskip(SKIP_1) | instid1(VALU_DEP_2)
	v_bfi_b32 v30, 0x7fffffff, v32, v30
	s_wait_alu 0xf1ff
	v_cndmask_b32_e64 v27, 1.0, v27, s4
	v_cmp_gt_f32_e64 s4, 0, v29
	s_wait_alu 0xf1ff
	s_delay_alu instid0(VALU_DEP_1) | instskip(SKIP_2) | instid1(VALU_DEP_1)
	v_cndmask_b32_e64 v26, v26, v31, s4
	v_cmp_class_f32_e64 s4, v28, 0x204
	s_wait_alu 0xf1ff
	v_cndmask_b32_e64 v26, v26, v27, s4
	s_or_b32 s4, s6, s5
	s_wait_alu 0xfffe
	s_delay_alu instid0(VALU_DEP_1)
	v_cndmask_b32_e64 v30, v26, v30, s4
	v_add_co_u32 v26, s4, v3, s8
	s_wait_alu 0xf1ff
	v_add_co_ci_u32_e64 v27, null, s9, v4, s4
	v_cmp_o_f32_e64 s4, v29, v28
	s_wait_alu 0xf1ff
	s_delay_alu instid0(VALU_DEP_1)
	v_cndmask_b32_e64 v28, 0x7fc00000, v30, s4
	global_store_b32 v[26:27], v28, off
	s_or_b32 exec_lo, exec_lo, s26
	s_and_saveexec_b32 s26, s3
	s_cbranch_execz .LBB78_13
.LBB78_17:                              ;   in Loop: Header=BB78_4 Depth=1
	s_wait_loadcnt 0x0
	v_cndmask_b32_e64 v27, v25, 1.0, s7
	s_delay_alu instid0(VALU_DEP_1) | instskip(SKIP_2) | instid1(VALU_DEP_2)
	v_cmp_neq_f32_e64 s3, 0, v27
	v_cmp_neq_f32_e64 s27, v27, |v27|
	s_wait_alu 0xf1ff
	v_cndmask_b32_e64 v28, 1.0, s28, s3
	s_delay_alu instid0(VALU_DEP_1) | instskip(SKIP_2) | instid1(VALU_DEP_3)
	v_frexp_mant_f32_e64 v25, |v28|
	v_cmp_lt_f32_e64 s29, |v28|, 1.0
	v_cmp_eq_f32_e64 s6, 0, v28
	v_cmp_gt_f32_e64 s3, 0x3f2aaaab, v25
	s_xor_b32 s27, s27, s29
	v_cndmask_b32_e64 v26, 1.0, 2.0, s3
	s_delay_alu instid0(VALU_DEP_1) | instskip(NEXT) | instid1(VALU_DEP_1)
	v_mul_f32_e32 v25, v25, v26
	v_add_f32_e32 v26, 1.0, v25
	v_add_f32_e32 v30, -1.0, v25
	s_delay_alu instid0(VALU_DEP_2) | instskip(NEXT) | instid1(VALU_DEP_1)
	v_add_f32_e32 v32, -1.0, v26
	v_sub_f32_e32 v25, v25, v32
	v_rcp_f32_e32 v29, v26
	s_delay_alu instid0(TRANS32_DEP_1) | instskip(NEXT) | instid1(VALU_DEP_1)
	v_mul_f32_e32 v31, v30, v29
	v_mul_f32_e32 v33, v26, v31
	s_delay_alu instid0(VALU_DEP_1) | instskip(NEXT) | instid1(VALU_DEP_1)
	v_fma_f32 v26, v31, v26, -v33
	v_fmac_f32_e32 v26, v31, v25
	s_delay_alu instid0(VALU_DEP_1) | instskip(NEXT) | instid1(VALU_DEP_1)
	v_add_f32_e32 v25, v33, v26
	v_sub_f32_e32 v32, v30, v25
	s_delay_alu instid0(VALU_DEP_1) | instskip(NEXT) | instid1(VALU_DEP_1)
	v_dual_sub_f32 v33, v25, v33 :: v_dual_sub_f32 v30, v30, v32
	v_dual_sub_f32 v26, v33, v26 :: v_dual_sub_f32 v25, v30, v25
	s_delay_alu instid0(VALU_DEP_1) | instskip(NEXT) | instid1(VALU_DEP_1)
	v_add_f32_e32 v25, v26, v25
	v_add_f32_e32 v25, v32, v25
	s_delay_alu instid0(VALU_DEP_1) | instskip(NEXT) | instid1(VALU_DEP_1)
	v_mul_f32_e32 v25, v29, v25
	v_add_f32_e32 v29, v31, v25
	s_delay_alu instid0(VALU_DEP_1) | instskip(NEXT) | instid1(VALU_DEP_1)
	v_sub_f32_e32 v26, v29, v31
	v_sub_f32_e32 v31, v25, v26
	s_delay_alu instid0(VALU_DEP_1) | instskip(NEXT) | instid1(VALU_DEP_1)
	v_dual_mul_f32 v30, v29, v29 :: v_dual_add_f32 v25, v31, v31
	v_fma_f32 v32, v29, v29, -v30
	s_delay_alu instid0(VALU_DEP_1) | instskip(SKIP_1) | instid1(VALU_DEP_2)
	v_fmac_f32_e32 v32, v29, v25
	v_cvt_f64_f32_e64 v[25:26], |v28|
	v_add_f32_e32 v33, v30, v32
	s_delay_alu instid0(VALU_DEP_1) | instskip(SKIP_1) | instid1(VALU_DEP_2)
	v_fmaak_f32 v34, s21, v33, 0x3e91f4c4
	v_sub_f32_e32 v30, v33, v30
	v_fmaak_f32 v34, v33, v34, 0x3ecccdef
	s_delay_alu instid0(VALU_DEP_2) | instskip(NEXT) | instid1(VALU_DEP_2)
	v_sub_f32_e32 v30, v32, v30
	v_mul_f32_e32 v35, v33, v34
	s_delay_alu instid0(VALU_DEP_1) | instskip(NEXT) | instid1(VALU_DEP_1)
	v_fma_f32 v32, v33, v34, -v35
	v_dual_fmac_f32 v32, v30, v34 :: v_dual_mul_f32 v37, v29, v33
	s_delay_alu instid0(VALU_DEP_1) | instskip(SKIP_1) | instid1(VALU_DEP_2)
	v_add_f32_e32 v34, v35, v32
	v_frexp_exp_i32_f64_e32 v25, v[25:26]
	v_sub_f32_e32 v35, v34, v35
	s_delay_alu instid0(VALU_DEP_1) | instskip(SKIP_1) | instid1(VALU_DEP_1)
	v_sub_f32_e32 v26, v32, v35
	v_fma_f32 v35, v33, v29, -v37
	v_dual_add_f32 v36, 0x3f2aaaaa, v34 :: v_dual_fmac_f32 v35, v33, v31
	s_delay_alu instid0(VALU_DEP_1) | instskip(SKIP_1) | instid1(VALU_DEP_3)
	v_add_f32_e32 v32, 0xbf2aaaaa, v36
	v_ldexp_f32 v31, v31, 1
	v_dual_fmac_f32 v35, v30, v29 :: v_dual_add_f32 v26, 0x31739010, v26
	s_delay_alu instid0(VALU_DEP_3) | instskip(NEXT) | instid1(VALU_DEP_1)
	v_sub_f32_e32 v32, v34, v32
	v_add_f32_e32 v26, v26, v32
	s_delay_alu instid0(VALU_DEP_1) | instskip(NEXT) | instid1(VALU_DEP_1)
	v_add_f32_e32 v30, v36, v26
	v_sub_f32_e32 v33, v36, v30
	v_subrev_co_ci_u32_e64 v25, null, 0, v25, s3
	s_delay_alu instid0(VALU_DEP_2) | instskip(NEXT) | instid1(VALU_DEP_2)
	v_add_f32_e32 v26, v26, v33
	v_cvt_f32_i32_e32 v25, v25
	v_add_f32_e32 v32, v37, v35
	s_delay_alu instid0(VALU_DEP_1) | instskip(SKIP_1) | instid1(VALU_DEP_2)
	v_mul_f32_e32 v34, v32, v30
	v_sub_f32_e32 v36, v32, v37
	v_fma_f32 v33, v32, v30, -v34
	s_delay_alu instid0(VALU_DEP_2) | instskip(NEXT) | instid1(VALU_DEP_2)
	v_sub_f32_e32 v35, v35, v36
	v_fmac_f32_e32 v33, v32, v26
	v_ldexp_f32 v26, v29, 1
	s_delay_alu instid0(VALU_DEP_2) | instskip(NEXT) | instid1(VALU_DEP_1)
	v_fmac_f32_e32 v33, v35, v30
	v_add_f32_e32 v29, v34, v33
	s_delay_alu instid0(VALU_DEP_1) | instskip(SKIP_2) | instid1(VALU_DEP_3)
	v_add_f32_e32 v30, v26, v29
	v_sub_f32_e32 v32, v29, v34
	v_mul_f32_e32 v34, 0x3f317218, v25
	v_sub_f32_e32 v26, v30, v26
	s_delay_alu instid0(VALU_DEP_3) | instskip(NEXT) | instid1(VALU_DEP_3)
	v_sub_f32_e32 v32, v33, v32
	v_fma_f32 v33, 0x3f317218, v25, -v34
	s_delay_alu instid0(VALU_DEP_2) | instskip(NEXT) | instid1(VALU_DEP_2)
	v_dual_sub_f32 v26, v29, v26 :: v_dual_add_f32 v29, v31, v32
	v_fmac_f32_e32 v33, 0xb102e308, v25
	s_delay_alu instid0(VALU_DEP_2) | instskip(NEXT) | instid1(VALU_DEP_1)
	v_add_f32_e32 v25, v29, v26
	v_add_f32_e32 v29, v30, v25
	s_delay_alu instid0(VALU_DEP_1) | instskip(NEXT) | instid1(VALU_DEP_1)
	v_sub_f32_e32 v30, v29, v30
	v_dual_sub_f32 v25, v25, v30 :: v_dual_add_f32 v26, v34, v33
	s_delay_alu instid0(VALU_DEP_1) | instskip(NEXT) | instid1(VALU_DEP_1)
	v_sub_f32_e32 v34, v26, v34
	v_sub_f32_e32 v33, v33, v34
	v_add_f32_e32 v31, v26, v29
	s_delay_alu instid0(VALU_DEP_2) | instskip(NEXT) | instid1(VALU_DEP_2)
	v_add_f32_e32 v30, v33, v25
	v_sub_f32_e32 v32, v31, v26
	s_delay_alu instid0(VALU_DEP_1) | instskip(NEXT) | instid1(VALU_DEP_1)
	v_sub_f32_e32 v35, v31, v32
	v_dual_sub_f32 v29, v29, v32 :: v_dual_sub_f32 v26, v26, v35
	s_delay_alu instid0(VALU_DEP_1) | instskip(NEXT) | instid1(VALU_DEP_1)
	v_dual_add_f32 v26, v29, v26 :: v_dual_sub_f32 v29, v30, v33
	v_add_f32_e32 v26, v30, v26
	s_delay_alu instid0(VALU_DEP_2) | instskip(NEXT) | instid1(VALU_DEP_2)
	v_sub_f32_e32 v30, v30, v29
	v_dual_sub_f32 v25, v25, v29 :: v_dual_add_f32 v32, v31, v26
	s_delay_alu instid0(VALU_DEP_1) | instskip(NEXT) | instid1(VALU_DEP_1)
	v_dual_sub_f32 v29, v33, v30 :: v_dual_sub_f32 v30, v32, v31
	v_dual_add_f32 v25, v25, v29 :: v_dual_sub_f32 v26, v26, v30
	s_delay_alu instid0(VALU_DEP_1) | instskip(NEXT) | instid1(VALU_DEP_1)
	v_add_f32_e32 v25, v25, v26
	v_add_f32_e32 v26, v32, v25
	s_delay_alu instid0(VALU_DEP_1) | instskip(NEXT) | instid1(VALU_DEP_1)
	v_dual_sub_f32 v29, v26, v32 :: v_dual_mul_f32 v30, v27, v26
	v_sub_f32_e32 v25, v25, v29
	s_delay_alu instid0(VALU_DEP_2) | instskip(SKIP_1) | instid1(VALU_DEP_2)
	v_fma_f32 v26, v27, v26, -v30
	v_cmp_class_f32_e64 s3, v30, 0x204
	v_fmac_f32_e32 v26, v27, v25
	s_delay_alu instid0(VALU_DEP_1) | instskip(SKIP_1) | instid1(VALU_DEP_1)
	v_add_f32_e32 v25, v30, v26
	s_wait_alu 0xf1ff
	v_cndmask_b32_e64 v29, v25, v30, s3
	s_delay_alu instid0(VALU_DEP_1) | instskip(SKIP_1) | instid1(VALU_DEP_1)
	v_cmp_eq_f32_e64 s3, 0x42b17218, v29
	s_wait_alu 0xf1ff
	v_cndmask_b32_e64 v31, 0, 0x37000000, s3
	v_cmp_neq_f32_e64 s3, 0x7f800000, |v29|
	s_delay_alu instid0(VALU_DEP_2) | instskip(SKIP_2) | instid1(VALU_DEP_3)
	v_sub_f32_e32 v32, v29, v31
	v_sub_f32_e32 v25, v25, v30
	v_trunc_f32_e32 v29, v27
	v_mul_f32_e32 v33, 0x3fb8aa3b, v32
	s_delay_alu instid0(VALU_DEP_3) | instskip(NEXT) | instid1(VALU_DEP_2)
	v_sub_f32_e32 v25, v26, v25
	v_fma_f32 v34, 0x3fb8aa3b, v32, -v33
	v_rndne_f32_e32 v35, v33
	s_wait_alu 0xf1ff
	s_delay_alu instid0(VALU_DEP_3) | instskip(SKIP_1) | instid1(VALU_DEP_3)
	v_cndmask_b32_e64 v25, 0, v25, s3
	v_cmp_ngt_f32_e64 s3, 0xc2ce8ed0, v32
	v_dual_fmac_f32 v34, 0x32a5705f, v32 :: v_dual_sub_f32 v33, v33, v35
	v_cvt_i32_f32_e32 v30, v35
	s_delay_alu instid0(VALU_DEP_4) | instskip(NEXT) | instid1(VALU_DEP_3)
	v_add_f32_e32 v25, v31, v25
	v_add_f32_e32 v33, v33, v34
	s_delay_alu instid0(VALU_DEP_1) | instskip(NEXT) | instid1(TRANS32_DEP_1)
	v_exp_f32_e32 v33, v33
	v_ldexp_f32 v26, v33, v30
	v_mul_f32_e32 v30, 0.5, v27
	s_wait_alu 0xf1ff
	s_delay_alu instid0(VALU_DEP_2) | instskip(SKIP_1) | instid1(VALU_DEP_3)
	v_cndmask_b32_e64 v26, 0, v26, s3
	v_cmp_nlt_f32_e64 s3, 0x42b17218, v32
	v_trunc_f32_e32 v33, v30
	s_wait_alu 0xf1ff
	s_delay_alu instid0(VALU_DEP_2) | instskip(SKIP_1) | instid1(VALU_DEP_3)
	v_cndmask_b32_e64 v26, 0x7f800000, v26, s3
	v_cmp_eq_f32_e64 s3, v29, v27
	v_cmp_neq_f32_e64 s4, v33, v30
	s_delay_alu instid0(VALU_DEP_3)
	v_fma_f32 v25, v26, v25, v26
	v_cmp_class_f32_e64 s5, v26, 0x204
	s_and_b32 s4, s3, s4
	s_wait_alu 0xfffe
	v_cndmask_b32_e64 v29, 1.0, v28, s4
	v_cndmask_b32_e64 v31, 0, v28, s4
	v_cndmask_b32_e64 v25, v25, v26, s5
	;; [unrolled: 1-line block ×3, first 2 shown]
	v_cmp_gt_f32_e64 s5, 0, v27
	v_cmp_class_f32_e64 s4, v28, 0x204
	s_delay_alu instid0(VALU_DEP_4) | instskip(SKIP_3) | instid1(VALU_DEP_2)
	v_bfi_b32 v25, 0x7fffffff, v25, v29
	s_xor_b32 s5, s5, s6
	s_wait_alu 0xfffe
	v_cndmask_b32_e64 v29, 0x7f800000, 0, s5
	v_cndmask_b32_e64 v30, 0x7fc00000, v25, s3
	v_cmp_neq_f32_e64 s3, |v28|, 1.0
	s_delay_alu instid0(VALU_DEP_3) | instskip(SKIP_1) | instid1(VALU_DEP_2)
	v_bfi_b32 v29, 0x7fffffff, v29, v31
	s_wait_alu 0xf1ff
	v_cndmask_b32_e64 v26, 1.0, v26, s3
	v_cmp_gt_f32_e64 s3, 0, v28
	s_wait_alu 0xf1ff
	s_delay_alu instid0(VALU_DEP_1) | instskip(SKIP_2) | instid1(VALU_DEP_1)
	v_cndmask_b32_e64 v25, v25, v30, s3
	v_cmp_class_f32_e64 s3, v27, 0x204
	s_wait_alu 0xf1ff
	v_cndmask_b32_e64 v25, v25, v26, s3
	s_or_b32 s3, s6, s4
	s_wait_alu 0xfffe
	s_delay_alu instid0(VALU_DEP_1) | instskip(SKIP_2) | instid1(VALU_DEP_1)
	v_cndmask_b32_e64 v25, v25, v29, s3
	v_cmp_o_f32_e64 s3, v28, v27
	s_wait_alu 0xf1ff
	v_cndmask_b32_e64 v27, 0x7fc00000, v25, s3
	v_add_co_u32 v25, s3, v21, s8
	s_wait_alu 0xf1ff
	v_add_co_ci_u32_e64 v26, null, s9, v22, s3
	global_store_b32 v[25:26], v27, off
	s_or_b32 exec_lo, exec_lo, s26
	s_and_saveexec_b32 s6, s2
	s_cbranch_execz .LBB78_14
.LBB78_18:                              ;   in Loop: Header=BB78_4 Depth=1
	s_wait_loadcnt 0x0
	v_cndmask_b32_e64 v26, v24, 1.0, s7
	s_delay_alu instid0(VALU_DEP_1) | instskip(SKIP_2) | instid1(VALU_DEP_2)
	v_cmp_neq_f32_e64 s2, 0, v26
	v_cmp_neq_f32_e64 s26, v26, |v26|
	s_wait_alu 0xf1ff
	v_cndmask_b32_e64 v27, 1.0, s28, s2
	s_delay_alu instid0(VALU_DEP_1) | instskip(SKIP_2) | instid1(VALU_DEP_3)
	v_frexp_mant_f32_e64 v24, |v27|
	v_cmp_lt_f32_e64 s27, |v27|, 1.0
	v_cmp_eq_f32_e64 s5, 0, v27
	v_cmp_gt_f32_e64 s2, 0x3f2aaaab, v24
	s_xor_b32 s26, s26, s27
	v_cndmask_b32_e64 v25, 1.0, 2.0, s2
	s_delay_alu instid0(VALU_DEP_1) | instskip(NEXT) | instid1(VALU_DEP_1)
	v_mul_f32_e32 v24, v24, v25
	v_add_f32_e32 v25, 1.0, v24
	v_add_f32_e32 v29, -1.0, v24
	s_delay_alu instid0(VALU_DEP_2) | instskip(NEXT) | instid1(VALU_DEP_1)
	v_add_f32_e32 v31, -1.0, v25
	v_sub_f32_e32 v24, v24, v31
	v_rcp_f32_e32 v28, v25
	s_delay_alu instid0(TRANS32_DEP_1) | instskip(NEXT) | instid1(VALU_DEP_1)
	v_mul_f32_e32 v30, v29, v28
	v_mul_f32_e32 v32, v25, v30
	s_delay_alu instid0(VALU_DEP_1) | instskip(NEXT) | instid1(VALU_DEP_1)
	v_fma_f32 v25, v30, v25, -v32
	v_fmac_f32_e32 v25, v30, v24
	s_delay_alu instid0(VALU_DEP_1) | instskip(NEXT) | instid1(VALU_DEP_1)
	v_add_f32_e32 v24, v32, v25
	v_sub_f32_e32 v31, v29, v24
	s_delay_alu instid0(VALU_DEP_1) | instskip(NEXT) | instid1(VALU_DEP_1)
	v_dual_sub_f32 v32, v24, v32 :: v_dual_sub_f32 v29, v29, v31
	v_dual_sub_f32 v25, v32, v25 :: v_dual_sub_f32 v24, v29, v24
	s_delay_alu instid0(VALU_DEP_1) | instskip(NEXT) | instid1(VALU_DEP_1)
	v_add_f32_e32 v24, v25, v24
	v_add_f32_e32 v24, v31, v24
	s_delay_alu instid0(VALU_DEP_1) | instskip(NEXT) | instid1(VALU_DEP_1)
	v_mul_f32_e32 v24, v28, v24
	v_add_f32_e32 v28, v30, v24
	s_delay_alu instid0(VALU_DEP_1) | instskip(NEXT) | instid1(VALU_DEP_1)
	v_sub_f32_e32 v25, v28, v30
	v_sub_f32_e32 v30, v24, v25
	s_delay_alu instid0(VALU_DEP_1) | instskip(NEXT) | instid1(VALU_DEP_1)
	v_dual_mul_f32 v29, v28, v28 :: v_dual_add_f32 v24, v30, v30
	v_fma_f32 v31, v28, v28, -v29
	s_delay_alu instid0(VALU_DEP_1) | instskip(SKIP_1) | instid1(VALU_DEP_2)
	v_fmac_f32_e32 v31, v28, v24
	v_cvt_f64_f32_e64 v[24:25], |v27|
	v_add_f32_e32 v32, v29, v31
	s_delay_alu instid0(VALU_DEP_1) | instskip(SKIP_1) | instid1(VALU_DEP_2)
	v_fmaak_f32 v33, s21, v32, 0x3e91f4c4
	v_sub_f32_e32 v29, v32, v29
	v_fmaak_f32 v33, v32, v33, 0x3ecccdef
	s_delay_alu instid0(VALU_DEP_2) | instskip(NEXT) | instid1(VALU_DEP_2)
	v_sub_f32_e32 v29, v31, v29
	v_mul_f32_e32 v34, v32, v33
	s_delay_alu instid0(VALU_DEP_1) | instskip(NEXT) | instid1(VALU_DEP_1)
	v_fma_f32 v31, v32, v33, -v34
	v_dual_fmac_f32 v31, v29, v33 :: v_dual_mul_f32 v36, v28, v32
	s_delay_alu instid0(VALU_DEP_1) | instskip(SKIP_1) | instid1(VALU_DEP_2)
	v_add_f32_e32 v33, v34, v31
	v_frexp_exp_i32_f64_e32 v24, v[24:25]
	v_sub_f32_e32 v34, v33, v34
	s_delay_alu instid0(VALU_DEP_1) | instskip(SKIP_1) | instid1(VALU_DEP_1)
	v_sub_f32_e32 v25, v31, v34
	v_fma_f32 v34, v32, v28, -v36
	v_dual_add_f32 v35, 0x3f2aaaaa, v33 :: v_dual_fmac_f32 v34, v32, v30
	s_delay_alu instid0(VALU_DEP_1) | instskip(SKIP_1) | instid1(VALU_DEP_3)
	v_add_f32_e32 v31, 0xbf2aaaaa, v35
	v_ldexp_f32 v30, v30, 1
	v_dual_fmac_f32 v34, v29, v28 :: v_dual_add_f32 v25, 0x31739010, v25
	s_delay_alu instid0(VALU_DEP_3) | instskip(NEXT) | instid1(VALU_DEP_1)
	v_sub_f32_e32 v31, v33, v31
	v_add_f32_e32 v25, v25, v31
	s_delay_alu instid0(VALU_DEP_1) | instskip(NEXT) | instid1(VALU_DEP_1)
	v_add_f32_e32 v29, v35, v25
	v_sub_f32_e32 v32, v35, v29
	v_subrev_co_ci_u32_e64 v24, null, 0, v24, s2
	s_delay_alu instid0(VALU_DEP_2) | instskip(NEXT) | instid1(VALU_DEP_2)
	v_add_f32_e32 v25, v25, v32
	v_cvt_f32_i32_e32 v24, v24
	v_add_f32_e32 v31, v36, v34
	s_delay_alu instid0(VALU_DEP_1) | instskip(SKIP_1) | instid1(VALU_DEP_2)
	v_mul_f32_e32 v33, v31, v29
	v_sub_f32_e32 v35, v31, v36
	v_fma_f32 v32, v31, v29, -v33
	s_delay_alu instid0(VALU_DEP_2) | instskip(NEXT) | instid1(VALU_DEP_2)
	v_sub_f32_e32 v34, v34, v35
	v_fmac_f32_e32 v32, v31, v25
	v_ldexp_f32 v25, v28, 1
	s_delay_alu instid0(VALU_DEP_2) | instskip(NEXT) | instid1(VALU_DEP_1)
	v_fmac_f32_e32 v32, v34, v29
	v_add_f32_e32 v28, v33, v32
	s_delay_alu instid0(VALU_DEP_1) | instskip(SKIP_2) | instid1(VALU_DEP_3)
	v_add_f32_e32 v29, v25, v28
	v_sub_f32_e32 v31, v28, v33
	v_mul_f32_e32 v33, 0x3f317218, v24
	v_sub_f32_e32 v25, v29, v25
	s_delay_alu instid0(VALU_DEP_3) | instskip(NEXT) | instid1(VALU_DEP_3)
	v_sub_f32_e32 v31, v32, v31
	v_fma_f32 v32, 0x3f317218, v24, -v33
	s_delay_alu instid0(VALU_DEP_2) | instskip(NEXT) | instid1(VALU_DEP_2)
	v_dual_sub_f32 v25, v28, v25 :: v_dual_add_f32 v28, v30, v31
	v_fmac_f32_e32 v32, 0xb102e308, v24
	s_delay_alu instid0(VALU_DEP_2) | instskip(NEXT) | instid1(VALU_DEP_1)
	v_add_f32_e32 v24, v28, v25
	v_add_f32_e32 v28, v29, v24
	s_delay_alu instid0(VALU_DEP_1) | instskip(NEXT) | instid1(VALU_DEP_1)
	v_sub_f32_e32 v29, v28, v29
	v_dual_sub_f32 v24, v24, v29 :: v_dual_add_f32 v25, v33, v32
	s_delay_alu instid0(VALU_DEP_1) | instskip(NEXT) | instid1(VALU_DEP_1)
	v_sub_f32_e32 v33, v25, v33
	v_sub_f32_e32 v32, v32, v33
	v_add_f32_e32 v30, v25, v28
	s_delay_alu instid0(VALU_DEP_2) | instskip(NEXT) | instid1(VALU_DEP_2)
	v_add_f32_e32 v29, v32, v24
	v_sub_f32_e32 v31, v30, v25
	s_delay_alu instid0(VALU_DEP_1) | instskip(NEXT) | instid1(VALU_DEP_1)
	v_sub_f32_e32 v34, v30, v31
	v_dual_sub_f32 v28, v28, v31 :: v_dual_sub_f32 v25, v25, v34
	s_delay_alu instid0(VALU_DEP_1) | instskip(NEXT) | instid1(VALU_DEP_1)
	v_dual_add_f32 v25, v28, v25 :: v_dual_sub_f32 v28, v29, v32
	v_add_f32_e32 v25, v29, v25
	s_delay_alu instid0(VALU_DEP_2) | instskip(NEXT) | instid1(VALU_DEP_2)
	v_sub_f32_e32 v29, v29, v28
	v_dual_sub_f32 v24, v24, v28 :: v_dual_add_f32 v31, v30, v25
	s_delay_alu instid0(VALU_DEP_1) | instskip(NEXT) | instid1(VALU_DEP_1)
	v_dual_sub_f32 v28, v32, v29 :: v_dual_sub_f32 v29, v31, v30
	v_dual_add_f32 v24, v24, v28 :: v_dual_sub_f32 v25, v25, v29
	s_delay_alu instid0(VALU_DEP_1) | instskip(NEXT) | instid1(VALU_DEP_1)
	v_add_f32_e32 v24, v24, v25
	v_add_f32_e32 v25, v31, v24
	s_delay_alu instid0(VALU_DEP_1) | instskip(NEXT) | instid1(VALU_DEP_1)
	v_dual_sub_f32 v28, v25, v31 :: v_dual_mul_f32 v29, v26, v25
	v_sub_f32_e32 v24, v24, v28
	s_delay_alu instid0(VALU_DEP_2) | instskip(SKIP_1) | instid1(VALU_DEP_2)
	v_fma_f32 v25, v26, v25, -v29
	v_cmp_class_f32_e64 s2, v29, 0x204
	v_fmac_f32_e32 v25, v26, v24
	s_delay_alu instid0(VALU_DEP_1) | instskip(SKIP_1) | instid1(VALU_DEP_1)
	v_add_f32_e32 v24, v29, v25
	s_wait_alu 0xf1ff
	v_cndmask_b32_e64 v28, v24, v29, s2
	s_delay_alu instid0(VALU_DEP_1) | instskip(SKIP_1) | instid1(VALU_DEP_1)
	v_cmp_eq_f32_e64 s2, 0x42b17218, v28
	s_wait_alu 0xf1ff
	v_cndmask_b32_e64 v30, 0, 0x37000000, s2
	v_cmp_neq_f32_e64 s2, 0x7f800000, |v28|
	s_delay_alu instid0(VALU_DEP_2) | instskip(SKIP_2) | instid1(VALU_DEP_3)
	v_sub_f32_e32 v31, v28, v30
	v_sub_f32_e32 v24, v24, v29
	v_trunc_f32_e32 v28, v26
	v_mul_f32_e32 v32, 0x3fb8aa3b, v31
	s_delay_alu instid0(VALU_DEP_3) | instskip(NEXT) | instid1(VALU_DEP_2)
	v_sub_f32_e32 v24, v25, v24
	v_fma_f32 v33, 0x3fb8aa3b, v31, -v32
	v_rndne_f32_e32 v34, v32
	s_wait_alu 0xf1ff
	s_delay_alu instid0(VALU_DEP_3) | instskip(SKIP_1) | instid1(VALU_DEP_3)
	v_cndmask_b32_e64 v24, 0, v24, s2
	v_cmp_ngt_f32_e64 s2, 0xc2ce8ed0, v31
	v_dual_fmac_f32 v33, 0x32a5705f, v31 :: v_dual_sub_f32 v32, v32, v34
	v_cvt_i32_f32_e32 v29, v34
	s_delay_alu instid0(VALU_DEP_4) | instskip(NEXT) | instid1(VALU_DEP_3)
	v_add_f32_e32 v24, v30, v24
	v_add_f32_e32 v32, v32, v33
	s_delay_alu instid0(VALU_DEP_1) | instskip(NEXT) | instid1(TRANS32_DEP_1)
	v_exp_f32_e32 v32, v32
	v_ldexp_f32 v25, v32, v29
	v_mul_f32_e32 v29, 0.5, v26
	s_wait_alu 0xf1ff
	s_delay_alu instid0(VALU_DEP_2) | instskip(SKIP_1) | instid1(VALU_DEP_3)
	v_cndmask_b32_e64 v25, 0, v25, s2
	v_cmp_nlt_f32_e64 s2, 0x42b17218, v31
	v_trunc_f32_e32 v32, v29
	s_wait_alu 0xf1ff
	s_delay_alu instid0(VALU_DEP_2) | instskip(SKIP_1) | instid1(VALU_DEP_3)
	v_cndmask_b32_e64 v25, 0x7f800000, v25, s2
	v_cmp_eq_f32_e64 s2, v28, v26
	v_cmp_neq_f32_e64 s3, v32, v29
	s_delay_alu instid0(VALU_DEP_3)
	v_fma_f32 v24, v25, v24, v25
	v_cmp_class_f32_e64 s4, v25, 0x204
	s_and_b32 s3, s2, s3
	s_wait_alu 0xfffe
	v_cndmask_b32_e64 v28, 1.0, v27, s3
	v_cndmask_b32_e64 v30, 0, v27, s3
	v_cndmask_b32_e64 v24, v24, v25, s4
	;; [unrolled: 1-line block ×3, first 2 shown]
	v_cmp_gt_f32_e64 s4, 0, v26
	v_cmp_class_f32_e64 s3, v27, 0x204
	s_delay_alu instid0(VALU_DEP_4) | instskip(SKIP_3) | instid1(VALU_DEP_2)
	v_bfi_b32 v24, 0x7fffffff, v24, v28
	s_xor_b32 s4, s4, s5
	s_wait_alu 0xfffe
	v_cndmask_b32_e64 v28, 0x7f800000, 0, s4
	v_cndmask_b32_e64 v29, 0x7fc00000, v24, s2
	v_cmp_neq_f32_e64 s2, |v27|, 1.0
	s_delay_alu instid0(VALU_DEP_3) | instskip(SKIP_1) | instid1(VALU_DEP_2)
	v_bfi_b32 v28, 0x7fffffff, v28, v30
	s_wait_alu 0xf1ff
	v_cndmask_b32_e64 v25, 1.0, v25, s2
	v_cmp_gt_f32_e64 s2, 0, v27
	s_wait_alu 0xf1ff
	s_delay_alu instid0(VALU_DEP_1) | instskip(SKIP_2) | instid1(VALU_DEP_1)
	v_cndmask_b32_e64 v24, v24, v29, s2
	v_cmp_class_f32_e64 s2, v26, 0x204
	s_wait_alu 0xf1ff
	v_cndmask_b32_e64 v24, v24, v25, s2
	s_or_b32 s2, s5, s3
	s_wait_alu 0xfffe
	s_delay_alu instid0(VALU_DEP_1) | instskip(SKIP_2) | instid1(VALU_DEP_1)
	v_cndmask_b32_e64 v24, v24, v28, s2
	v_cmp_o_f32_e64 s2, v27, v26
	s_wait_alu 0xf1ff
	v_cndmask_b32_e64 v26, 0x7fc00000, v24, s2
	v_add_co_u32 v24, s2, v14, s8
	s_wait_alu 0xf1ff
	v_add_co_ci_u32_e64 v25, null, s9, v15, s2
	global_store_b32 v[24:25], v26, off
	s_or_b32 exec_lo, exec_lo, s6
	s_and_saveexec_b32 s5, vcc_lo
	s_cbranch_execz .LBB78_3
.LBB78_19:                              ;   in Loop: Header=BB78_4 Depth=1
	s_wait_loadcnt 0x0
	v_cndmask_b32_e64 v25, v23, 1.0, s7
	s_delay_alu instid0(VALU_DEP_1) | instskip(SKIP_3) | instid1(VALU_DEP_1)
	v_cmp_neq_f32_e32 vcc_lo, 0, v25
	v_cmp_neq_f32_e64 s6, v25, |v25|
	s_wait_alu 0xfffd
	v_cndmask_b32_e64 v26, 1.0, s28, vcc_lo
	v_frexp_mant_f32_e64 v23, |v26|
	v_cmp_lt_f32_e64 s26, |v26|, 1.0
	v_cmp_eq_f32_e64 s4, 0, v26
	s_delay_alu instid0(VALU_DEP_3) | instskip(SKIP_3) | instid1(VALU_DEP_1)
	v_cmp_gt_f32_e32 vcc_lo, 0x3f2aaaab, v23
	s_xor_b32 s6, s6, s26
	s_wait_alu 0xfffd
	v_cndmask_b32_e64 v24, 1.0, 2.0, vcc_lo
	v_mul_f32_e32 v23, v23, v24
	s_delay_alu instid0(VALU_DEP_1) | instskip(SKIP_1) | instid1(VALU_DEP_2)
	v_add_f32_e32 v24, 1.0, v23
	v_add_f32_e32 v28, -1.0, v23
	v_add_f32_e32 v30, -1.0, v24
	s_delay_alu instid0(VALU_DEP_1) | instskip(SKIP_1) | instid1(TRANS32_DEP_1)
	v_sub_f32_e32 v23, v23, v30
	v_rcp_f32_e32 v27, v24
	v_mul_f32_e32 v29, v28, v27
	s_delay_alu instid0(VALU_DEP_1) | instskip(NEXT) | instid1(VALU_DEP_1)
	v_mul_f32_e32 v31, v24, v29
	v_fma_f32 v24, v29, v24, -v31
	s_delay_alu instid0(VALU_DEP_1) | instskip(NEXT) | instid1(VALU_DEP_1)
	v_fmac_f32_e32 v24, v29, v23
	v_add_f32_e32 v23, v31, v24
	s_delay_alu instid0(VALU_DEP_1) | instskip(NEXT) | instid1(VALU_DEP_1)
	v_sub_f32_e32 v30, v28, v23
	v_dual_sub_f32 v31, v23, v31 :: v_dual_sub_f32 v28, v28, v30
	s_delay_alu instid0(VALU_DEP_1) | instskip(NEXT) | instid1(VALU_DEP_1)
	v_dual_sub_f32 v24, v31, v24 :: v_dual_sub_f32 v23, v28, v23
	v_add_f32_e32 v23, v24, v23
	s_delay_alu instid0(VALU_DEP_1) | instskip(NEXT) | instid1(VALU_DEP_1)
	v_add_f32_e32 v23, v30, v23
	v_mul_f32_e32 v23, v27, v23
	s_delay_alu instid0(VALU_DEP_1) | instskip(NEXT) | instid1(VALU_DEP_1)
	v_add_f32_e32 v27, v29, v23
	v_sub_f32_e32 v24, v27, v29
	s_delay_alu instid0(VALU_DEP_1) | instskip(NEXT) | instid1(VALU_DEP_1)
	v_sub_f32_e32 v29, v23, v24
	v_dual_mul_f32 v28, v27, v27 :: v_dual_add_f32 v23, v29, v29
	s_delay_alu instid0(VALU_DEP_1) | instskip(NEXT) | instid1(VALU_DEP_1)
	v_fma_f32 v30, v27, v27, -v28
	v_fmac_f32_e32 v30, v27, v23
	v_cvt_f64_f32_e64 v[23:24], |v26|
	s_delay_alu instid0(VALU_DEP_2) | instskip(NEXT) | instid1(VALU_DEP_1)
	v_add_f32_e32 v31, v28, v30
	v_fmaak_f32 v32, s21, v31, 0x3e91f4c4
	v_sub_f32_e32 v28, v31, v28
	s_delay_alu instid0(VALU_DEP_2) | instskip(NEXT) | instid1(VALU_DEP_2)
	v_fmaak_f32 v32, v31, v32, 0x3ecccdef
	v_sub_f32_e32 v28, v30, v28
	s_delay_alu instid0(VALU_DEP_2) | instskip(NEXT) | instid1(VALU_DEP_1)
	v_mul_f32_e32 v33, v31, v32
	v_fma_f32 v30, v31, v32, -v33
	s_delay_alu instid0(VALU_DEP_1) | instskip(NEXT) | instid1(VALU_DEP_1)
	v_dual_fmac_f32 v30, v28, v32 :: v_dual_mul_f32 v35, v27, v31
	v_add_f32_e32 v32, v33, v30
	v_frexp_exp_i32_f64_e32 v23, v[23:24]
	s_delay_alu instid0(VALU_DEP_2) | instskip(NEXT) | instid1(VALU_DEP_1)
	v_sub_f32_e32 v33, v32, v33
	v_sub_f32_e32 v24, v30, v33
	v_fma_f32 v33, v31, v27, -v35
	s_delay_alu instid0(VALU_DEP_1) | instskip(NEXT) | instid1(VALU_DEP_1)
	v_dual_add_f32 v34, 0x3f2aaaaa, v32 :: v_dual_fmac_f32 v33, v31, v29
	v_add_f32_e32 v30, 0xbf2aaaaa, v34
	v_ldexp_f32 v29, v29, 1
	s_delay_alu instid0(VALU_DEP_3) | instskip(NEXT) | instid1(VALU_DEP_3)
	v_dual_fmac_f32 v33, v28, v27 :: v_dual_add_f32 v24, 0x31739010, v24
	v_sub_f32_e32 v30, v32, v30
	s_delay_alu instid0(VALU_DEP_1) | instskip(NEXT) | instid1(VALU_DEP_1)
	v_add_f32_e32 v24, v24, v30
	v_add_f32_e32 v28, v34, v24
	s_delay_alu instid0(VALU_DEP_1) | instskip(SKIP_1) | instid1(VALU_DEP_2)
	v_sub_f32_e32 v31, v34, v28
	v_subrev_co_ci_u32_e64 v23, null, 0, v23, vcc_lo
	v_add_f32_e32 v24, v24, v31
	s_delay_alu instid0(VALU_DEP_2) | instskip(SKIP_1) | instid1(VALU_DEP_1)
	v_cvt_f32_i32_e32 v23, v23
	v_add_f32_e32 v30, v35, v33
	v_mul_f32_e32 v32, v30, v28
	v_sub_f32_e32 v34, v30, v35
	s_delay_alu instid0(VALU_DEP_2) | instskip(NEXT) | instid1(VALU_DEP_2)
	v_fma_f32 v31, v30, v28, -v32
	v_sub_f32_e32 v33, v33, v34
	s_delay_alu instid0(VALU_DEP_2) | instskip(SKIP_1) | instid1(VALU_DEP_2)
	v_fmac_f32_e32 v31, v30, v24
	v_ldexp_f32 v24, v27, 1
	v_fmac_f32_e32 v31, v33, v28
	s_delay_alu instid0(VALU_DEP_1) | instskip(NEXT) | instid1(VALU_DEP_1)
	v_add_f32_e32 v27, v32, v31
	v_add_f32_e32 v28, v24, v27
	v_sub_f32_e32 v30, v27, v32
	v_mul_f32_e32 v32, 0x3f317218, v23
	s_delay_alu instid0(VALU_DEP_3) | instskip(NEXT) | instid1(VALU_DEP_3)
	v_sub_f32_e32 v24, v28, v24
	v_sub_f32_e32 v30, v31, v30
	s_delay_alu instid0(VALU_DEP_3) | instskip(NEXT) | instid1(VALU_DEP_2)
	v_fma_f32 v31, 0x3f317218, v23, -v32
	v_dual_sub_f32 v24, v27, v24 :: v_dual_add_f32 v27, v29, v30
	s_delay_alu instid0(VALU_DEP_2) | instskip(NEXT) | instid1(VALU_DEP_2)
	v_fmac_f32_e32 v31, 0xb102e308, v23
	v_add_f32_e32 v23, v27, v24
	s_delay_alu instid0(VALU_DEP_1) | instskip(NEXT) | instid1(VALU_DEP_1)
	v_add_f32_e32 v27, v28, v23
	v_sub_f32_e32 v28, v27, v28
	s_delay_alu instid0(VALU_DEP_1) | instskip(NEXT) | instid1(VALU_DEP_1)
	v_dual_sub_f32 v23, v23, v28 :: v_dual_add_f32 v24, v32, v31
	v_sub_f32_e32 v32, v24, v32
	s_delay_alu instid0(VALU_DEP_1) | instskip(SKIP_1) | instid1(VALU_DEP_2)
	v_sub_f32_e32 v31, v31, v32
	v_add_f32_e32 v29, v24, v27
	v_add_f32_e32 v28, v31, v23
	s_delay_alu instid0(VALU_DEP_2) | instskip(NEXT) | instid1(VALU_DEP_1)
	v_sub_f32_e32 v30, v29, v24
	v_sub_f32_e32 v33, v29, v30
	s_delay_alu instid0(VALU_DEP_1) | instskip(NEXT) | instid1(VALU_DEP_1)
	v_dual_sub_f32 v27, v27, v30 :: v_dual_sub_f32 v24, v24, v33
	v_dual_add_f32 v24, v27, v24 :: v_dual_sub_f32 v27, v28, v31
	s_delay_alu instid0(VALU_DEP_1) | instskip(NEXT) | instid1(VALU_DEP_2)
	v_add_f32_e32 v24, v28, v24
	v_sub_f32_e32 v28, v28, v27
	s_delay_alu instid0(VALU_DEP_2) | instskip(NEXT) | instid1(VALU_DEP_1)
	v_dual_sub_f32 v23, v23, v27 :: v_dual_add_f32 v30, v29, v24
	v_dual_sub_f32 v27, v31, v28 :: v_dual_sub_f32 v28, v30, v29
	s_delay_alu instid0(VALU_DEP_1) | instskip(NEXT) | instid1(VALU_DEP_1)
	v_dual_add_f32 v23, v23, v27 :: v_dual_sub_f32 v24, v24, v28
	v_add_f32_e32 v23, v23, v24
	s_delay_alu instid0(VALU_DEP_1) | instskip(NEXT) | instid1(VALU_DEP_1)
	v_add_f32_e32 v24, v30, v23
	v_dual_sub_f32 v27, v24, v30 :: v_dual_mul_f32 v28, v25, v24
	s_delay_alu instid0(VALU_DEP_1) | instskip(NEXT) | instid1(VALU_DEP_2)
	v_sub_f32_e32 v23, v23, v27
	v_fma_f32 v24, v25, v24, -v28
	v_cmp_class_f32_e64 vcc_lo, v28, 0x204
	s_delay_alu instid0(VALU_DEP_2) | instskip(NEXT) | instid1(VALU_DEP_1)
	v_fmac_f32_e32 v24, v25, v23
	v_add_f32_e32 v23, v28, v24
	s_wait_alu 0xfffd
	s_delay_alu instid0(VALU_DEP_1) | instskip(NEXT) | instid1(VALU_DEP_1)
	v_cndmask_b32_e32 v27, v23, v28, vcc_lo
	v_cmp_eq_f32_e32 vcc_lo, 0x42b17218, v27
	s_wait_alu 0xfffd
	v_cndmask_b32_e64 v29, 0, 0x37000000, vcc_lo
	v_cmp_neq_f32_e64 vcc_lo, 0x7f800000, |v27|
	s_delay_alu instid0(VALU_DEP_2) | instskip(SKIP_2) | instid1(VALU_DEP_3)
	v_sub_f32_e32 v30, v27, v29
	v_sub_f32_e32 v23, v23, v28
	v_trunc_f32_e32 v27, v25
	v_mul_f32_e32 v31, 0x3fb8aa3b, v30
	s_delay_alu instid0(VALU_DEP_3) | instskip(NEXT) | instid1(VALU_DEP_2)
	v_sub_f32_e32 v23, v24, v23
	v_fma_f32 v32, 0x3fb8aa3b, v30, -v31
	v_rndne_f32_e32 v33, v31
	s_wait_alu 0xfffd
	s_delay_alu instid0(VALU_DEP_3) | instskip(SKIP_1) | instid1(VALU_DEP_3)
	v_cndmask_b32_e32 v23, 0, v23, vcc_lo
	v_cmp_ngt_f32_e32 vcc_lo, 0xc2ce8ed0, v30
	v_dual_fmac_f32 v32, 0x32a5705f, v30 :: v_dual_sub_f32 v31, v31, v33
	v_cvt_i32_f32_e32 v28, v33
	s_delay_alu instid0(VALU_DEP_4) | instskip(NEXT) | instid1(VALU_DEP_3)
	v_add_f32_e32 v23, v29, v23
	v_add_f32_e32 v31, v31, v32
	s_delay_alu instid0(VALU_DEP_1) | instskip(NEXT) | instid1(TRANS32_DEP_1)
	v_exp_f32_e32 v31, v31
	v_ldexp_f32 v24, v31, v28
	v_mul_f32_e32 v28, 0.5, v25
	s_wait_alu 0xfffd
	s_delay_alu instid0(VALU_DEP_2) | instskip(SKIP_1) | instid1(VALU_DEP_3)
	v_cndmask_b32_e32 v24, 0, v24, vcc_lo
	v_cmp_nlt_f32_e32 vcc_lo, 0x42b17218, v30
	v_trunc_f32_e32 v31, v28
	s_wait_alu 0xfffd
	s_delay_alu instid0(VALU_DEP_3) | instskip(SKIP_1) | instid1(VALU_DEP_3)
	v_cndmask_b32_e32 v24, 0x7f800000, v24, vcc_lo
	v_cmp_eq_f32_e32 vcc_lo, v27, v25
	v_cmp_neq_f32_e64 s2, v31, v28
	s_delay_alu instid0(VALU_DEP_3)
	v_fma_f32 v23, v24, v23, v24
	v_cmp_class_f32_e64 s3, v24, 0x204
	s_and_b32 s2, vcc_lo, s2
	s_wait_alu 0xfffe
	v_cndmask_b32_e64 v27, 1.0, v26, s2
	v_cndmask_b32_e64 v29, 0, v26, s2
	v_cndmask_b32_e64 v23, v23, v24, s3
	;; [unrolled: 1-line block ×3, first 2 shown]
	v_cmp_gt_f32_e64 s3, 0, v25
	v_cmp_class_f32_e64 s2, v26, 0x204
	s_delay_alu instid0(VALU_DEP_4) | instskip(SKIP_3) | instid1(VALU_DEP_2)
	v_bfi_b32 v23, 0x7fffffff, v23, v27
	s_xor_b32 s3, s3, s4
	s_wait_alu 0xfffe
	v_cndmask_b32_e64 v27, 0x7f800000, 0, s3
	v_cndmask_b32_e32 v28, 0x7fc00000, v23, vcc_lo
	v_cmp_neq_f32_e64 vcc_lo, |v26|, 1.0
	s_delay_alu instid0(VALU_DEP_3)
	v_bfi_b32 v27, 0x7fffffff, v27, v29
	s_wait_alu 0xfffd
	v_cndmask_b32_e32 v24, 1.0, v24, vcc_lo
	v_cmp_gt_f32_e32 vcc_lo, 0, v26
	s_wait_alu 0xfffd
	v_cndmask_b32_e32 v23, v23, v28, vcc_lo
	v_cmp_class_f32_e64 vcc_lo, v25, 0x204
	s_wait_alu 0xfffd
	s_delay_alu instid0(VALU_DEP_2) | instskip(SKIP_2) | instid1(VALU_DEP_1)
	v_cndmask_b32_e32 v23, v23, v24, vcc_lo
	s_or_b32 vcc_lo, s4, s2
	s_wait_alu 0xfffe
	v_cndmask_b32_e32 v23, v23, v27, vcc_lo
	v_cmp_o_f32_e32 vcc_lo, v26, v25
	s_wait_alu 0xfffd
	s_delay_alu instid0(VALU_DEP_2)
	v_cndmask_b32_e32 v25, 0x7fc00000, v23, vcc_lo
	v_add_co_u32 v23, vcc_lo, v7, s8
	s_wait_alu 0xfffd
	v_add_co_ci_u32_e64 v24, null, s9, v8, vcc_lo
	global_store_b32 v[23:24], v25, off
	s_branch .LBB78_3
.LBB78_20:
	s_mov_b32 s2, 0
.LBB78_21:
	s_wait_alu 0xfffe
	s_and_not1_b32 vcc_lo, exec_lo, s2
	s_wait_alu 0xfffe
	s_cbranch_vccnz .LBB78_25
; %bb.22:
	v_cmp_gt_i64_e64 s2, 0x10000, s[10:11]
	v_dual_mov_b32 v2, 0 :: v_dual_lshlrev_b32 v1, 2, v0
	s_mov_b32 s29, 0
	s_and_b32 s2, s2, exec_lo
	s_cselect_b32 s27, s11, 0
	s_cselect_b32 s26, s10, 0x10000
	s_mov_b32 s2, exec_lo
	s_wait_alu 0xfffe
	v_cmpx_gt_i64_e64 s[26:27], v[1:2]
	s_cbranch_execz .LBB78_25
; %bb.23:
	s_load_b32 s0, s[0:1], 0xc5c
	v_lshlrev_b32_e32 v3, 4, v0
	s_cmp_eq_f32 s28, 1.0
	v_mov_b32_e32 v1, v2
	s_mov_b32 s34, 0x3e76c4e1
	s_delay_alu instid0(VALU_DEP_2) | instskip(NEXT) | instid1(VALU_DEP_1)
	v_add_co_u32 v8, s1, s8, v3
	v_add_co_ci_u32_e64 v9, null, s9, 0, s1
	s_cselect_b32 s30, -1, 0
	s_wait_kmcnt 0x0
	s_and_b32 s31, s0, 0xffff
	s_delay_alu instid0(SALU_CYCLE_1)
	s_lshl_b32 s33, s31, 4
.LBB78_24:                              ; =>This Inner Loop Header: Depth=1
	v_add_co_u32 v2, vcc_lo, s22, v8
	s_wait_alu 0xfffd
	v_add_co_ci_u32_e64 v3, null, s23, v9, vcc_lo
	v_add_co_u32 v0, vcc_lo, v0, s31
	s_wait_alu 0xfffd
	v_add_co_ci_u32_e64 v1, null, 0, v1, vcc_lo
	global_load_b128 v[2:5], v[2:3], off
	v_add_co_u32 v6, vcc_lo, s24, v8
	v_lshlrev_b64_e32 v[10:11], 2, v[0:1]
	s_wait_alu 0xfffd
	v_add_co_ci_u32_e64 v7, null, s25, v9, vcc_lo
	v_add_co_u32 v8, vcc_lo, v8, s33
	s_wait_alu 0xfffd
	v_add_co_ci_u32_e64 v9, null, 0, v9, vcc_lo
	v_cmp_le_i64_e64 s0, s[26:27], v[10:11]
	s_wait_loadcnt 0x0
	v_cndmask_b32_e64 v2, v2, 1.0, s30
	v_cndmask_b32_e64 v11, v3, 1.0, s30
	;; [unrolled: 1-line block ×4, first 2 shown]
	s_delay_alu instid0(VALU_DEP_4) | instskip(NEXT) | instid1(VALU_DEP_4)
	v_cmp_neq_f32_e64 s1, 0, v2
	v_cmp_gt_f32_e64 s10, 0, v11
	v_trunc_f32_e32 v16, v11
	v_cmp_neq_f32_e64 s15, v2, |v2|
	v_cmp_gt_f32_e64 s9, 0, v2
	s_wait_alu 0xf1ff
	v_cndmask_b32_e64 v4, 1.0, s28, s1
	v_cmp_neq_f32_e64 s1, 0, v11
	v_cmp_eq_f32_e64 s6, v16, v11
	v_trunc_f32_e32 v14, v2
	v_trunc_f32_e32 v18, v10
	v_frexp_mant_f32_e64 v22, |v4|
	s_wait_alu 0xf1ff
	v_cndmask_b32_e64 v5, 1.0, s28, s1
	v_cmp_neq_f32_e64 s1, 0, v10
	v_cmp_lt_f32_e64 s16, |v4|, 1.0
	v_cmp_eq_f32_e64 s4, v14, v2
	v_cmp_gt_f32_e64 s13, 0x3f2aaaab, v22
	v_cmp_eq_f32_e64 s2, 0, v5
	s_wait_alu 0xf1ff
	v_cndmask_b32_e64 v12, 1.0, s28, s1
	v_cmp_neq_f32_e64 s1, 0, v3
	v_frexp_mant_f32_e64 v23, |v5|
	v_cndmask_b32_e64 v34, 1.0, 2.0, s13
	v_mul_f32_e32 v17, 0.5, v11
	v_frexp_mant_f32_e64 v24, |v12|
	s_xor_b32 s10, s10, s2
	v_cndmask_b32_e64 v13, 1.0, s28, s1
	s_wait_alu 0xfffe
	v_cndmask_b32_e64 v36, 0x7f800000, 0, s10
	v_mul_f32_e32 v34, v22, v34
	v_trunc_f32_e32 v16, v17
	v_cmp_gt_f32_e64 s10, 0x3f2aaaab, v24
	v_cmp_eq_f32_e64 s1, 0, v4
	s_xor_b32 s15, s15, s16
	v_cvt_f64_f32_e64 v[26:27], |v4|
	v_cmp_neq_f32_e64 s16, v16, v17
	v_cndmask_b32_e64 v17, 1.0, 2.0, s10
	v_mul_f32_e32 v15, 0.5, v2
	s_xor_b32 s9, s9, s1
	v_cvt_f64_f32_e64 v[28:29], |v5|
	s_wait_alu 0xfffe
	v_cndmask_b32_e64 v35, 0x7f800000, 0, s9
	v_cmp_gt_f32_e64 s9, 0x3f2aaaab, v23
	v_mul_f32_e32 v40, v24, v17
	v_trunc_f32_e32 v14, v15
	v_cvt_f64_f32_e64 v[32:33], |v13|
	v_cmp_gt_f32_e64 s11, 0, v10
	v_trunc_f32_e32 v20, v3
	v_add_f32_e32 v48, 1.0, v40
	v_cmp_neq_f32_e64 s14, v14, v15
	s_wait_alu 0xf1ff
	v_cndmask_b32_e64 v15, 1.0, 2.0, s9
	v_dual_mul_f32 v21, 0.5, v3 :: v_dual_add_f32 v44, 1.0, v34
	v_cmp_eq_f32_e64 s3, 0, v12
	v_cmp_neq_f32_e64 s17, v11, |v11|
	s_delay_alu instid0(VALU_DEP_4)
	v_mul_f32_e32 v39, v23, v15
	v_mul_f32_e32 v19, 0.5, v10
	v_cmp_lt_f32_e64 s18, |v5|, 1.0
	v_cmp_eq_f32_e64 s7, v18, v10
	v_frexp_mant_f32_e64 v25, |v13|
	v_add_f32_e32 v46, 1.0, v39
	v_trunc_f32_e32 v18, v19
	v_cmp_neq_f32_e64 s19, v10, |v10|
	v_cmp_lt_f32_e64 s20, |v12|, 1.0
	v_cmp_eq_f32_e64 s8, v20, v3
	v_trunc_f32_e32 v20, v21
	s_xor_b32 s11, s11, s3
	s_xor_b32 s17, s17, s18
	v_cmp_neq_f32_e64 s18, v18, v19
	s_wait_alu 0xfffe
	v_cndmask_b32_e64 v19, 0x7f800000, 0, s11
	v_cmp_gt_f32_e64 s11, 0x3f2aaaab, v25
	v_cmp_gt_f32_e64 s12, 0, v3
	v_cmp_eq_f32_e64 s5, 0, v13
	v_cvt_f64_f32_e64 v[30:31], |v12|
	v_cmp_neq_f32_e64 s21, v3, |v3|
	v_cmp_lt_f32_e64 s39, |v13|, 1.0
	v_cndmask_b32_e64 v14, 0x7f800000, 0, s15
	v_cmp_neq_f32_e64 s15, |v4|, 1.0
	s_xor_b32 s19, s19, s20
	v_cmp_neq_f32_e64 s20, v20, v21
	v_cndmask_b32_e64 v16, 0x7f800000, 0, s17
	v_cmp_neq_f32_e64 s17, |v5|, 1.0
	s_wait_alu 0xfffe
	v_cndmask_b32_e64 v18, 0x7f800000, 0, s19
	v_cmp_neq_f32_e64 s19, |v12|, 1.0
	v_cndmask_b32_e64 v37, 1.0, 2.0, s11
	s_xor_b32 s12, s12, s5
	s_xor_b32 s21, s21, s39
	s_wait_alu 0xfffe
	v_cndmask_b32_e64 v38, 0x7f800000, 0, s12
	s_and_b32 s12, s4, s14
	v_cndmask_b32_e64 v14, 1.0, v14, s15
	s_and_b32 s14, s6, s16
	s_and_b32 s15, s7, s18
	;; [unrolled: 1-line block ×3, first 2 shown]
	v_cndmask_b32_e64 v20, 0x7f800000, 0, s21
	v_cmp_neq_f32_e64 s21, |v13|, 1.0
	v_cndmask_b32_e64 v15, 1.0, v16, s17
	v_cndmask_b32_e64 v16, 1.0, v18, s19
	v_mul_f32_e32 v37, v25, v37
	s_wait_alu 0xfffe
	v_cndmask_b32_e64 v18, 0, v4, s12
	v_cndmask_b32_e64 v41, 0, v12, s15
	;; [unrolled: 1-line block ×3, first 2 shown]
	v_rcp_f32_e32 v51, v48
	s_wait_alu 0xf1ff
	v_cndmask_b32_e64 v17, 1.0, v20, s21
	v_cndmask_b32_e64 v21, 0, v5, s14
	v_add_f32_e32 v45, -1.0, v39
	v_bfi_b32 v20, 0x7fffffff, v35, v18
	v_bfi_b32 v19, 0x7fffffff, v19, v41
	;; [unrolled: 1-line block ×3, first 2 shown]
	v_add_f32_e32 v38, -1.0, v46
	v_dual_add_f32 v43, -1.0, v34 :: v_dual_add_f32 v50, 1.0, v37
	v_rcp_f32_e32 v41, v46
	v_add_f32_e32 v42, -1.0, v48
	v_add_f32_e32 v35, -1.0, v44
	;; [unrolled: 1-line block ×4, first 2 shown]
	v_bfi_b32 v21, 0x7fffffff, v36, v21
	v_rcp_f32_e32 v36, v44
	v_dual_sub_f32 v34, v34, v35 :: v_dual_add_f32 v53, -1.0, v50
	v_sub_f32_e32 v35, v39, v38
	v_sub_f32_e32 v38, v40, v42
	v_mul_f32_e32 v42, v47, v51
	v_frexp_exp_i32_f64_e32 v26, v[26:27]
	v_sub_f32_e32 v37, v37, v53
	v_frexp_exp_i32_f64_e32 v27, v[28:29]
	v_frexp_exp_i32_f64_e32 v29, v[32:33]
	v_mul_f32_e32 v56, v48, v42
	v_rcp_f32_e32 v52, v50
	v_frexp_exp_i32_f64_e32 v28, v[30:31]
	v_mul_f32_e32 v40, v45, v41
	v_cndmask_b32_e64 v22, 1.0, v4, s12
	v_fma_f32 v32, v42, v48, -v56
	v_mul_f32_e32 v39, v43, v36
	v_cndmask_b32_e64 v23, 1.0, v5, s14
	v_cndmask_b32_e64 v24, 1.0, v12, s15
	;; [unrolled: 1-line block ×3, first 2 shown]
	v_fmac_f32_e32 v32, v42, v38
	v_mul_f32_e32 v54, v44, v39
	v_cmp_class_f32_e64 s35, v4, 0x204
	v_cmp_class_f32_e64 s36, v5, 0x204
	;; [unrolled: 1-line block ×4, first 2 shown]
	v_fma_f32 v30, v39, v44, -v54
	v_mul_f32_e32 v53, v49, v52
	s_or_b32 s2, s2, s36
	s_or_b32 s3, s3, s37
	;; [unrolled: 1-line block ×3, first 2 shown]
	v_fmac_f32_e32 v30, v39, v34
	s_delay_alu instid0(VALU_DEP_1) | instskip(SKIP_1) | instid1(VALU_DEP_2)
	v_add_f32_e32 v34, v54, v30
	v_mul_f32_e32 v57, v50, v53
	v_sub_f32_e32 v44, v34, v54
	s_delay_alu instid0(VALU_DEP_2) | instskip(SKIP_2) | instid1(VALU_DEP_3)
	v_fma_f32 v33, v53, v50, -v57
	v_subrev_co_ci_u32_e64 v26, null, 0, v26, s13
	v_subrev_co_ci_u32_e64 v27, null, 0, v27, s9
	v_fmac_f32_e32 v33, v53, v37
	v_mul_f32_e32 v55, v46, v40
	v_subrev_co_ci_u32_e64 v28, null, 0, v28, s10
	v_subrev_co_ci_u32_e64 v29, null, 0, v29, s11
	s_delay_alu instid0(VALU_DEP_4) | instskip(NEXT) | instid1(VALU_DEP_4)
	v_add_f32_e32 v38, v57, v33
	v_fma_f32 v31, v40, v46, -v55
	v_cvt_f32_i32_e32 v26, v26
	v_cvt_f32_i32_e32 v27, v27
	v_cvt_f32_i32_e32 v28, v28
	v_cvt_f32_i32_e32 v29, v29
	v_fmac_f32_e32 v31, v40, v35
	s_delay_alu instid0(VALU_DEP_1) | instskip(SKIP_1) | instid1(VALU_DEP_2)
	v_add_f32_e32 v35, v55, v31
	v_dual_add_f32 v37, v56, v32 :: v_dual_sub_f32 v46, v43, v34
	v_sub_f32_e32 v48, v35, v55
	v_sub_f32_e32 v50, v45, v35
	s_delay_alu instid0(VALU_DEP_3) | instskip(SKIP_1) | instid1(VALU_DEP_2)
	v_dual_sub_f32 v54, v37, v56 :: v_dual_sub_f32 v55, v47, v37
	v_dual_sub_f32 v56, v38, v57 :: v_dual_sub_f32 v57, v49, v38
	v_dual_sub_f32 v43, v43, v46 :: v_dual_sub_f32 v32, v54, v32
	v_sub_f32_e32 v30, v44, v30
	v_dual_sub_f32 v44, v45, v50 :: v_dual_sub_f32 v31, v48, v31
	v_sub_f32_e32 v45, v47, v55
	s_delay_alu instid0(VALU_DEP_4) | instskip(NEXT) | instid1(VALU_DEP_3)
	v_dual_sub_f32 v47, v49, v57 :: v_dual_sub_f32 v34, v43, v34
	v_sub_f32_e32 v35, v44, v35
	v_sub_f32_e32 v33, v56, v33
	v_mul_f32_e32 v44, 0x3f317218, v29
	s_delay_alu instid0(VALU_DEP_4) | instskip(SKIP_1) | instid1(VALU_DEP_1)
	v_sub_f32_e32 v38, v47, v38
	v_dual_add_f32 v30, v30, v34 :: v_dual_sub_f32 v37, v45, v37
	v_dual_add_f32 v30, v46, v30 :: v_dual_add_f32 v31, v31, v35
	s_delay_alu instid0(VALU_DEP_2) | instskip(SKIP_1) | instid1(VALU_DEP_3)
	v_dual_add_f32 v32, v32, v37 :: v_dual_add_f32 v33, v33, v38
	v_mul_f32_e32 v38, 0x3f317218, v26
	v_dual_mul_f32 v30, v36, v30 :: v_dual_add_f32 v31, v50, v31
	s_delay_alu instid0(VALU_DEP_3) | instskip(NEXT) | instid1(VALU_DEP_3)
	v_dual_add_f32 v32, v55, v32 :: v_dual_add_f32 v33, v57, v33
	v_fma_f32 v54, 0x3f317218, v26, -v38
	s_delay_alu instid0(VALU_DEP_3) | instskip(NEXT) | instid1(VALU_DEP_3)
	v_dual_add_f32 v34, v39, v30 :: v_dual_mul_f32 v31, v41, v31
	v_dual_mul_f32 v32, v51, v32 :: v_dual_mul_f32 v33, v52, v33
	v_mul_f32_e32 v41, 0x3f317218, v27
	v_fma_f32 v57, 0x3f317218, v29, -v44
	s_delay_alu instid0(VALU_DEP_3) | instskip(NEXT) | instid1(VALU_DEP_4)
	v_dual_add_f32 v35, v40, v31 :: v_dual_add_f32 v36, v42, v32
	v_add_f32_e32 v37, v53, v33
	v_mul_f32_e32 v43, 0x3f317218, v28
	v_fma_f32 v55, 0x3f317218, v27, -v41
	s_delay_alu instid0(VALU_DEP_4) | instskip(NEXT) | instid1(VALU_DEP_4)
	v_dual_sub_f32 v40, v35, v40 :: v_dual_sub_f32 v39, v34, v39
	v_mul_f32_e32 v52, v37, v37
	v_dual_sub_f32 v42, v36, v42 :: v_dual_mul_f32 v47, v35, v35
	s_delay_alu instid0(VALU_DEP_3) | instskip(SKIP_4) | instid1(VALU_DEP_4)
	v_dual_mul_f32 v49, v36, v36 :: v_dual_sub_f32 v30, v30, v39
	v_dual_sub_f32 v51, v37, v53 :: v_dual_fmac_f32 v54, 0xb102e308, v26
	v_fma_f32 v56, 0x3f317218, v28, -v43
	v_mul_f32_e32 v45, v34, v34
	v_dual_sub_f32 v32, v32, v42 :: v_dual_sub_f32 v31, v31, v40
	v_dual_add_f32 v26, v30, v30 :: v_dual_sub_f32 v33, v33, v51
	s_delay_alu instid0(VALU_DEP_4) | instskip(NEXT) | instid1(VALU_DEP_4)
	v_fmac_f32_e32 v56, 0xb102e308, v28
	v_fma_f32 v39, v34, v34, -v45
	s_delay_alu instid0(VALU_DEP_4)
	v_dual_fmac_f32 v57, 0xb102e308, v29 :: v_dual_add_f32 v28, v31, v31
	v_dual_add_f32 v58, v32, v32 :: v_dual_fmac_f32 v55, 0xb102e308, v27
	v_add_f32_e32 v60, v33, v33
	v_fma_f32 v40, v35, v35, -v47
	v_fma_f32 v42, v36, v36, -v49
	;; [unrolled: 1-line block ×3, first 2 shown]
	v_dual_add_f32 v62, v38, v54 :: v_dual_add_f32 v63, v41, v55
	v_dual_add_f32 v64, v43, v56 :: v_dual_add_f32 v65, v44, v57
	v_dual_fmac_f32 v39, v34, v26 :: v_dual_fmac_f32 v40, v35, v28
	s_delay_alu instid0(VALU_DEP_4) | instskip(NEXT) | instid1(VALU_DEP_4)
	v_dual_fmac_f32 v42, v36, v58 :: v_dual_fmac_f32 v51, v37, v60
	v_sub_f32_e32 v26, v62, v38
	s_delay_alu instid0(VALU_DEP_4) | instskip(SKIP_3) | instid1(VALU_DEP_4)
	v_dual_sub_f32 v28, v63, v41 :: v_dual_sub_f32 v41, v65, v44
	v_sub_f32_e32 v38, v64, v43
	v_dual_add_f32 v43, v45, v39 :: v_dual_add_f32 v44, v47, v40
	v_add_f32_e32 v58, v49, v42
	v_sub_f32_e32 v41, v57, v41
	v_ldexp_f32 v27, v30, 1
	s_delay_alu instid0(VALU_DEP_4) | instskip(NEXT) | instid1(VALU_DEP_4)
	v_sub_f32_e32 v45, v43, v45
	v_dual_sub_f32 v28, v55, v28 :: v_dual_sub_f32 v49, v58, v49
	v_mul_f32_e32 v55, v34, v43
	v_dual_add_f32 v60, v52, v51 :: v_dual_mul_f32 v57, v35, v44
	v_dual_sub_f32 v26, v54, v26 :: v_dual_sub_f32 v47, v44, v47
	s_delay_alu instid0(VALU_DEP_2)
	v_dual_sub_f32 v38, v56, v38 :: v_dual_mul_f32 v69, v37, v60
	v_dual_fmaak_f32 v54, s34, v43, 0x3e91f4c4 :: v_dual_mul_f32 v67, v36, v58
	v_dual_fmaak_f32 v56, s34, v44, 0x3e91f4c4 :: v_dual_sub_f32 v39, v39, v45
	v_fma_f32 v45, v43, v34, -v55
	v_fmaak_f32 v68, s34, v60, 0x3e91f4c4
	v_ldexp_f32 v46, v34, 1
	v_ldexp_f32 v29, v31, 1
	v_ldexp_f32 v48, v35, 1
	s_delay_alu instid0(VALU_DEP_4)
	v_dual_fmac_f32 v45, v43, v30 :: v_dual_fmaak_f32 v68, v60, v68, 0x3ecccdef
	v_sub_f32_e32 v42, v42, v49
	v_fma_f32 v49, v58, v36, -v67
	v_sub_f32_e32 v40, v40, v47
	v_fma_f32 v47, v44, v35, -v57
	v_fmaak_f32 v54, v43, v54, 0x3ecccdef
	v_dual_sub_f32 v52, v60, v52 :: v_dual_fmac_f32 v45, v39, v34
	v_fmaak_f32 v66, s34, v58, 0x3e91f4c4
	v_fmaak_f32 v56, v44, v56, 0x3ecccdef
	v_fmac_f32_e32 v47, v44, v31
	v_dual_fmac_f32 v49, v58, v32 :: v_dual_mul_f32 v30, v43, v54
	v_sub_f32_e32 v51, v51, v52
	v_ldexp_f32 v59, v32, 1
	s_delay_alu instid0(VALU_DEP_4)
	v_fmac_f32_e32 v47, v40, v35
	v_fma_f32 v52, v60, v37, -v69
	v_fma_f32 v34, v43, v54, -v30
	v_dual_add_f32 v43, v55, v45 :: v_dual_fmaak_f32 v66, v58, v66, 0x3ecccdef
	v_mul_f32_e32 v31, v44, v56
	v_ldexp_f32 v50, v36, 1
	v_ldexp_f32 v61, v33, 1
	v_fmac_f32_e32 v52, v60, v33
	v_ldexp_f32 v53, v37, 1
	v_fma_f32 v35, v44, v56, -v31
	s_delay_alu instid0(VALU_DEP_1) | instskip(SKIP_3) | instid1(VALU_DEP_4)
	v_dual_mul_f32 v32, v58, v66 :: v_dual_fmac_f32 v35, v40, v56
	v_dual_fmac_f32 v34, v39, v54 :: v_dual_add_f32 v39, v57, v47
	v_mul_f32_e32 v33, v60, v68
	v_fmac_f32_e32 v49, v42, v36
	v_fma_f32 v36, v58, v66, -v32
	v_sub_f32_e32 v44, v43, v55
	v_sub_f32_e32 v54, v39, v57
	s_delay_alu instid0(VALU_DEP_3) | instskip(NEXT) | instid1(VALU_DEP_1)
	v_dual_add_f32 v55, v31, v35 :: v_dual_fmac_f32 v36, v42, v66
	v_sub_f32_e32 v31, v55, v31
	s_delay_alu instid0(VALU_DEP_2) | instskip(SKIP_1) | instid1(VALU_DEP_3)
	v_dual_add_f32 v57, v32, v36 :: v_dual_fmac_f32 v52, v51, v37
	v_fma_f32 v37, v60, v68, -v33
	v_sub_f32_e32 v31, v35, v31
	s_delay_alu instid0(VALU_DEP_2) | instskip(NEXT) | instid1(VALU_DEP_4)
	v_fmac_f32_e32 v37, v51, v68
	v_dual_add_f32 v51, v30, v34 :: v_dual_add_f32 v42, v69, v52
	s_delay_alu instid0(VALU_DEP_3) | instskip(NEXT) | instid1(VALU_DEP_3)
	v_dual_add_f32 v40, v67, v49 :: v_dual_add_f32 v31, 0x31739010, v31
	v_add_f32_e32 v60, v33, v37
	v_sub_f32_e32 v44, v45, v44
	s_delay_alu instid0(VALU_DEP_4) | instskip(NEXT) | instid1(VALU_DEP_3)
	v_dual_sub_f32 v58, v42, v69 :: v_dual_add_f32 v45, 0x3f2aaaaa, v51
	v_dual_sub_f32 v33, v60, v33 :: v_dual_sub_f32 v30, v51, v30
	s_delay_alu instid0(VALU_DEP_2) | instskip(NEXT) | instid1(VALU_DEP_2)
	v_sub_f32_e32 v52, v52, v58
	v_dual_add_f32 v58, 0x3f2aaaaa, v60 :: v_dual_sub_f32 v33, v37, v33
	s_delay_alu instid0(VALU_DEP_3) | instskip(NEXT) | instid1(VALU_DEP_2)
	v_sub_f32_e32 v30, v34, v30
	v_dual_add_f32 v37, 0xbf2aaaaa, v58 :: v_dual_sub_f32 v56, v40, v67
	v_dual_sub_f32 v47, v47, v54 :: v_dual_add_f32 v54, 0x3f2aaaaa, v55
	s_delay_alu instid0(VALU_DEP_4) | instskip(NEXT) | instid1(VALU_DEP_3)
	v_add_f32_e32 v33, 0x31739010, v33
	v_dual_sub_f32 v37, v60, v37 :: v_dual_sub_f32 v32, v57, v32
	s_delay_alu instid0(VALU_DEP_4) | instskip(NEXT) | instid1(VALU_DEP_4)
	v_sub_f32_e32 v49, v49, v56
	v_add_f32_e32 v35, 0xbf2aaaaa, v54
	v_add_f32_e32 v56, 0x3f2aaaaa, v57
	s_delay_alu instid0(VALU_DEP_4) | instskip(NEXT) | instid1(VALU_DEP_1)
	v_dual_add_f32 v33, v33, v37 :: v_dual_sub_f32 v32, v36, v32
	v_dual_sub_f32 v35, v55, v35 :: v_dual_add_f32 v32, 0x31739010, v32
	s_delay_alu instid0(VALU_DEP_1) | instskip(NEXT) | instid1(VALU_DEP_3)
	v_dual_add_f32 v31, v31, v35 :: v_dual_add_f32 v34, 0xbf2aaaaa, v45
	v_dual_add_f32 v36, 0xbf2aaaaa, v56 :: v_dual_add_f32 v37, v58, v33
	s_delay_alu instid0(VALU_DEP_2) | instskip(NEXT) | instid1(VALU_DEP_2)
	v_dual_add_f32 v35, v54, v31 :: v_dual_add_f32 v30, 0x31739010, v30
	v_sub_f32_e32 v36, v57, v36
	s_delay_alu instid0(VALU_DEP_3) | instskip(SKIP_1) | instid1(VALU_DEP_4)
	v_sub_f32_e32 v58, v58, v37
	v_mul_f32_e32 v60, v42, v37
	v_sub_f32_e32 v54, v54, v35
	s_delay_alu instid0(VALU_DEP_4) | instskip(NEXT) | instid1(VALU_DEP_4)
	v_dual_mul_f32 v55, v39, v35 :: v_dual_add_f32 v32, v32, v36
	v_add_f32_e32 v33, v33, v58
	s_delay_alu instid0(VALU_DEP_4) | instskip(NEXT) | instid1(VALU_DEP_4)
	v_fma_f32 v58, v42, v37, -v60
	v_add_f32_e32 v31, v31, v54
	s_delay_alu instid0(VALU_DEP_4) | instskip(SKIP_2) | instid1(VALU_DEP_2)
	v_fma_f32 v54, v39, v35, -v55
	v_add_f32_e32 v36, v56, v32
	v_sub_f32_e32 v34, v51, v34
	v_dual_fmac_f32 v54, v39, v31 :: v_dual_mul_f32 v57, v40, v36
	s_delay_alu instid0(VALU_DEP_1) | instskip(NEXT) | instid1(VALU_DEP_1)
	v_fmac_f32_e32 v54, v47, v35
	v_dual_sub_f32 v56, v56, v36 :: v_dual_add_f32 v31, v55, v54
	s_delay_alu instid0(VALU_DEP_1) | instskip(NEXT) | instid1(VALU_DEP_4)
	v_add_f32_e32 v32, v32, v56
	v_fma_f32 v56, v40, v36, -v57
	v_add_f32_e32 v30, v30, v34
	s_delay_alu instid0(VALU_DEP_2) | instskip(NEXT) | instid1(VALU_DEP_1)
	v_fmac_f32_e32 v56, v40, v32
	v_fmac_f32_e32 v56, v49, v36
	v_fmac_f32_e32 v58, v42, v33
	s_delay_alu instid0(VALU_DEP_2) | instskip(NEXT) | instid1(VALU_DEP_2)
	v_add_f32_e32 v32, v57, v56
	v_fmac_f32_e32 v58, v52, v37
	v_dual_add_f32 v37, v48, v31 :: v_dual_add_f32 v34, v45, v30
	s_delay_alu instid0(VALU_DEP_3) | instskip(NEXT) | instid1(VALU_DEP_2)
	v_dual_sub_f32 v36, v31, v55 :: v_dual_sub_f32 v39, v32, v57
	v_sub_f32_e32 v45, v45, v34
	s_delay_alu instid0(VALU_DEP_2) | instskip(NEXT) | instid1(VALU_DEP_2)
	v_dual_mul_f32 v51, v43, v34 :: v_dual_sub_f32 v36, v54, v36
	v_add_f32_e32 v30, v30, v45
	s_delay_alu instid0(VALU_DEP_2) | instskip(NEXT) | instid1(VALU_DEP_3)
	v_fma_f32 v45, v43, v34, -v51
	v_add_f32_e32 v29, v29, v36
	s_delay_alu instid0(VALU_DEP_2) | instskip(NEXT) | instid1(VALU_DEP_1)
	v_fmac_f32_e32 v45, v43, v30
	v_fmac_f32_e32 v45, v44, v34
	s_delay_alu instid0(VALU_DEP_1) | instskip(NEXT) | instid1(VALU_DEP_1)
	v_add_f32_e32 v30, v51, v45
	v_sub_f32_e32 v34, v30, v51
	s_delay_alu instid0(VALU_DEP_1) | instskip(SKIP_2) | instid1(VALU_DEP_3)
	v_sub_f32_e32 v34, v45, v34
	v_sub_f32_e32 v45, v37, v48
	v_add_f32_e32 v33, v60, v58
	v_add_f32_e32 v27, v27, v34
	s_delay_alu instid0(VALU_DEP_3) | instskip(NEXT) | instid1(VALU_DEP_3)
	v_sub_f32_e32 v31, v31, v45
	v_add_f32_e32 v43, v53, v33
	v_sub_f32_e32 v39, v56, v39
	s_delay_alu instid0(VALU_DEP_3) | instskip(SKIP_1) | instid1(VALU_DEP_4)
	v_add_f32_e32 v29, v29, v31
	v_dual_add_f32 v35, v46, v30 :: v_dual_sub_f32 v42, v33, v60
	v_sub_f32_e32 v47, v43, v53
	s_delay_alu instid0(VALU_DEP_1) | instskip(NEXT) | instid1(VALU_DEP_1)
	v_dual_sub_f32 v33, v33, v47 :: v_dual_sub_f32 v42, v58, v42
	v_add_f32_e32 v36, v61, v42
	s_delay_alu instid0(VALU_DEP_1) | instskip(SKIP_1) | instid1(VALU_DEP_2)
	v_dual_add_f32 v40, v50, v32 :: v_dual_add_f32 v31, v36, v33
	v_dual_add_f32 v33, v37, v29 :: v_dual_sub_f32 v44, v35, v46
	v_add_f32_e32 v36, v43, v31
	s_delay_alu instid0(VALU_DEP_2) | instskip(NEXT) | instid1(VALU_DEP_2)
	v_dual_sub_f32 v46, v40, v50 :: v_dual_sub_f32 v37, v33, v37
	v_dual_sub_f32 v30, v30, v44 :: v_dual_sub_f32 v43, v36, v43
	s_delay_alu instid0(VALU_DEP_2) | instskip(NEXT) | instid1(VALU_DEP_3)
	v_dual_add_f32 v45, v65, v36 :: v_dual_sub_f32 v32, v32, v46
	v_dual_sub_f32 v29, v29, v37 :: v_dual_add_f32 v34, v59, v39
	s_delay_alu instid0(VALU_DEP_3) | instskip(NEXT) | instid1(VALU_DEP_4)
	v_add_f32_e32 v27, v27, v30
	v_sub_f32_e32 v31, v31, v43
	s_delay_alu instid0(VALU_DEP_4) | instskip(NEXT) | instid1(VALU_DEP_1)
	v_sub_f32_e32 v43, v45, v65
	v_dual_add_f32 v42, v63, v33 :: v_dual_sub_f32 v49, v45, v43
	s_delay_alu instid0(VALU_DEP_1) | instskip(SKIP_1) | instid1(VALU_DEP_3)
	v_sub_f32_e32 v37, v42, v63
	v_add_f32_e32 v30, v34, v32
	v_dual_add_f32 v32, v35, v27 :: v_dual_sub_f32 v49, v65, v49
	s_delay_alu instid0(VALU_DEP_3) | instskip(SKIP_1) | instid1(VALU_DEP_3)
	v_sub_f32_e32 v47, v42, v37
	v_sub_f32_e32 v33, v33, v37
	;; [unrolled: 1-line block ×3, first 2 shown]
	v_add_f32_e32 v39, v62, v32
	v_add_f32_e32 v37, v28, v29
	v_sub_f32_e32 v36, v36, v43
	v_add_f32_e32 v43, v41, v31
	v_dual_sub_f32 v27, v27, v35 :: v_dual_add_f32 v34, v40, v30
	v_sub_f32_e32 v35, v39, v62
	v_sub_f32_e32 v47, v63, v47
	s_delay_alu instid0(VALU_DEP_4) | instskip(SKIP_1) | instid1(VALU_DEP_4)
	v_sub_f32_e32 v53, v43, v41
	v_dual_sub_f32 v51, v37, v28 :: v_dual_add_f32 v36, v36, v49
	v_sub_f32_e32 v46, v39, v35
	v_sub_f32_e32 v32, v32, v35
	v_add_f32_e32 v35, v26, v27
	v_sub_f32_e32 v40, v34, v40
	v_add_f32_e32 v44, v64, v34
	v_dual_sub_f32 v46, v62, v46 :: v_dual_sub_f32 v29, v29, v51
	s_delay_alu instid0(VALU_DEP_3) | instskip(NEXT) | instid1(VALU_DEP_3)
	v_dual_add_f32 v33, v33, v47 :: v_dual_sub_f32 v30, v30, v40
	v_sub_f32_e32 v40, v44, v64
	v_sub_f32_e32 v50, v35, v26
	;; [unrolled: 1-line block ×4, first 2 shown]
	s_delay_alu instid0(VALU_DEP_4)
	v_dual_add_f32 v33, v37, v33 :: v_dual_sub_f32 v48, v44, v40
	v_sub_f32_e32 v34, v34, v40
	v_add_f32_e32 v40, v38, v30
	v_sub_f32_e32 v27, v27, v50
	v_dual_add_f32 v32, v32, v46 :: v_dual_sub_f32 v37, v41, v49
	v_dual_sub_f32 v48, v64, v48 :: v_dual_sub_f32 v31, v31, v53
	v_sub_f32_e32 v46, v35, v50
	v_sub_f32_e32 v52, v40, v38
	s_delay_alu instid0(VALU_DEP_4) | instskip(NEXT) | instid1(VALU_DEP_4)
	v_add_f32_e32 v32, v35, v32
	v_dual_add_f32 v34, v34, v48 :: v_dual_add_f32 v31, v31, v37
	v_sub_f32_e32 v28, v28, v47
	s_delay_alu instid0(VALU_DEP_1) | instskip(SKIP_2) | instid1(VALU_DEP_2)
	v_dual_add_f32 v28, v29, v28 :: v_dual_add_f32 v29, v42, v33
	v_sub_f32_e32 v26, v26, v46
	v_sub_f32_e32 v48, v40, v52
	v_add_f32_e32 v26, v27, v26
	v_add_f32_e32 v27, v39, v32
	;; [unrolled: 1-line block ×3, first 2 shown]
	s_delay_alu instid0(VALU_DEP_4) | instskip(NEXT) | instid1(VALU_DEP_2)
	v_sub_f32_e32 v35, v38, v48
	v_dual_add_f32 v37, v45, v36 :: v_dual_sub_f32 v38, v27, v39
	v_sub_f32_e32 v39, v29, v42
	s_delay_alu instid0(VALU_DEP_2) | instskip(NEXT) | instid1(VALU_DEP_2)
	v_dual_add_f32 v34, v40, v34 :: v_dual_sub_f32 v41, v37, v45
	v_dual_sub_f32 v32, v32, v38 :: v_dual_sub_f32 v33, v33, v39
	v_sub_f32_e32 v30, v30, v52
	s_delay_alu instid0(VALU_DEP_2) | instskip(NEXT) | instid1(VALU_DEP_1)
	v_add_f32_e32 v28, v28, v33
	v_add_f32_e32 v33, v29, v28
	s_delay_alu instid0(VALU_DEP_4) | instskip(NEXT) | instid1(VALU_DEP_4)
	v_add_f32_e32 v26, v26, v32
	v_dual_add_f32 v30, v30, v35 :: v_dual_add_f32 v35, v44, v34
	s_delay_alu instid0(VALU_DEP_2) | instskip(SKIP_1) | instid1(VALU_DEP_2)
	v_dual_sub_f32 v29, v33, v29 :: v_dual_add_f32 v32, v27, v26
	v_mul_f32_e32 v39, v11, v33
	v_dual_sub_f32 v40, v35, v44 :: v_dual_sub_f32 v27, v32, v27
	v_mul_f32_e32 v38, v2, v32
	s_delay_alu instid0(VALU_DEP_3) | instskip(NEXT) | instid1(VALU_DEP_3)
	v_cmp_class_f32_e64 s10, v39, 0x204
	v_sub_f32_e32 v26, v26, v27
	s_delay_alu instid0(VALU_DEP_3) | instskip(NEXT) | instid1(VALU_DEP_1)
	v_fma_f32 v27, v2, v32, -v38
	v_dual_sub_f32 v36, v36, v41 :: v_dual_fmac_f32 v27, v2, v26
	s_delay_alu instid0(VALU_DEP_1) | instskip(NEXT) | instid1(VALU_DEP_1)
	v_dual_add_f32 v31, v31, v36 :: v_dual_add_f32 v26, v38, v27
	v_add_f32_e32 v36, v37, v31
	s_delay_alu instid0(VALU_DEP_1) | instskip(SKIP_1) | instid1(VALU_DEP_2)
	v_dual_sub_f32 v37, v36, v37 :: v_dual_sub_f32 v34, v34, v40
	v_mul_f32_e32 v41, v3, v36
	v_dual_sub_f32 v31, v31, v37 :: v_dual_add_f32 v30, v30, v34
	s_delay_alu instid0(VALU_DEP_2) | instskip(NEXT) | instid1(VALU_DEP_2)
	v_cmp_class_f32_e64 s12, v41, 0x204
	v_add_f32_e32 v34, v35, v30
	s_delay_alu instid0(VALU_DEP_1) | instskip(SKIP_1) | instid1(VALU_DEP_2)
	v_mul_f32_e32 v40, v10, v34
	v_sub_f32_e32 v35, v34, v35
	v_fma_f32 v32, v10, v34, -v40
	v_sub_f32_e32 v34, v26, v38
	s_delay_alu instid0(VALU_DEP_1) | instskip(SKIP_2) | instid1(VALU_DEP_2)
	v_dual_sub_f32 v27, v27, v34 :: v_dual_sub_f32 v28, v28, v29
	v_fma_f32 v29, v11, v33, -v39
	v_fma_f32 v33, v3, v36, -v41
	v_dual_fmac_f32 v29, v11, v28 :: v_dual_sub_f32 v30, v30, v35
	s_delay_alu instid0(VALU_DEP_2) | instskip(NEXT) | instid1(VALU_DEP_2)
	v_fmac_f32_e32 v33, v3, v31
	v_add_f32_e32 v28, v39, v29
	s_delay_alu instid0(VALU_DEP_2) | instskip(NEXT) | instid1(VALU_DEP_2)
	v_add_f32_e32 v31, v41, v33
	v_sub_f32_e32 v35, v28, v39
	s_wait_alu 0xf1ff
	v_cndmask_b32_e64 v28, v28, v39, s10
	s_delay_alu instid0(VALU_DEP_3)
	v_sub_f32_e32 v37, v31, v41
	v_cndmask_b32_e64 v31, v31, v41, s12
	v_sub_f32_e32 v29, v29, v35
	v_cmp_class_f32_e64 s9, v38, 0x204
	v_cmp_eq_f32_e64 s10, 0x42b17218, v28
	v_sub_f32_e32 v33, v33, v37
	v_cmp_class_f32_e64 s11, v40, 0x204
	v_cmp_eq_f32_e64 s12, 0x42b17218, v31
	s_wait_alu 0xf1ff
	v_cndmask_b32_e64 v26, v26, v38, s9
	v_cndmask_b32_e64 v35, 0, 0x37000000, s10
	s_delay_alu instid0(VALU_DEP_3) | instskip(NEXT) | instid1(VALU_DEP_3)
	v_cndmask_b32_e64 v37, 0, 0x37000000, s12
	v_cmp_eq_f32_e64 s9, 0x42b17218, v26
	v_cmp_neq_f32_e64 s12, 0x7f800000, |v26|
	s_wait_alu 0xf1ff
	s_delay_alu instid0(VALU_DEP_2) | instskip(SKIP_4) | instid1(VALU_DEP_3)
	v_cndmask_b32_e64 v34, 0, 0x37000000, s9
	v_cmp_neq_f32_e64 s9, 0x7f800000, |v28|
	v_sub_f32_e32 v28, v28, v35
	v_cndmask_b32_e64 v27, 0, v27, s12
	s_wait_alu 0xf1ff
	v_cndmask_b32_e64 v29, 0, v29, s9
	s_delay_alu instid0(VALU_DEP_2) | instskip(NEXT) | instid1(VALU_DEP_2)
	v_add_f32_e32 v27, v34, v27
	v_dual_add_f32 v29, v35, v29 :: v_dual_fmac_f32 v32, v10, v30
	v_mul_f32_e32 v35, 0x3fb8aa3b, v28
	s_delay_alu instid0(VALU_DEP_1) | instskip(NEXT) | instid1(VALU_DEP_3)
	v_rndne_f32_e32 v41, v35
	v_add_f32_e32 v30, v40, v32
	s_delay_alu instid0(VALU_DEP_1) | instskip(SKIP_1) | instid1(VALU_DEP_2)
	v_sub_f32_e32 v36, v30, v40
	v_cndmask_b32_e64 v30, v30, v40, s11
	v_sub_f32_e32 v32, v32, v36
	s_delay_alu instid0(VALU_DEP_2) | instskip(SKIP_2) | instid1(VALU_DEP_2)
	v_cmp_eq_f32_e64 s11, 0x42b17218, v30
	v_cmp_neq_f32_e64 s10, 0x7f800000, |v30|
	s_wait_alu 0xf1ff
	v_cndmask_b32_e64 v36, 0, 0x37000000, s11
	v_cmp_neq_f32_e64 s11, 0x7f800000, |v31|
	v_sub_f32_e32 v31, v31, v37
	v_cndmask_b32_e64 v32, 0, v32, s10
	s_delay_alu instid0(VALU_DEP_4) | instskip(SKIP_4) | instid1(VALU_DEP_3)
	v_sub_f32_e32 v30, v30, v36
	s_wait_alu 0xf1ff
	v_cndmask_b32_e64 v33, 0, v33, s11
	v_cmp_ngt_f32_e64 s11, 0xc2ce8ed0, v31
	v_add_f32_e32 v32, v36, v32
	v_dual_mul_f32 v36, 0x3fb8aa3b, v30 :: v_dual_add_f32 v33, v37, v33
	v_mul_f32_e32 v37, 0x3fb8aa3b, v31
	v_cmp_ngt_f32_e64 s10, 0xc2ce8ed0, v30
	s_delay_alu instid0(VALU_DEP_3) | instskip(SKIP_1) | instid1(VALU_DEP_4)
	v_fma_f32 v42, 0x3fb8aa3b, v30, -v36
	v_rndne_f32_e32 v43, v36
	v_fma_f32 v44, 0x3fb8aa3b, v31, -v37
	v_rndne_f32_e32 v45, v37
	s_delay_alu instid0(VALU_DEP_4) | instskip(NEXT) | instid1(VALU_DEP_4)
	v_fmac_f32_e32 v42, 0x32a5705f, v30
	v_sub_f32_e32 v36, v36, v43
	s_delay_alu instid0(VALU_DEP_3) | instskip(SKIP_2) | instid1(VALU_DEP_3)
	v_dual_fmac_f32 v44, 0x32a5705f, v31 :: v_dual_sub_f32 v37, v37, v45
	v_cvt_i32_f32_e32 v43, v43
	v_cvt_i32_f32_e32 v45, v45
	v_dual_add_f32 v36, v36, v42 :: v_dual_add_f32 v37, v37, v44
	v_fma_f32 v40, 0x3fb8aa3b, v28, -v35
	v_sub_f32_e32 v35, v35, v41
	s_delay_alu instid0(VALU_DEP_3)
	v_exp_f32_e32 v36, v36
	v_cvt_i32_f32_e32 v41, v41
	v_exp_f32_e32 v37, v37
	v_fmac_f32_e32 v40, 0x32a5705f, v28
	v_sub_f32_e32 v26, v26, v34
	v_cmp_ngt_f32_e64 s9, 0xc2ce8ed0, v28
	s_delay_alu instid0(VALU_DEP_2) | instskip(NEXT) | instid1(TRANS32_DEP_2)
	v_dual_add_f32 v35, v35, v40 :: v_dual_mul_f32 v34, 0x3fb8aa3b, v26
	v_ldexp_f32 v36, v36, v43
	v_cmp_ngt_f32_e64 s12, 0xc2ce8ed0, v26
	s_delay_alu instid0(TRANS32_DEP_1) | instskip(NEXT) | instid1(VALU_DEP_4)
	v_ldexp_f32 v37, v37, v45
	v_exp_f32_e32 v35, v35
	v_fma_f32 v38, 0x3fb8aa3b, v26, -v34
	v_rndne_f32_e32 v39, v34
	s_delay_alu instid0(VALU_DEP_2) | instskip(NEXT) | instid1(VALU_DEP_2)
	v_fmac_f32_e32 v38, 0x32a5705f, v26
	v_sub_f32_e32 v34, v34, v39
	v_cvt_i32_f32_e32 v39, v39
	s_delay_alu instid0(TRANS32_DEP_1) | instskip(NEXT) | instid1(VALU_DEP_3)
	v_ldexp_f32 v35, v35, v41
	v_add_f32_e32 v34, v34, v38
	s_wait_alu 0xf1ff
	s_delay_alu instid0(VALU_DEP_2) | instskip(SKIP_1) | instid1(VALU_DEP_3)
	v_cndmask_b32_e64 v35, 0, v35, s9
	v_cmp_nlt_f32_e64 s9, 0x42b17218, v28
	v_exp_f32_e32 v34, v34
	v_cndmask_b32_e64 v28, 0, v36, s10
	v_cmp_nlt_f32_e64 s10, 0x42b17218, v30
	v_cndmask_b32_e64 v30, 0, v37, s11
	v_cmp_nlt_f32_e64 s11, 0x42b17218, v31
	s_wait_alu 0xf1ff
	v_cndmask_b32_e64 v31, 0x7f800000, v35, s9
	v_cndmask_b32_e64 v28, 0x7f800000, v28, s10
	s_delay_alu instid0(VALU_DEP_3) | instskip(NEXT) | instid1(TRANS32_DEP_1)
	v_cndmask_b32_e64 v30, 0x7f800000, v30, s11
	v_ldexp_f32 v34, v34, v39
	s_delay_alu instid0(VALU_DEP_4)
	v_fma_f32 v29, v31, v29, v31
	v_cmp_class_f32_e64 s9, v31, 0x204
	v_fma_f32 v32, v28, v32, v28
	v_cmp_class_f32_e64 s10, v28, 0x204
	v_cndmask_b32_e64 v34, 0, v34, s12
	v_cmp_nlt_f32_e64 s12, 0x42b17218, v26
	v_fma_f32 v33, v30, v33, v30
	v_cmp_class_f32_e64 s11, v30, 0x204
	s_wait_alu 0xf1ff
	v_cndmask_b32_e64 v28, v32, v28, s10
	v_cndmask_b32_e64 v26, 0x7f800000, v34, s12
	s_delay_alu instid0(VALU_DEP_2) | instskip(NEXT) | instid1(VALU_DEP_2)
	v_bfi_b32 v24, 0x7fffffff, v28, v24
	v_fma_f32 v27, v26, v27, v26
	v_cmp_class_f32_e64 s12, v26, 0x204
	s_delay_alu instid0(VALU_DEP_3) | instskip(SKIP_2) | instid1(VALU_DEP_3)
	v_cndmask_b32_e64 v28, 0x7fc00000, v24, s7
	v_cmp_gt_f32_e64 s7, 0, v13
	s_wait_alu 0xf1ff
	v_cndmask_b32_e64 v26, v27, v26, s12
	v_cndmask_b32_e64 v27, v29, v31, s9
	;; [unrolled: 1-line block ×3, first 2 shown]
	s_delay_alu instid0(VALU_DEP_3) | instskip(NEXT) | instid1(VALU_DEP_3)
	v_bfi_b32 v22, 0x7fffffff, v26, v22
	v_bfi_b32 v23, 0x7fffffff, v27, v23
	s_delay_alu instid0(VALU_DEP_3) | instskip(NEXT) | instid1(VALU_DEP_3)
	v_bfi_b32 v25, 0x7fffffff, v29, v25
	v_cndmask_b32_e64 v26, 0x7fc00000, v22, s4
	s_delay_alu instid0(VALU_DEP_3)
	v_cndmask_b32_e64 v27, 0x7fc00000, v23, s6
	v_cmp_gt_f32_e64 s4, 0, v5
	v_cmp_gt_f32_e64 s6, 0, v12
	v_cndmask_b32_e64 v29, 0x7fc00000, v25, s8
	v_cmp_gt_f32_e64 s8, 0, v4
	s_wait_alu 0xf1ff
	v_cndmask_b32_e64 v23, v23, v27, s4
	v_cmp_class_f32_e64 s4, v11, 0x204
	v_cndmask_b32_e64 v24, v24, v28, s6
	v_cndmask_b32_e64 v22, v22, v26, s8
	v_cmp_class_f32_e64 s6, v10, 0x204
	v_cndmask_b32_e64 v25, v25, v29, s7
	v_cmp_class_f32_e64 s7, v3, 0x204
	v_cmp_class_f32_e64 s8, v2, 0x204
	s_wait_alu 0xf1ff
	v_cndmask_b32_e64 v15, v23, v15, s4
	v_cndmask_b32_e64 v16, v24, v16, s6
	s_or_b32 s4, s5, s38
	v_cndmask_b32_e64 v17, v25, v17, s7
	v_cndmask_b32_e64 v14, v22, v14, s8
	s_wait_alu 0xfffe
	v_cndmask_b32_e64 v15, v15, v21, s2
	v_cmp_o_f32_e64 s2, v12, v10
	s_or_b32 s29, s0, s29
	v_cndmask_b32_e64 v10, v17, v18, s4
	v_cndmask_b32_e64 v14, v14, v20, s1
	v_cmp_o_f32_e64 s1, v5, v11
	v_cndmask_b32_e64 v5, v16, v19, s3
	v_cmp_o_f32_e64 s3, v13, v3
	v_cmp_o_f32_e64 s4, v4, v2
	s_wait_alu 0xf1ff
	v_cndmask_b32_e64 v3, 0x7fc00000, v15, s1
	v_cndmask_b32_e64 v4, 0x7fc00000, v5, s2
	;; [unrolled: 1-line block ×4, first 2 shown]
	global_store_b128 v[6:7], v[2:5], off
	s_wait_alu 0xfffe
	s_and_not1_b32 exec_lo, exec_lo, s29
	s_cbranch_execnz .LBB78_24
.LBB78_25:
	s_endpgm
	.section	.rodata,"a",@progbits
	.p2align	6, 0x0
	.amdhsa_kernel _ZN2at6native12_GLOBAL__N_125multi_tensor_apply_kernelINS1_18TensorListMetadataILi2EEENS1_21BinaryOpScalarFunctorIfLi2ELi1ELi1EEEJNS1_21reverse_power_functorIfEEfEEEvT_T0_DpT1_
		.amdhsa_group_segment_fixed_size 0
		.amdhsa_private_segment_fixed_size 0
		.amdhsa_kernarg_size 3408
		.amdhsa_user_sgpr_count 2
		.amdhsa_user_sgpr_dispatch_ptr 0
		.amdhsa_user_sgpr_queue_ptr 0
		.amdhsa_user_sgpr_kernarg_segment_ptr 1
		.amdhsa_user_sgpr_dispatch_id 0
		.amdhsa_user_sgpr_private_segment_size 0
		.amdhsa_wavefront_size32 1
		.amdhsa_uses_dynamic_stack 0
		.amdhsa_enable_private_segment 0
		.amdhsa_system_sgpr_workgroup_id_x 1
		.amdhsa_system_sgpr_workgroup_id_y 0
		.amdhsa_system_sgpr_workgroup_id_z 0
		.amdhsa_system_sgpr_workgroup_info 0
		.amdhsa_system_vgpr_workitem_id 0
		.amdhsa_next_free_vgpr 70
		.amdhsa_next_free_sgpr 40
		.amdhsa_reserve_vcc 1
		.amdhsa_float_round_mode_32 0
		.amdhsa_float_round_mode_16_64 0
		.amdhsa_float_denorm_mode_32 3
		.amdhsa_float_denorm_mode_16_64 3
		.amdhsa_fp16_overflow 0
		.amdhsa_workgroup_processor_mode 1
		.amdhsa_memory_ordered 1
		.amdhsa_forward_progress 1
		.amdhsa_inst_pref_size 87
		.amdhsa_round_robin_scheduling 0
		.amdhsa_exception_fp_ieee_invalid_op 0
		.amdhsa_exception_fp_denorm_src 0
		.amdhsa_exception_fp_ieee_div_zero 0
		.amdhsa_exception_fp_ieee_overflow 0
		.amdhsa_exception_fp_ieee_underflow 0
		.amdhsa_exception_fp_ieee_inexact 0
		.amdhsa_exception_int_div_zero 0
	.end_amdhsa_kernel
	.section	.text._ZN2at6native12_GLOBAL__N_125multi_tensor_apply_kernelINS1_18TensorListMetadataILi2EEENS1_21BinaryOpScalarFunctorIfLi2ELi1ELi1EEEJNS1_21reverse_power_functorIfEEfEEEvT_T0_DpT1_,"axG",@progbits,_ZN2at6native12_GLOBAL__N_125multi_tensor_apply_kernelINS1_18TensorListMetadataILi2EEENS1_21BinaryOpScalarFunctorIfLi2ELi1ELi1EEEJNS1_21reverse_power_functorIfEEfEEEvT_T0_DpT1_,comdat
.Lfunc_end78:
	.size	_ZN2at6native12_GLOBAL__N_125multi_tensor_apply_kernelINS1_18TensorListMetadataILi2EEENS1_21BinaryOpScalarFunctorIfLi2ELi1ELi1EEEJNS1_21reverse_power_functorIfEEfEEEvT_T0_DpT1_, .Lfunc_end78-_ZN2at6native12_GLOBAL__N_125multi_tensor_apply_kernelINS1_18TensorListMetadataILi2EEENS1_21BinaryOpScalarFunctorIfLi2ELi1ELi1EEEJNS1_21reverse_power_functorIfEEfEEEvT_T0_DpT1_
                                        ; -- End function
	.set _ZN2at6native12_GLOBAL__N_125multi_tensor_apply_kernelINS1_18TensorListMetadataILi2EEENS1_21BinaryOpScalarFunctorIfLi2ELi1ELi1EEEJNS1_21reverse_power_functorIfEEfEEEvT_T0_DpT1_.num_vgpr, 70
	.set _ZN2at6native12_GLOBAL__N_125multi_tensor_apply_kernelINS1_18TensorListMetadataILi2EEENS1_21BinaryOpScalarFunctorIfLi2ELi1ELi1EEEJNS1_21reverse_power_functorIfEEfEEEvT_T0_DpT1_.num_agpr, 0
	.set _ZN2at6native12_GLOBAL__N_125multi_tensor_apply_kernelINS1_18TensorListMetadataILi2EEENS1_21BinaryOpScalarFunctorIfLi2ELi1ELi1EEEJNS1_21reverse_power_functorIfEEfEEEvT_T0_DpT1_.numbered_sgpr, 40
	.set _ZN2at6native12_GLOBAL__N_125multi_tensor_apply_kernelINS1_18TensorListMetadataILi2EEENS1_21BinaryOpScalarFunctorIfLi2ELi1ELi1EEEJNS1_21reverse_power_functorIfEEfEEEvT_T0_DpT1_.num_named_barrier, 0
	.set _ZN2at6native12_GLOBAL__N_125multi_tensor_apply_kernelINS1_18TensorListMetadataILi2EEENS1_21BinaryOpScalarFunctorIfLi2ELi1ELi1EEEJNS1_21reverse_power_functorIfEEfEEEvT_T0_DpT1_.private_seg_size, 0
	.set _ZN2at6native12_GLOBAL__N_125multi_tensor_apply_kernelINS1_18TensorListMetadataILi2EEENS1_21BinaryOpScalarFunctorIfLi2ELi1ELi1EEEJNS1_21reverse_power_functorIfEEfEEEvT_T0_DpT1_.uses_vcc, 1
	.set _ZN2at6native12_GLOBAL__N_125multi_tensor_apply_kernelINS1_18TensorListMetadataILi2EEENS1_21BinaryOpScalarFunctorIfLi2ELi1ELi1EEEJNS1_21reverse_power_functorIfEEfEEEvT_T0_DpT1_.uses_flat_scratch, 0
	.set _ZN2at6native12_GLOBAL__N_125multi_tensor_apply_kernelINS1_18TensorListMetadataILi2EEENS1_21BinaryOpScalarFunctorIfLi2ELi1ELi1EEEJNS1_21reverse_power_functorIfEEfEEEvT_T0_DpT1_.has_dyn_sized_stack, 0
	.set _ZN2at6native12_GLOBAL__N_125multi_tensor_apply_kernelINS1_18TensorListMetadataILi2EEENS1_21BinaryOpScalarFunctorIfLi2ELi1ELi1EEEJNS1_21reverse_power_functorIfEEfEEEvT_T0_DpT1_.has_recursion, 0
	.set _ZN2at6native12_GLOBAL__N_125multi_tensor_apply_kernelINS1_18TensorListMetadataILi2EEENS1_21BinaryOpScalarFunctorIfLi2ELi1ELi1EEEJNS1_21reverse_power_functorIfEEfEEEvT_T0_DpT1_.has_indirect_call, 0
	.section	.AMDGPU.csdata,"",@progbits
; Kernel info:
; codeLenInByte = 11076
; TotalNumSgprs: 42
; NumVgprs: 70
; ScratchSize: 0
; MemoryBound: 0
; FloatMode: 240
; IeeeMode: 1
; LDSByteSize: 0 bytes/workgroup (compile time only)
; SGPRBlocks: 0
; VGPRBlocks: 8
; NumSGPRsForWavesPerEU: 42
; NumVGPRsForWavesPerEU: 70
; Occupancy: 16
; WaveLimiterHint : 0
; COMPUTE_PGM_RSRC2:SCRATCH_EN: 0
; COMPUTE_PGM_RSRC2:USER_SGPR: 2
; COMPUTE_PGM_RSRC2:TRAP_HANDLER: 0
; COMPUTE_PGM_RSRC2:TGID_X_EN: 1
; COMPUTE_PGM_RSRC2:TGID_Y_EN: 0
; COMPUTE_PGM_RSRC2:TGID_Z_EN: 0
; COMPUTE_PGM_RSRC2:TIDIG_COMP_CNT: 0
	.section	.text._ZN2at6native12_GLOBAL__N_125multi_tensor_apply_kernelINS1_18TensorListMetadataILi2EEENS1_21BinaryOpScalarFunctorIN3c107complexIdEELi2ELi1ELi1EEEJNS1_21reverse_power_functorIS8_EES8_EEEvT_T0_DpT1_,"axG",@progbits,_ZN2at6native12_GLOBAL__N_125multi_tensor_apply_kernelINS1_18TensorListMetadataILi2EEENS1_21BinaryOpScalarFunctorIN3c107complexIdEELi2ELi1ELi1EEEJNS1_21reverse_power_functorIS8_EES8_EEEvT_T0_DpT1_,comdat
	.globl	_ZN2at6native12_GLOBAL__N_125multi_tensor_apply_kernelINS1_18TensorListMetadataILi2EEENS1_21BinaryOpScalarFunctorIN3c107complexIdEELi2ELi1ELi1EEEJNS1_21reverse_power_functorIS8_EES8_EEEvT_T0_DpT1_ ; -- Begin function _ZN2at6native12_GLOBAL__N_125multi_tensor_apply_kernelINS1_18TensorListMetadataILi2EEENS1_21BinaryOpScalarFunctorIN3c107complexIdEELi2ELi1ELi1EEEJNS1_21reverse_power_functorIS8_EES8_EEEvT_T0_DpT1_
	.p2align	8
	.type	_ZN2at6native12_GLOBAL__N_125multi_tensor_apply_kernelINS1_18TensorListMetadataILi2EEENS1_21BinaryOpScalarFunctorIN3c107complexIdEELi2ELi1ELi1EEEJNS1_21reverse_power_functorIS8_EES8_EEEvT_T0_DpT1_,@function
_ZN2at6native12_GLOBAL__N_125multi_tensor_apply_kernelINS1_18TensorListMetadataILi2EEENS1_21BinaryOpScalarFunctorIN3c107complexIdEELi2ELi1ELi1EEEJNS1_21reverse_power_functorIS8_EES8_EEEvT_T0_DpT1_: ; @_ZN2at6native12_GLOBAL__N_125multi_tensor_apply_kernelINS1_18TensorListMetadataILi2EEENS1_21BinaryOpScalarFunctorIN3c107complexIdEELi2ELi1ELi1EEEJNS1_21reverse_power_functorIS8_EES8_EEEvT_T0_DpT1_
; %bb.0:
	s_mov_b64 s[18:19], s[0:1]
	s_mov_b32 s0, ttmp9
	s_mov_b32 s1, 0
	v_mov_b32_e32 v60, v0
	s_mul_u64 s[2:3], s[0:1], 3
	s_add_nc_u64 s[4:5], s[18:19], s[0:1]
	s_mov_b32 s13, s1
	s_add_nc_u64 s[2:3], s[4:5], s[2:3]
	s_clause 0x1
	s_load_b32 s2, s[2:3], 0x740
	s_load_u8 s0, s[18:19], ttmp9 offset:0x600
	s_mov_b32 s32, 0
	s_wait_kmcnt 0x0
	s_ashr_i32 s3, s2, 31
	s_lshl_b32 s0, s0, 3
	s_clause 0x3
	s_load_b64 s[4:5], s[18:19], s0 offset:0x0
	s_load_b64 s[6:7], s[18:19], s0 offset:0x200
	;; [unrolled: 1-line block ×3, first 2 shown]
	s_load_b128 s[24:27], s[18:19], 0xc50
	s_lshl_b64 s[10:11], s[2:3], 20
	s_lshl_b64 s[2:3], s[2:3], 16
	s_wait_kmcnt 0x0
	s_add_nc_u64 s[28:29], s[4:5], s[10:11]
	s_add_nc_u64 s[34:35], s[6:7], s[10:11]
	s_and_b32 s4, s8, 3
	s_and_b32 s12, s34, 63
	s_mov_b32 s5, s1
	s_and_b32 s0, s28, 63
	s_or_b64 s[4:5], s[12:13], s[4:5]
	s_sub_nc_u64 s[36:37], s[8:9], s[2:3]
	s_or_b64 s[0:1], s[4:5], s[0:1]
	s_delay_alu instid0(SALU_CYCLE_1)
	s_cmp_eq_u64 s[0:1], 0
	s_mov_b32 s0, -1
	s_cbranch_scc1 .LBB79_21
; %bb.1:
	v_cmp_lt_i64_e64 s0, s[36:37], 1
	s_and_b32 vcc_lo, exec_lo, s0
	s_cbranch_vccnz .LBB79_20
; %bb.2:
	s_load_b32 s0, s[18:19], 0xc6c
	v_cmp_gt_i64_e64 s1, 0x10000, s[36:37]
	v_cmp_gt_u64_e64 s2, 0x10000, s[36:37]
	s_mov_b32 s39, 0
	s_mov_b64 s[44:45], 0
	s_and_b32 s1, s1, exec_lo
	s_cselect_b32 s41, s37, 0
	s_cselect_b32 s40, s36, 0x10000
	s_wait_kmcnt 0x0
	s_and_b32 s23, s0, 0xffff
	s_and_b32 s0, s2, exec_lo
	s_cselect_b32 s43, s37, 0
	s_cselect_b32 s42, s36, 0x10000
	s_lshl_b32 s33, s23, 1
	s_mul_i32 s46, s23, 3
	s_lshl_b32 s38, s23, 2
	s_branch .LBB79_4
.LBB79_3:                               ;   in Loop: Header=BB79_4 Depth=1
	s_wait_alu 0xfffe
	s_or_b32 exec_lo, exec_lo, s21
	s_add_nc_u64 s[44:45], s[44:45], s[38:39]
	s_wait_alu 0xfffe
	v_cmp_lt_i64_e64 s0, s[44:45], s[40:41]
	s_and_b32 vcc_lo, exec_lo, s0
	s_wait_alu 0xfffe
	s_cbranch_vccz .LBB79_20
.LBB79_4:                               ; =>This Inner Loop Header: Depth=1
	v_add_co_u32 v72, s0, s44, v60
	s_wait_alu 0xf1ff
	v_add_co_ci_u32_e64 v73, null, s45, 0, s0
	s_wait_loadcnt 0x0
	v_mov_b32_e32 v46, 0
	v_dual_mov_b32 v47, 0 :: v_dual_mov_b32 v6, 0
	s_delay_alu instid0(VALU_DEP_3)
	v_cmp_gt_u64_e32 vcc_lo, s[42:43], v[72:73]
	v_dual_mov_b32 v4, 0 :: v_dual_mov_b32 v7, 0
	v_mov_b32_e32 v5, 0
	s_and_saveexec_b32 s1, vcc_lo
	s_cbranch_execz .LBB79_6
; %bb.5:                                ;   in Loop: Header=BB79_4 Depth=1
	v_lshlrev_b64_e32 v[0:1], 4, v[72:73]
	s_delay_alu instid0(VALU_DEP_1) | instskip(SKIP_1) | instid1(VALU_DEP_2)
	v_add_co_u32 v0, s0, s28, v0
	s_wait_alu 0xf1ff
	v_add_co_ci_u32_e64 v1, null, s29, v1, s0
	global_load_b128 v[4:7], v[0:1], off
.LBB79_6:                               ;   in Loop: Header=BB79_4 Depth=1
	s_wait_alu 0xfffe
	s_or_b32 exec_lo, exec_lo, s1
	v_add_co_u32 v70, s0, v72, s23
	s_wait_alu 0xf1ff
	v_add_co_ci_u32_e64 v71, null, 0, v73, s0
	v_mov_b32_e32 v44, 0
	v_mov_b32_e32 v45, 0
	s_delay_alu instid0(VALU_DEP_3)
	v_cmp_gt_u64_e64 s22, s[42:43], v[70:71]
	s_and_saveexec_b32 s1, s22
	s_cbranch_execz .LBB79_8
; %bb.7:                                ;   in Loop: Header=BB79_4 Depth=1
	v_lshlrev_b64_e32 v[0:1], 4, v[70:71]
	s_delay_alu instid0(VALU_DEP_1) | instskip(SKIP_1) | instid1(VALU_DEP_2)
	v_add_co_u32 v0, s0, s28, v0
	s_wait_alu 0xf1ff
	v_add_co_ci_u32_e64 v1, null, s29, v1, s0
	global_load_b128 v[44:47], v[0:1], off
.LBB79_8:                               ;   in Loop: Header=BB79_4 Depth=1
	s_wait_alu 0xfffe
	s_or_b32 exec_lo, exec_lo, s1
	v_add_co_u32 v68, s0, v72, s33
	s_wait_alu 0xf1ff
	v_add_co_ci_u32_e64 v69, null, 0, v73, s0
	v_mov_b32_e32 v42, 0
	v_dual_mov_b32 v43, 0 :: v_dual_mov_b32 v58, 0
	s_delay_alu instid0(VALU_DEP_3)
	v_cmp_gt_u64_e64 s21, s[42:43], v[68:69]
	v_dual_mov_b32 v56, 0 :: v_dual_mov_b32 v59, 0
	v_mov_b32_e32 v57, 0
	s_and_saveexec_b32 s1, s21
	s_cbranch_execz .LBB79_10
; %bb.9:                                ;   in Loop: Header=BB79_4 Depth=1
	v_lshlrev_b64_e32 v[0:1], 4, v[68:69]
	s_delay_alu instid0(VALU_DEP_1) | instskip(SKIP_1) | instid1(VALU_DEP_2)
	v_add_co_u32 v0, s0, s28, v0
	s_wait_alu 0xf1ff
	v_add_co_ci_u32_e64 v1, null, s29, v1, s0
	global_load_b128 v[56:59], v[0:1], off
.LBB79_10:                              ;   in Loop: Header=BB79_4 Depth=1
	s_wait_alu 0xfffe
	s_or_b32 exec_lo, exec_lo, s1
	v_add_co_u32 v61, s0, v72, s46
	s_wait_alu 0xf1ff
	v_add_co_ci_u32_e64 v62, null, 0, v73, s0
	v_mov_b32_e32 v40, 0
	v_mov_b32_e32 v41, 0
	s_delay_alu instid0(VALU_DEP_3)
	v_cmp_gt_u64_e64 s20, s[42:43], v[61:62]
	s_and_saveexec_b32 s1, s20
	s_cbranch_execnz .LBB79_15
; %bb.11:                               ;   in Loop: Header=BB79_4 Depth=1
	s_wait_alu 0xfffe
	s_or_b32 exec_lo, exec_lo, s1
	s_and_saveexec_b32 s47, vcc_lo
	s_cbranch_execnz .LBB79_16
.LBB79_12:                              ;   in Loop: Header=BB79_4 Depth=1
	s_wait_alu 0xfffe
	s_or_b32 exec_lo, exec_lo, s47
	s_and_saveexec_b32 s47, s22
	s_cbranch_execnz .LBB79_17
.LBB79_13:                              ;   in Loop: Header=BB79_4 Depth=1
	s_wait_alu 0xfffe
	s_or_b32 exec_lo, exec_lo, s47
	s_and_saveexec_b32 s22, s21
	s_cbranch_execnz .LBB79_18
.LBB79_14:                              ;   in Loop: Header=BB79_4 Depth=1
	s_wait_alu 0xfffe
	s_or_b32 exec_lo, exec_lo, s22
	s_and_saveexec_b32 s21, s20
	s_cbranch_execz .LBB79_3
	s_branch .LBB79_19
.LBB79_15:                              ;   in Loop: Header=BB79_4 Depth=1
	v_lshlrev_b64_e32 v[0:1], 4, v[61:62]
	s_delay_alu instid0(VALU_DEP_1) | instskip(SKIP_1) | instid1(VALU_DEP_2)
	v_add_co_u32 v0, s0, s28, v0
	s_wait_alu 0xf1ff
	v_add_co_ci_u32_e64 v1, null, s29, v1, s0
	global_load_b128 v[40:43], v[0:1], off
	s_wait_alu 0xfffe
	s_or_b32 exec_lo, exec_lo, s1
	s_and_saveexec_b32 s47, vcc_lo
	s_cbranch_execz .LBB79_12
.LBB79_16:                              ;   in Loop: Header=BB79_4 Depth=1
	v_dual_mov_b32 v0, s24 :: v_dual_mov_b32 v1, s25
	v_dual_mov_b32 v2, s26 :: v_dual_mov_b32 v3, s27
	s_getpc_b64 s[0:1]
	s_wait_alu 0xfffe
	s_sext_i32_i16 s1, s1
	s_add_co_u32 s0, s0, _ZN2at6native12_GLOBAL__N_14pow_IdEEN3c107complexIT_EES6_S6_@rel32@lo+12
	s_wait_alu 0xfffe
	s_add_co_ci_u32 s1, s1, _ZN2at6native12_GLOBAL__N_14pow_IdEEN3c107complexIT_EES6_S6_@rel32@hi+24
	s_wait_alu 0xfffe
	s_swappc_b64 s[30:31], s[0:1]
	v_lshlrev_b64_e32 v[4:5], 4, v[72:73]
	s_delay_alu instid0(VALU_DEP_1) | instskip(SKIP_1) | instid1(VALU_DEP_2)
	v_add_co_u32 v4, vcc_lo, s34, v4
	s_wait_alu 0xfffd
	v_add_co_ci_u32_e64 v5, null, s35, v5, vcc_lo
	global_store_b128 v[4:5], v[0:3], off
	s_or_b32 exec_lo, exec_lo, s47
	s_and_saveexec_b32 s47, s22
	s_cbranch_execz .LBB79_13
.LBB79_17:                              ;   in Loop: Header=BB79_4 Depth=1
	v_dual_mov_b32 v0, s24 :: v_dual_mov_b32 v1, s25
	v_dual_mov_b32 v2, s26 :: v_dual_mov_b32 v3, s27
	s_wait_loadcnt 0x0
	v_dual_mov_b32 v4, v44 :: v_dual_mov_b32 v5, v45
	v_dual_mov_b32 v6, v46 :: v_dual_mov_b32 v7, v47
	s_getpc_b64 s[0:1]
	s_wait_alu 0xfffe
	s_sext_i32_i16 s1, s1
	s_add_co_u32 s0, s0, _ZN2at6native12_GLOBAL__N_14pow_IdEEN3c107complexIT_EES6_S6_@rel32@lo+12
	s_wait_alu 0xfffe
	s_add_co_ci_u32 s1, s1, _ZN2at6native12_GLOBAL__N_14pow_IdEEN3c107complexIT_EES6_S6_@rel32@hi+24
	s_wait_alu 0xfffe
	s_swappc_b64 s[30:31], s[0:1]
	v_lshlrev_b64_e32 v[4:5], 4, v[70:71]
	s_delay_alu instid0(VALU_DEP_1) | instskip(SKIP_1) | instid1(VALU_DEP_2)
	v_add_co_u32 v4, vcc_lo, s34, v4
	s_wait_alu 0xfffd
	v_add_co_ci_u32_e64 v5, null, s35, v5, vcc_lo
	global_store_b128 v[4:5], v[0:3], off
	s_or_b32 exec_lo, exec_lo, s47
	s_and_saveexec_b32 s22, s21
	s_cbranch_execz .LBB79_14
.LBB79_18:                              ;   in Loop: Header=BB79_4 Depth=1
	v_dual_mov_b32 v0, s24 :: v_dual_mov_b32 v1, s25
	v_dual_mov_b32 v2, s26 :: v_dual_mov_b32 v3, s27
	s_wait_loadcnt 0x0
	v_dual_mov_b32 v4, v56 :: v_dual_mov_b32 v5, v57
	v_dual_mov_b32 v6, v58 :: v_dual_mov_b32 v7, v59
	s_getpc_b64 s[0:1]
	s_wait_alu 0xfffe
	s_sext_i32_i16 s1, s1
	s_add_co_u32 s0, s0, _ZN2at6native12_GLOBAL__N_14pow_IdEEN3c107complexIT_EES6_S6_@rel32@lo+12
	s_wait_alu 0xfffe
	s_add_co_ci_u32 s1, s1, _ZN2at6native12_GLOBAL__N_14pow_IdEEN3c107complexIT_EES6_S6_@rel32@hi+24
	s_wait_alu 0xfffe
	s_swappc_b64 s[30:31], s[0:1]
	v_lshlrev_b64_e32 v[4:5], 4, v[68:69]
	s_delay_alu instid0(VALU_DEP_1) | instskip(SKIP_1) | instid1(VALU_DEP_2)
	v_add_co_u32 v4, vcc_lo, s34, v4
	s_wait_alu 0xfffd
	v_add_co_ci_u32_e64 v5, null, s35, v5, vcc_lo
	global_store_b128 v[4:5], v[0:3], off
	s_or_b32 exec_lo, exec_lo, s22
	s_and_saveexec_b32 s21, s20
	s_cbranch_execz .LBB79_3
.LBB79_19:                              ;   in Loop: Header=BB79_4 Depth=1
	v_dual_mov_b32 v0, s24 :: v_dual_mov_b32 v1, s25
	v_dual_mov_b32 v2, s26 :: v_dual_mov_b32 v3, s27
	s_wait_loadcnt 0x0
	v_dual_mov_b32 v4, v40 :: v_dual_mov_b32 v5, v41
	v_dual_mov_b32 v6, v42 :: v_dual_mov_b32 v7, v43
	s_getpc_b64 s[0:1]
	s_wait_alu 0xfffe
	s_sext_i32_i16 s1, s1
	s_add_co_u32 s0, s0, _ZN2at6native12_GLOBAL__N_14pow_IdEEN3c107complexIT_EES6_S6_@rel32@lo+12
	s_wait_alu 0xfffe
	s_add_co_ci_u32 s1, s1, _ZN2at6native12_GLOBAL__N_14pow_IdEEN3c107complexIT_EES6_S6_@rel32@hi+24
	s_wait_alu 0xfffe
	s_swappc_b64 s[30:31], s[0:1]
	v_lshlrev_b64_e32 v[4:5], 4, v[61:62]
	s_delay_alu instid0(VALU_DEP_1) | instskip(SKIP_1) | instid1(VALU_DEP_2)
	v_add_co_u32 v4, vcc_lo, s34, v4
	s_wait_alu 0xfffd
	v_add_co_ci_u32_e64 v5, null, s35, v5, vcc_lo
	global_store_b128 v[4:5], v[0:3], off
	s_branch .LBB79_3
.LBB79_20:
	s_mov_b32 s0, 0
.LBB79_21:
	s_wait_alu 0xfffe
	s_and_not1_b32 vcc_lo, exec_lo, s0
	s_wait_alu 0xfffe
	s_cbranch_vccnz .LBB79_25
; %bb.22:
	v_cmp_gt_i64_e64 s0, 0x10000, s[36:37]
	v_dual_mov_b32 v1, 0 :: v_dual_lshlrev_b32 v0, 2, v60
	s_mov_b32 s23, 0
	s_and_b32 s0, s0, exec_lo
	s_cselect_b32 s21, s37, 0
	s_cselect_b32 s20, s36, 0x10000
	s_mov_b32 s0, exec_lo
	s_wait_alu 0xfffe
	v_cmpx_gt_i64_e64 s[20:21], v[0:1]
	s_cbranch_execz .LBB79_25
; %bb.23:
	s_load_b32 s0, s[18:19], 0xc6c
	v_dual_mov_b32 v61, v1 :: v_dual_lshlrev_b32 v62, 6, v60
	s_mov_b32 s19, s23
	s_wait_kmcnt 0x0
	s_and_b32 s18, s0, 0xffff
	s_wait_alu 0xfffe
	s_lshl_b32 s22, s18, 6
.LBB79_24:                              ; =>This Inner Loop Header: Depth=1
	v_add_co_u32 v0, s0, s28, v62
	s_wait_alu 0xf1ff
	v_add_co_ci_u32_e64 v1, null, s29, 0, s0
	v_dual_mov_b32 v2, s26 :: v_dual_mov_b32 v3, s27
	s_getpc_b64 s[36:37]
	s_wait_alu 0xfffe
	s_sext_i32_i16 s37, s37
	s_add_co_u32 s36, s36, _ZN2at6native12_GLOBAL__N_14pow_IdEEN3c107complexIT_EES6_S6_@rel32@lo+12
	s_wait_alu 0xfffe
	s_add_co_ci_u32 s37, s37, _ZN2at6native12_GLOBAL__N_14pow_IdEEN3c107complexIT_EES6_S6_@rel32@hi+24
	s_wait_loadcnt 0x0
	s_clause 0x3
	global_load_b128 v[4:7], v[0:1], off
	global_load_b128 v[40:43], v[0:1], off offset:16
	global_load_b128 v[44:47], v[0:1], off offset:48
	;; [unrolled: 1-line block ×3, first 2 shown]
	v_dual_mov_b32 v0, s24 :: v_dual_mov_b32 v1, s25
	s_wait_alu 0xfffe
	s_swappc_b64 s[30:31], s[36:37]
	s_delay_alu instid0(VALU_DEP_1)
	v_dual_mov_b32 v68, v0 :: v_dual_mov_b32 v69, v1
	v_dual_mov_b32 v70, v2 :: v_dual_mov_b32 v71, v3
	v_dual_mov_b32 v0, s24 :: v_dual_mov_b32 v1, s25
	v_dual_mov_b32 v2, s26 :: v_dual_mov_b32 v3, s27
	v_dual_mov_b32 v4, v40 :: v_dual_mov_b32 v5, v41
	v_dual_mov_b32 v6, v42 :: v_dual_mov_b32 v7, v43
	s_wait_alu 0xfffe
	s_swappc_b64 s[30:31], s[36:37]
	v_dual_mov_b32 v40, v0 :: v_dual_mov_b32 v41, v1
	v_dual_mov_b32 v42, v2 :: v_dual_mov_b32 v43, v3
	v_dual_mov_b32 v0, s24 :: v_dual_mov_b32 v1, s25
	v_dual_mov_b32 v2, s26 :: v_dual_mov_b32 v3, s27
	v_dual_mov_b32 v4, v56 :: v_dual_mov_b32 v5, v57
	v_dual_mov_b32 v6, v58 :: v_dual_mov_b32 v7, v59
	s_wait_alu 0xfffe
	s_swappc_b64 s[30:31], s[36:37]
	;; [unrolled: 8-line block ×3, first 2 shown]
	v_add_co_u32 v60, vcc_lo, v60, s18
	s_wait_alu 0xfffd
	v_add_co_ci_u32_e64 v61, null, 0, v61, vcc_lo
	v_add_co_u32 v6, s0, s34, v62
	s_wait_alu 0xf1ff
	v_add_co_ci_u32_e64 v7, null, s35, 0, s0
	s_delay_alu instid0(VALU_DEP_3)
	v_lshlrev_b64_e32 v[4:5], 2, v[60:61]
	s_add_nc_u64 s[34:35], s[34:35], s[22:23]
	s_add_nc_u64 s[28:29], s[28:29], s[22:23]
	s_clause 0x3
	global_store_b128 v[6:7], v[68:71], off
	global_store_b128 v[6:7], v[40:43], off offset:16
	global_store_b128 v[6:7], v[56:59], off offset:32
	;; [unrolled: 1-line block ×3, first 2 shown]
	v_cmp_le_i64_e32 vcc_lo, s[20:21], v[4:5]
	s_or_b32 s19, vcc_lo, s19
	s_wait_alu 0xfffe
	s_and_not1_b32 exec_lo, exec_lo, s19
	s_cbranch_execnz .LBB79_24
.LBB79_25:
	s_endpgm
	.section	.rodata,"a",@progbits
	.p2align	6, 0x0
	.amdhsa_kernel _ZN2at6native12_GLOBAL__N_125multi_tensor_apply_kernelINS1_18TensorListMetadataILi2EEENS1_21BinaryOpScalarFunctorIN3c107complexIdEELi2ELi1ELi1EEEJNS1_21reverse_power_functorIS8_EES8_EEEvT_T0_DpT1_
		.amdhsa_group_segment_fixed_size 0
		.amdhsa_private_segment_fixed_size 0
		.amdhsa_kernarg_size 3424
		.amdhsa_user_sgpr_count 2
		.amdhsa_user_sgpr_dispatch_ptr 0
		.amdhsa_user_sgpr_queue_ptr 0
		.amdhsa_user_sgpr_kernarg_segment_ptr 1
		.amdhsa_user_sgpr_dispatch_id 0
		.amdhsa_user_sgpr_private_segment_size 0
		.amdhsa_wavefront_size32 1
		.amdhsa_uses_dynamic_stack 0
		.amdhsa_enable_private_segment 0
		.amdhsa_system_sgpr_workgroup_id_x 1
		.amdhsa_system_sgpr_workgroup_id_y 0
		.amdhsa_system_sgpr_workgroup_id_z 0
		.amdhsa_system_sgpr_workgroup_info 0
		.amdhsa_system_vgpr_workitem_id 0
		.amdhsa_next_free_vgpr 74
		.amdhsa_next_free_sgpr 48
		.amdhsa_reserve_vcc 1
		.amdhsa_float_round_mode_32 0
		.amdhsa_float_round_mode_16_64 0
		.amdhsa_float_denorm_mode_32 3
		.amdhsa_float_denorm_mode_16_64 3
		.amdhsa_fp16_overflow 0
		.amdhsa_workgroup_processor_mode 1
		.amdhsa_memory_ordered 1
		.amdhsa_forward_progress 1
		.amdhsa_inst_pref_size 15
		.amdhsa_round_robin_scheduling 0
		.amdhsa_exception_fp_ieee_invalid_op 0
		.amdhsa_exception_fp_denorm_src 0
		.amdhsa_exception_fp_ieee_div_zero 0
		.amdhsa_exception_fp_ieee_overflow 0
		.amdhsa_exception_fp_ieee_underflow 0
		.amdhsa_exception_fp_ieee_inexact 0
		.amdhsa_exception_int_div_zero 0
	.end_amdhsa_kernel
	.section	.text._ZN2at6native12_GLOBAL__N_125multi_tensor_apply_kernelINS1_18TensorListMetadataILi2EEENS1_21BinaryOpScalarFunctorIN3c107complexIdEELi2ELi1ELi1EEEJNS1_21reverse_power_functorIS8_EES8_EEEvT_T0_DpT1_,"axG",@progbits,_ZN2at6native12_GLOBAL__N_125multi_tensor_apply_kernelINS1_18TensorListMetadataILi2EEENS1_21BinaryOpScalarFunctorIN3c107complexIdEELi2ELi1ELi1EEEJNS1_21reverse_power_functorIS8_EES8_EEEvT_T0_DpT1_,comdat
.Lfunc_end79:
	.size	_ZN2at6native12_GLOBAL__N_125multi_tensor_apply_kernelINS1_18TensorListMetadataILi2EEENS1_21BinaryOpScalarFunctorIN3c107complexIdEELi2ELi1ELi1EEEJNS1_21reverse_power_functorIS8_EES8_EEEvT_T0_DpT1_, .Lfunc_end79-_ZN2at6native12_GLOBAL__N_125multi_tensor_apply_kernelINS1_18TensorListMetadataILi2EEENS1_21BinaryOpScalarFunctorIN3c107complexIdEELi2ELi1ELi1EEEJNS1_21reverse_power_functorIS8_EES8_EEEvT_T0_DpT1_
                                        ; -- End function
	.set _ZN2at6native12_GLOBAL__N_125multi_tensor_apply_kernelINS1_18TensorListMetadataILi2EEENS1_21BinaryOpScalarFunctorIN3c107complexIdEELi2ELi1ELi1EEEJNS1_21reverse_power_functorIS8_EES8_EEEvT_T0_DpT1_.num_vgpr, max(74, .L_ZN2at6native12_GLOBAL__N_14pow_IdEEN3c107complexIT_EES6_S6_.num_vgpr)
	.set _ZN2at6native12_GLOBAL__N_125multi_tensor_apply_kernelINS1_18TensorListMetadataILi2EEENS1_21BinaryOpScalarFunctorIN3c107complexIdEELi2ELi1ELi1EEEJNS1_21reverse_power_functorIS8_EES8_EEEvT_T0_DpT1_.num_agpr, max(0, .L_ZN2at6native12_GLOBAL__N_14pow_IdEEN3c107complexIT_EES6_S6_.num_agpr)
	.set _ZN2at6native12_GLOBAL__N_125multi_tensor_apply_kernelINS1_18TensorListMetadataILi2EEENS1_21BinaryOpScalarFunctorIN3c107complexIdEELi2ELi1ELi1EEEJNS1_21reverse_power_functorIS8_EES8_EEEvT_T0_DpT1_.numbered_sgpr, max(48, .L_ZN2at6native12_GLOBAL__N_14pow_IdEEN3c107complexIT_EES6_S6_.numbered_sgpr)
	.set _ZN2at6native12_GLOBAL__N_125multi_tensor_apply_kernelINS1_18TensorListMetadataILi2EEENS1_21BinaryOpScalarFunctorIN3c107complexIdEELi2ELi1ELi1EEEJNS1_21reverse_power_functorIS8_EES8_EEEvT_T0_DpT1_.num_named_barrier, max(0, .L_ZN2at6native12_GLOBAL__N_14pow_IdEEN3c107complexIT_EES6_S6_.num_named_barrier)
	.set _ZN2at6native12_GLOBAL__N_125multi_tensor_apply_kernelINS1_18TensorListMetadataILi2EEENS1_21BinaryOpScalarFunctorIN3c107complexIdEELi2ELi1ELi1EEEJNS1_21reverse_power_functorIS8_EES8_EEEvT_T0_DpT1_.private_seg_size, 0+max(.L_ZN2at6native12_GLOBAL__N_14pow_IdEEN3c107complexIT_EES6_S6_.private_seg_size)
	.set _ZN2at6native12_GLOBAL__N_125multi_tensor_apply_kernelINS1_18TensorListMetadataILi2EEENS1_21BinaryOpScalarFunctorIN3c107complexIdEELi2ELi1ELi1EEEJNS1_21reverse_power_functorIS8_EES8_EEEvT_T0_DpT1_.uses_vcc, or(1, .L_ZN2at6native12_GLOBAL__N_14pow_IdEEN3c107complexIT_EES6_S6_.uses_vcc)
	.set _ZN2at6native12_GLOBAL__N_125multi_tensor_apply_kernelINS1_18TensorListMetadataILi2EEENS1_21BinaryOpScalarFunctorIN3c107complexIdEELi2ELi1ELi1EEEJNS1_21reverse_power_functorIS8_EES8_EEEvT_T0_DpT1_.uses_flat_scratch, or(0, .L_ZN2at6native12_GLOBAL__N_14pow_IdEEN3c107complexIT_EES6_S6_.uses_flat_scratch)
	.set _ZN2at6native12_GLOBAL__N_125multi_tensor_apply_kernelINS1_18TensorListMetadataILi2EEENS1_21BinaryOpScalarFunctorIN3c107complexIdEELi2ELi1ELi1EEEJNS1_21reverse_power_functorIS8_EES8_EEEvT_T0_DpT1_.has_dyn_sized_stack, or(0, .L_ZN2at6native12_GLOBAL__N_14pow_IdEEN3c107complexIT_EES6_S6_.has_dyn_sized_stack)
	.set _ZN2at6native12_GLOBAL__N_125multi_tensor_apply_kernelINS1_18TensorListMetadataILi2EEENS1_21BinaryOpScalarFunctorIN3c107complexIdEELi2ELi1ELi1EEEJNS1_21reverse_power_functorIS8_EES8_EEEvT_T0_DpT1_.has_recursion, or(0, .L_ZN2at6native12_GLOBAL__N_14pow_IdEEN3c107complexIT_EES6_S6_.has_recursion)
	.set _ZN2at6native12_GLOBAL__N_125multi_tensor_apply_kernelINS1_18TensorListMetadataILi2EEENS1_21BinaryOpScalarFunctorIN3c107complexIdEELi2ELi1ELi1EEEJNS1_21reverse_power_functorIS8_EES8_EEEvT_T0_DpT1_.has_indirect_call, or(0, .L_ZN2at6native12_GLOBAL__N_14pow_IdEEN3c107complexIT_EES6_S6_.has_indirect_call)
	.section	.AMDGPU.csdata,"",@progbits
; Kernel info:
; codeLenInByte = 1852
; TotalNumSgprs: 50
; NumVgprs: 74
; ScratchSize: 0
; MemoryBound: 1
; FloatMode: 240
; IeeeMode: 1
; LDSByteSize: 0 bytes/workgroup (compile time only)
; SGPRBlocks: 0
; VGPRBlocks: 9
; NumSGPRsForWavesPerEU: 50
; NumVGPRsForWavesPerEU: 74
; Occupancy: 16
; WaveLimiterHint : 0
; COMPUTE_PGM_RSRC2:SCRATCH_EN: 0
; COMPUTE_PGM_RSRC2:USER_SGPR: 2
; COMPUTE_PGM_RSRC2:TRAP_HANDLER: 0
; COMPUTE_PGM_RSRC2:TGID_X_EN: 1
; COMPUTE_PGM_RSRC2:TGID_Y_EN: 0
; COMPUTE_PGM_RSRC2:TGID_Z_EN: 0
; COMPUTE_PGM_RSRC2:TIDIG_COMP_CNT: 0
	.section	.text._ZN2at6native12_GLOBAL__N_125multi_tensor_apply_kernelINS1_18TensorListMetadataILi2EEENS1_21BinaryOpScalarFunctorIN3c107complexIfEELi2ELi1ELi1EEEJNS1_21reverse_power_functorIS8_EES8_EEEvT_T0_DpT1_,"axG",@progbits,_ZN2at6native12_GLOBAL__N_125multi_tensor_apply_kernelINS1_18TensorListMetadataILi2EEENS1_21BinaryOpScalarFunctorIN3c107complexIfEELi2ELi1ELi1EEEJNS1_21reverse_power_functorIS8_EES8_EEEvT_T0_DpT1_,comdat
	.globl	_ZN2at6native12_GLOBAL__N_125multi_tensor_apply_kernelINS1_18TensorListMetadataILi2EEENS1_21BinaryOpScalarFunctorIN3c107complexIfEELi2ELi1ELi1EEEJNS1_21reverse_power_functorIS8_EES8_EEEvT_T0_DpT1_ ; -- Begin function _ZN2at6native12_GLOBAL__N_125multi_tensor_apply_kernelINS1_18TensorListMetadataILi2EEENS1_21BinaryOpScalarFunctorIN3c107complexIfEELi2ELi1ELi1EEEJNS1_21reverse_power_functorIS8_EES8_EEEvT_T0_DpT1_
	.p2align	8
	.type	_ZN2at6native12_GLOBAL__N_125multi_tensor_apply_kernelINS1_18TensorListMetadataILi2EEENS1_21BinaryOpScalarFunctorIN3c107complexIfEELi2ELi1ELi1EEEJNS1_21reverse_power_functorIS8_EES8_EEEvT_T0_DpT1_,@function
_ZN2at6native12_GLOBAL__N_125multi_tensor_apply_kernelINS1_18TensorListMetadataILi2EEENS1_21BinaryOpScalarFunctorIN3c107complexIfEELi2ELi1ELi1EEEJNS1_21reverse_power_functorIS8_EES8_EEEvT_T0_DpT1_: ; @_ZN2at6native12_GLOBAL__N_125multi_tensor_apply_kernelINS1_18TensorListMetadataILi2EEENS1_21BinaryOpScalarFunctorIN3c107complexIfEELi2ELi1ELi1EEEJNS1_21reverse_power_functorIS8_EES8_EEEvT_T0_DpT1_
; %bb.0:
	s_mov_b64 s[16:17], s[0:1]
	s_mov_b32 s0, ttmp9
	s_load_u8 s6, s[16:17], ttmp9 offset:0x600
	s_mov_b32 s1, 0
	v_mov_b32_e32 v23, v0
	s_mul_u64 s[2:3], s[0:1], 3
	s_add_nc_u64 s[4:5], s[16:17], s[0:1]
	s_mov_b32 s13, s1
	s_add_nc_u64 s[2:3], s[4:5], s[2:3]
	s_mov_b32 s32, 16
	s_load_b32 s2, s[2:3], 0x740
	s_wait_kmcnt 0x0
	s_lshl_b32 s0, s6, 3
	s_clause 0x3
	s_load_b64 s[4:5], s[16:17], s0 offset:0x0
	s_load_b64 s[6:7], s[16:17], s0 offset:0x200
	;; [unrolled: 1-line block ×3, first 2 shown]
	s_load_b64 s[22:23], s[16:17], 0xc50
	s_ashr_i32 s3, s2, 31
	s_delay_alu instid0(SALU_CYCLE_1)
	s_lshl_b64 s[10:11], s[2:3], 19
	s_lshl_b64 s[2:3], s[2:3], 16
	s_wait_kmcnt 0x0
	s_add_nc_u64 s[24:25], s[4:5], s[10:11]
	s_add_nc_u64 s[26:27], s[6:7], s[10:11]
	s_and_b32 s4, s8, 3
	s_and_b32 s12, s26, 31
	s_mov_b32 s5, s1
	s_and_b32 s0, s24, 31
	s_or_b64 s[4:5], s[12:13], s[4:5]
	s_sub_nc_u64 s[28:29], s[8:9], s[2:3]
	s_or_b64 s[0:1], s[4:5], s[0:1]
	s_delay_alu instid0(SALU_CYCLE_1)
	s_cmp_eq_u64 s[0:1], 0
	s_mov_b32 s0, -1
	s_cbranch_scc1 .LBB80_19
; %bb.1:
	v_cmp_lt_i64_e64 s0, s[28:29], 1
	s_and_b32 vcc_lo, exec_lo, s0
	s_cbranch_vccnz .LBB80_18
; %bb.2:
	s_load_b32 s0, s[16:17], 0xc64
	v_cmp_gt_i64_e64 s1, 0x10000, s[28:29]
	v_mov_b32_e32 v30, 0
	v_cmp_gt_u64_e64 s2, 0x10000, s[28:29]
	s_mov_b64 s[34:35], src_private_base
	s_mov_b32 s37, 0
	s_mov_b64 s[42:43], 0
	v_mov_b32_e32 v31, v30
	s_and_b32 s1, s1, exec_lo
	s_cselect_b32 s39, s29, 0
	s_cselect_b32 s38, s28, 0x10000
	s_wait_kmcnt 0x0
	s_and_b32 s33, s0, 0xffff
	s_and_b32 s0, s2, exec_lo
	s_cselect_b32 s41, s29, 0
	s_cselect_b32 s40, s28, 0x10000
	s_lshl_b32 s34, s33, 1
	s_mul_i32 s46, s33, 3
	s_lshl_b32 s36, s33, 2
	s_branch .LBB80_4
.LBB80_3:                               ;   in Loop: Header=BB80_4 Depth=1
	s_wait_alu 0xfffe
	s_or_b32 exec_lo, exec_lo, s0
	s_add_nc_u64 s[42:43], s[42:43], s[36:37]
	s_wait_alu 0xfffe
	v_cmp_lt_i64_e64 s0, s[42:43], s[38:39]
	s_and_b32 vcc_lo, exec_lo, s0
	s_wait_alu 0xfffe
	s_cbranch_vccz .LBB80_18
.LBB80_4:                               ; =>This Inner Loop Header: Depth=1
	v_add_co_u32 v36, s0, s42, v23
	s_wait_alu 0xf1ff
	v_add_co_ci_u32_e64 v37, null, s43, 0, s0
	v_dual_mov_b32 v29, 0 :: v_dual_mov_b32 v28, 0
	s_delay_alu instid0(VALU_DEP_2)
	v_cmp_gt_u64_e64 s21, s[40:41], v[36:37]
	s_and_saveexec_b32 s0, s21
	s_cbranch_execz .LBB80_6
; %bb.5:                                ;   in Loop: Header=BB80_4 Depth=1
	v_lshlrev_b64_e32 v[0:1], 3, v[36:37]
	s_delay_alu instid0(VALU_DEP_1) | instskip(SKIP_1) | instid1(VALU_DEP_2)
	v_add_co_u32 v0, vcc_lo, s24, v0
	s_wait_alu 0xfffd
	v_add_co_ci_u32_e64 v1, null, s25, v1, vcc_lo
	global_load_b64 v[28:29], v[0:1], off
.LBB80_6:                               ;   in Loop: Header=BB80_4 Depth=1
	s_wait_alu 0xfffe
	s_or_b32 exec_lo, exec_lo, s0
	v_add_co_u32 v34, vcc_lo, v36, s33
	s_wait_alu 0xfffd
	v_add_co_ci_u32_e64 v35, null, 0, v37, vcc_lo
	v_dual_mov_b32 v27, 0 :: v_dual_mov_b32 v26, 0
	s_delay_alu instid0(VALU_DEP_2)
	v_cmp_gt_u64_e64 s20, s[40:41], v[34:35]
	s_and_saveexec_b32 s0, s20
	s_cbranch_execz .LBB80_8
; %bb.7:                                ;   in Loop: Header=BB80_4 Depth=1
	v_lshlrev_b64_e32 v[0:1], 3, v[34:35]
	s_delay_alu instid0(VALU_DEP_1) | instskip(SKIP_1) | instid1(VALU_DEP_2)
	v_add_co_u32 v0, vcc_lo, s24, v0
	s_wait_alu 0xfffd
	v_add_co_ci_u32_e64 v1, null, s25, v1, vcc_lo
	global_load_b64 v[26:27], v[0:1], off
.LBB80_8:                               ;   in Loop: Header=BB80_4 Depth=1
	s_wait_alu 0xfffe
	s_or_b32 exec_lo, exec_lo, s0
	v_add_co_u32 v32, vcc_lo, v36, s34
	s_wait_alu 0xfffd
	v_add_co_ci_u32_e64 v33, null, 0, v37, vcc_lo
	v_mov_b32_e32 v24, 0
	v_mov_b32_e32 v25, 0
	s_delay_alu instid0(VALU_DEP_3)
	v_cmp_gt_u64_e64 s19, s[40:41], v[32:33]
	s_and_saveexec_b32 s0, s19
	s_cbranch_execz .LBB80_10
; %bb.9:                                ;   in Loop: Header=BB80_4 Depth=1
	v_lshlrev_b64_e32 v[0:1], 3, v[32:33]
	s_delay_alu instid0(VALU_DEP_1) | instskip(SKIP_1) | instid1(VALU_DEP_2)
	v_add_co_u32 v0, vcc_lo, s24, v0
	s_wait_alu 0xfffd
	v_add_co_ci_u32_e64 v1, null, s25, v1, vcc_lo
	global_load_b64 v[24:25], v[0:1], off
.LBB80_10:                              ;   in Loop: Header=BB80_4 Depth=1
	s_wait_alu 0xfffe
	s_or_b32 exec_lo, exec_lo, s0
	v_add_co_u32 v0, vcc_lo, v36, s46
	s_wait_alu 0xfffd
	v_add_co_ci_u32_e64 v1, null, 0, v37, vcc_lo
	scratch_store_b64 off, v[30:31], off
	s_getpc_b64 s[44:45]
	s_wait_alu 0xfffe
	s_sext_i32_i16 s45, s45
	s_add_co_u32 s44, s44, _ZN2at6native12_GLOBAL__N_14pow_IfEEN3c107complexIT_EES6_S6_@rel32@lo+12
	s_wait_alu 0xfffe
	s_add_co_ci_u32 s45, s45, _ZN2at6native12_GLOBAL__N_14pow_IfEEN3c107complexIT_EES6_S6_@rel32@hi+24
	v_lshlrev_b64_e32 v[38:39], 3, v[0:1]
	v_cmp_gt_u64_e64 s18, s[40:41], v[0:1]
	s_delay_alu instid0(VALU_DEP_2) | instskip(SKIP_1) | instid1(VALU_DEP_3)
	v_add_co_u32 v2, vcc_lo, s24, v38
	s_wait_alu 0xfffd
	v_add_co_ci_u32_e64 v3, null, s25, v39, vcc_lo
	s_wait_alu 0xf1ff
	s_delay_alu instid0(VALU_DEP_2) | instskip(NEXT) | instid1(VALU_DEP_2)
	v_cndmask_b32_e64 v0, 0, v2, s18
	v_cndmask_b32_e64 v1, s35, v3, s18
	flat_load_b64 v[2:3], v[0:1]
	v_dual_mov_b32 v0, s22 :: v_dual_mov_b32 v1, s23
	s_wait_alu 0xfffe
	s_swappc_b64 s[30:31], s[44:45]
	scratch_store_b64 off, v[0:1], off
	s_and_saveexec_b32 s47, s21
	s_cbranch_execnz .LBB80_14
; %bb.11:                               ;   in Loop: Header=BB80_4 Depth=1
	s_wait_alu 0xfffe
	s_or_b32 exec_lo, exec_lo, s47
	s_and_saveexec_b32 s21, s20
	s_cbranch_execnz .LBB80_15
.LBB80_12:                              ;   in Loop: Header=BB80_4 Depth=1
	s_wait_alu 0xfffe
	s_or_b32 exec_lo, exec_lo, s21
	s_and_saveexec_b32 s20, s19
	s_cbranch_execnz .LBB80_16
.LBB80_13:                              ;   in Loop: Header=BB80_4 Depth=1
	s_wait_alu 0xfffe
	s_or_b32 exec_lo, exec_lo, s20
	s_and_saveexec_b32 s0, s18
	s_cbranch_execz .LBB80_3
	s_branch .LBB80_17
.LBB80_14:                              ;   in Loop: Header=BB80_4 Depth=1
	v_dual_mov_b32 v0, s22 :: v_dual_mov_b32 v1, s23
	v_dual_mov_b32 v2, v28 :: v_dual_mov_b32 v3, v29
	s_wait_alu 0xfffe
	s_swappc_b64 s[30:31], s[44:45]
	v_lshlrev_b64_e32 v[2:3], 3, v[36:37]
	s_delay_alu instid0(VALU_DEP_1) | instskip(SKIP_1) | instid1(VALU_DEP_2)
	v_add_co_u32 v2, vcc_lo, s26, v2
	s_wait_alu 0xfffd
	v_add_co_ci_u32_e64 v3, null, s27, v3, vcc_lo
	global_store_b64 v[2:3], v[0:1], off
	s_or_b32 exec_lo, exec_lo, s47
	s_and_saveexec_b32 s21, s20
	s_cbranch_execz .LBB80_12
.LBB80_15:                              ;   in Loop: Header=BB80_4 Depth=1
	v_dual_mov_b32 v0, s22 :: v_dual_mov_b32 v1, s23
	v_dual_mov_b32 v2, v26 :: v_dual_mov_b32 v3, v27
	s_getpc_b64 s[0:1]
	s_wait_alu 0xfffe
	s_sext_i32_i16 s1, s1
	s_add_co_u32 s0, s0, _ZN2at6native12_GLOBAL__N_14pow_IfEEN3c107complexIT_EES6_S6_@rel32@lo+12
	s_wait_alu 0xfffe
	s_add_co_ci_u32 s1, s1, _ZN2at6native12_GLOBAL__N_14pow_IfEEN3c107complexIT_EES6_S6_@rel32@hi+24
	s_wait_alu 0xfffe
	s_swappc_b64 s[30:31], s[0:1]
	v_lshlrev_b64_e32 v[2:3], 3, v[34:35]
	s_delay_alu instid0(VALU_DEP_1) | instskip(SKIP_1) | instid1(VALU_DEP_2)
	v_add_co_u32 v2, vcc_lo, s26, v2
	s_wait_alu 0xfffd
	v_add_co_ci_u32_e64 v3, null, s27, v3, vcc_lo
	global_store_b64 v[2:3], v[0:1], off
	s_or_b32 exec_lo, exec_lo, s21
	s_and_saveexec_b32 s20, s19
	s_cbranch_execz .LBB80_13
.LBB80_16:                              ;   in Loop: Header=BB80_4 Depth=1
	v_dual_mov_b32 v0, s22 :: v_dual_mov_b32 v1, s23
	v_dual_mov_b32 v2, v24 :: v_dual_mov_b32 v3, v25
	s_getpc_b64 s[0:1]
	s_wait_alu 0xfffe
	s_sext_i32_i16 s1, s1
	s_add_co_u32 s0, s0, _ZN2at6native12_GLOBAL__N_14pow_IfEEN3c107complexIT_EES6_S6_@rel32@lo+12
	s_wait_alu 0xfffe
	s_add_co_ci_u32 s1, s1, _ZN2at6native12_GLOBAL__N_14pow_IfEEN3c107complexIT_EES6_S6_@rel32@hi+24
	s_wait_alu 0xfffe
	s_swappc_b64 s[30:31], s[0:1]
	v_lshlrev_b64_e32 v[2:3], 3, v[32:33]
	s_delay_alu instid0(VALU_DEP_1) | instskip(SKIP_1) | instid1(VALU_DEP_2)
	v_add_co_u32 v2, vcc_lo, s26, v2
	s_wait_alu 0xfffd
	v_add_co_ci_u32_e64 v3, null, s27, v3, vcc_lo
	global_store_b64 v[2:3], v[0:1], off
	s_or_b32 exec_lo, exec_lo, s20
	s_and_saveexec_b32 s0, s18
	s_cbranch_execz .LBB80_3
.LBB80_17:                              ;   in Loop: Header=BB80_4 Depth=1
	scratch_load_b64 v[0:1], off, off
	v_add_co_u32 v2, vcc_lo, s26, v38
	s_wait_alu 0xfffd
	v_add_co_ci_u32_e64 v3, null, s27, v39, vcc_lo
	s_wait_loadcnt 0x0
	global_store_b64 v[2:3], v[0:1], off
	s_branch .LBB80_3
.LBB80_18:
	s_mov_b32 s0, 0
.LBB80_19:
	s_wait_alu 0xfffe
	s_and_not1_b32 vcc_lo, exec_lo, s0
	s_wait_alu 0xfffe
	s_cbranch_vccnz .LBB80_23
; %bb.20:
	v_cmp_gt_i64_e64 s0, 0x10000, s[28:29]
	v_dual_mov_b32 v1, 0 :: v_dual_lshlrev_b32 v0, 2, v23
	s_mov_b32 s21, 0
	s_and_b32 s0, s0, exec_lo
	s_cselect_b32 s19, s29, 0
	s_cselect_b32 s18, s28, 0x10000
	s_mov_b32 s0, exec_lo
	s_wait_alu 0xfffe
	v_cmpx_gt_i64_e64 s[18:19], v[0:1]
	s_cbranch_execz .LBB80_23
; %bb.21:
	s_load_b32 s0, s[16:17], 0xc64
	v_dual_mov_b32 v24, v1 :: v_dual_lshlrev_b32 v33, 5, v23
	s_mov_b32 s17, s21
	s_wait_kmcnt 0x0
	s_and_b32 s16, s0, 0xffff
	s_wait_alu 0xfffe
	s_lshl_b32 s20, s16, 5
.LBB80_22:                              ; =>This Inner Loop Header: Depth=1
	v_add_co_u32 v0, s0, s24, v33
	s_wait_alu 0xf1ff
	v_add_co_ci_u32_e64 v1, null, s25, 0, s0
	s_getpc_b64 s[28:29]
	s_wait_alu 0xfffe
	s_sext_i32_i16 s29, s29
	s_add_co_u32 s28, s28, _ZN2at6native12_GLOBAL__N_14pow_IfEEN3c107complexIT_EES6_S6_@rel32@lo+12
	s_wait_alu 0xfffe
	s_add_co_ci_u32 s29, s29, _ZN2at6native12_GLOBAL__N_14pow_IfEEN3c107complexIT_EES6_S6_@rel32@hi+24
	s_clause 0x1
	global_load_b128 v[25:28], v[0:1], off
	global_load_b128 v[29:32], v[0:1], off offset:16
	v_dual_mov_b32 v0, s22 :: v_dual_mov_b32 v1, s23
	s_wait_loadcnt 0x1
	v_dual_mov_b32 v2, v25 :: v_dual_mov_b32 v3, v26
	s_wait_alu 0xfffe
	s_swappc_b64 s[30:31], s[28:29]
	v_dual_mov_b32 v25, v0 :: v_dual_mov_b32 v26, v1
	v_dual_mov_b32 v0, s22 :: v_dual_mov_b32 v1, s23
	;; [unrolled: 1-line block ×3, first 2 shown]
	s_wait_alu 0xfffe
	s_swappc_b64 s[30:31], s[28:29]
	s_delay_alu instid0(VALU_DEP_2) | instskip(SKIP_4) | instid1(VALU_DEP_2)
	v_dual_mov_b32 v27, v0 :: v_dual_mov_b32 v28, v1
	v_dual_mov_b32 v0, s22 :: v_dual_mov_b32 v1, s23
	;; [unrolled: 1-line block ×3, first 2 shown]
	s_wait_alu 0xfffe
	s_swappc_b64 s[30:31], s[28:29]
	v_dual_mov_b32 v29, v0 :: v_dual_mov_b32 v30, v1
	v_dual_mov_b32 v0, s22 :: v_dual_mov_b32 v1, s23
	v_dual_mov_b32 v2, v31 :: v_dual_mov_b32 v3, v32
	s_wait_alu 0xfffe
	s_swappc_b64 s[30:31], s[28:29]
	v_add_co_u32 v23, vcc_lo, v23, s16
	s_wait_alu 0xfffd
	v_add_co_ci_u32_e64 v24, null, 0, v24, vcc_lo
	v_dual_mov_b32 v31, v0 :: v_dual_mov_b32 v32, v1
	v_add_co_u32 v2, s0, s26, v33
	s_delay_alu instid0(VALU_DEP_3)
	v_lshlrev_b64_e32 v[0:1], 2, v[23:24]
	s_wait_alu 0xf1ff
	v_add_co_ci_u32_e64 v3, null, s27, 0, s0
	s_add_nc_u64 s[26:27], s[26:27], s[20:21]
	s_add_nc_u64 s[24:25], s[24:25], s[20:21]
	scratch_store_b64 off, v[31:32], off
	v_cmp_le_i64_e32 vcc_lo, s[18:19], v[0:1]
	s_clause 0x1
	global_store_b128 v[2:3], v[25:28], off
	global_store_b128 v[2:3], v[29:32], off offset:16
	s_or_b32 s17, vcc_lo, s17
	s_wait_alu 0xfffe
	s_and_not1_b32 exec_lo, exec_lo, s17
	s_cbranch_execnz .LBB80_22
.LBB80_23:
	s_endpgm
	.section	.rodata,"a",@progbits
	.p2align	6, 0x0
	.amdhsa_kernel _ZN2at6native12_GLOBAL__N_125multi_tensor_apply_kernelINS1_18TensorListMetadataILi2EEENS1_21BinaryOpScalarFunctorIN3c107complexIfEELi2ELi1ELi1EEEJNS1_21reverse_power_functorIS8_EES8_EEEvT_T0_DpT1_
		.amdhsa_group_segment_fixed_size 0
		.amdhsa_private_segment_fixed_size 16
		.amdhsa_kernarg_size 3416
		.amdhsa_user_sgpr_count 2
		.amdhsa_user_sgpr_dispatch_ptr 0
		.amdhsa_user_sgpr_queue_ptr 0
		.amdhsa_user_sgpr_kernarg_segment_ptr 1
		.amdhsa_user_sgpr_dispatch_id 0
		.amdhsa_user_sgpr_private_segment_size 0
		.amdhsa_wavefront_size32 1
		.amdhsa_uses_dynamic_stack 0
		.amdhsa_enable_private_segment 1
		.amdhsa_system_sgpr_workgroup_id_x 1
		.amdhsa_system_sgpr_workgroup_id_y 0
		.amdhsa_system_sgpr_workgroup_id_z 0
		.amdhsa_system_sgpr_workgroup_info 0
		.amdhsa_system_vgpr_workitem_id 0
		.amdhsa_next_free_vgpr 40
		.amdhsa_next_free_sgpr 48
		.amdhsa_reserve_vcc 1
		.amdhsa_float_round_mode_32 0
		.amdhsa_float_round_mode_16_64 0
		.amdhsa_float_denorm_mode_32 3
		.amdhsa_float_denorm_mode_16_64 3
		.amdhsa_fp16_overflow 0
		.amdhsa_workgroup_processor_mode 1
		.amdhsa_memory_ordered 1
		.amdhsa_forward_progress 1
		.amdhsa_inst_pref_size 13
		.amdhsa_round_robin_scheduling 0
		.amdhsa_exception_fp_ieee_invalid_op 0
		.amdhsa_exception_fp_denorm_src 0
		.amdhsa_exception_fp_ieee_div_zero 0
		.amdhsa_exception_fp_ieee_overflow 0
		.amdhsa_exception_fp_ieee_underflow 0
		.amdhsa_exception_fp_ieee_inexact 0
		.amdhsa_exception_int_div_zero 0
	.end_amdhsa_kernel
	.section	.text._ZN2at6native12_GLOBAL__N_125multi_tensor_apply_kernelINS1_18TensorListMetadataILi2EEENS1_21BinaryOpScalarFunctorIN3c107complexIfEELi2ELi1ELi1EEEJNS1_21reverse_power_functorIS8_EES8_EEEvT_T0_DpT1_,"axG",@progbits,_ZN2at6native12_GLOBAL__N_125multi_tensor_apply_kernelINS1_18TensorListMetadataILi2EEENS1_21BinaryOpScalarFunctorIN3c107complexIfEELi2ELi1ELi1EEEJNS1_21reverse_power_functorIS8_EES8_EEEvT_T0_DpT1_,comdat
.Lfunc_end80:
	.size	_ZN2at6native12_GLOBAL__N_125multi_tensor_apply_kernelINS1_18TensorListMetadataILi2EEENS1_21BinaryOpScalarFunctorIN3c107complexIfEELi2ELi1ELi1EEEJNS1_21reverse_power_functorIS8_EES8_EEEvT_T0_DpT1_, .Lfunc_end80-_ZN2at6native12_GLOBAL__N_125multi_tensor_apply_kernelINS1_18TensorListMetadataILi2EEENS1_21BinaryOpScalarFunctorIN3c107complexIfEELi2ELi1ELi1EEEJNS1_21reverse_power_functorIS8_EES8_EEEvT_T0_DpT1_
                                        ; -- End function
	.set _ZN2at6native12_GLOBAL__N_125multi_tensor_apply_kernelINS1_18TensorListMetadataILi2EEENS1_21BinaryOpScalarFunctorIN3c107complexIfEELi2ELi1ELi1EEEJNS1_21reverse_power_functorIS8_EES8_EEEvT_T0_DpT1_.num_vgpr, max(40, .L_ZN2at6native12_GLOBAL__N_14pow_IfEEN3c107complexIT_EES6_S6_.num_vgpr)
	.set _ZN2at6native12_GLOBAL__N_125multi_tensor_apply_kernelINS1_18TensorListMetadataILi2EEENS1_21BinaryOpScalarFunctorIN3c107complexIfEELi2ELi1ELi1EEEJNS1_21reverse_power_functorIS8_EES8_EEEvT_T0_DpT1_.num_agpr, max(0, .L_ZN2at6native12_GLOBAL__N_14pow_IfEEN3c107complexIT_EES6_S6_.num_agpr)
	.set _ZN2at6native12_GLOBAL__N_125multi_tensor_apply_kernelINS1_18TensorListMetadataILi2EEENS1_21BinaryOpScalarFunctorIN3c107complexIfEELi2ELi1ELi1EEEJNS1_21reverse_power_functorIS8_EES8_EEEvT_T0_DpT1_.numbered_sgpr, max(48, .L_ZN2at6native12_GLOBAL__N_14pow_IfEEN3c107complexIT_EES6_S6_.numbered_sgpr)
	.set _ZN2at6native12_GLOBAL__N_125multi_tensor_apply_kernelINS1_18TensorListMetadataILi2EEENS1_21BinaryOpScalarFunctorIN3c107complexIfEELi2ELi1ELi1EEEJNS1_21reverse_power_functorIS8_EES8_EEEvT_T0_DpT1_.num_named_barrier, max(0, .L_ZN2at6native12_GLOBAL__N_14pow_IfEEN3c107complexIT_EES6_S6_.num_named_barrier)
	.set _ZN2at6native12_GLOBAL__N_125multi_tensor_apply_kernelINS1_18TensorListMetadataILi2EEENS1_21BinaryOpScalarFunctorIN3c107complexIfEELi2ELi1ELi1EEEJNS1_21reverse_power_functorIS8_EES8_EEEvT_T0_DpT1_.private_seg_size, 16+max(.L_ZN2at6native12_GLOBAL__N_14pow_IfEEN3c107complexIT_EES6_S6_.private_seg_size)
	.set _ZN2at6native12_GLOBAL__N_125multi_tensor_apply_kernelINS1_18TensorListMetadataILi2EEENS1_21BinaryOpScalarFunctorIN3c107complexIfEELi2ELi1ELi1EEEJNS1_21reverse_power_functorIS8_EES8_EEEvT_T0_DpT1_.uses_vcc, or(1, .L_ZN2at6native12_GLOBAL__N_14pow_IfEEN3c107complexIT_EES6_S6_.uses_vcc)
	.set _ZN2at6native12_GLOBAL__N_125multi_tensor_apply_kernelINS1_18TensorListMetadataILi2EEENS1_21BinaryOpScalarFunctorIN3c107complexIfEELi2ELi1ELi1EEEJNS1_21reverse_power_functorIS8_EES8_EEEvT_T0_DpT1_.uses_flat_scratch, or(0, .L_ZN2at6native12_GLOBAL__N_14pow_IfEEN3c107complexIT_EES6_S6_.uses_flat_scratch)
	.set _ZN2at6native12_GLOBAL__N_125multi_tensor_apply_kernelINS1_18TensorListMetadataILi2EEENS1_21BinaryOpScalarFunctorIN3c107complexIfEELi2ELi1ELi1EEEJNS1_21reverse_power_functorIS8_EES8_EEEvT_T0_DpT1_.has_dyn_sized_stack, or(0, .L_ZN2at6native12_GLOBAL__N_14pow_IfEEN3c107complexIT_EES6_S6_.has_dyn_sized_stack)
	.set _ZN2at6native12_GLOBAL__N_125multi_tensor_apply_kernelINS1_18TensorListMetadataILi2EEENS1_21BinaryOpScalarFunctorIN3c107complexIfEELi2ELi1ELi1EEEJNS1_21reverse_power_functorIS8_EES8_EEEvT_T0_DpT1_.has_recursion, or(0, .L_ZN2at6native12_GLOBAL__N_14pow_IfEEN3c107complexIT_EES6_S6_.has_recursion)
	.set _ZN2at6native12_GLOBAL__N_125multi_tensor_apply_kernelINS1_18TensorListMetadataILi2EEENS1_21BinaryOpScalarFunctorIN3c107complexIfEELi2ELi1ELi1EEEJNS1_21reverse_power_functorIS8_EES8_EEEvT_T0_DpT1_.has_indirect_call, or(0, .L_ZN2at6native12_GLOBAL__N_14pow_IfEEN3c107complexIT_EES6_S6_.has_indirect_call)
	.section	.AMDGPU.csdata,"",@progbits
; Kernel info:
; codeLenInByte = 1644
; TotalNumSgprs: 50
; NumVgprs: 40
; ScratchSize: 16
; MemoryBound: 0
; FloatMode: 240
; IeeeMode: 1
; LDSByteSize: 0 bytes/workgroup (compile time only)
; SGPRBlocks: 0
; VGPRBlocks: 4
; NumSGPRsForWavesPerEU: 50
; NumVGPRsForWavesPerEU: 40
; Occupancy: 16
; WaveLimiterHint : 0
; COMPUTE_PGM_RSRC2:SCRATCH_EN: 1
; COMPUTE_PGM_RSRC2:USER_SGPR: 2
; COMPUTE_PGM_RSRC2:TRAP_HANDLER: 0
; COMPUTE_PGM_RSRC2:TGID_X_EN: 1
; COMPUTE_PGM_RSRC2:TGID_Y_EN: 0
; COMPUTE_PGM_RSRC2:TGID_Z_EN: 0
; COMPUTE_PGM_RSRC2:TIDIG_COMP_CNT: 0
	.section	.text._ZN2at6native12_GLOBAL__N_125multi_tensor_apply_kernelINS1_18TensorListMetadataILi2EEENS1_21BinaryOpScalarFunctorIN3c104HalfELi2ELi1ELi1EEEJNS1_21reverse_power_functorIfEEfEEEvT_T0_DpT1_,"axG",@progbits,_ZN2at6native12_GLOBAL__N_125multi_tensor_apply_kernelINS1_18TensorListMetadataILi2EEENS1_21BinaryOpScalarFunctorIN3c104HalfELi2ELi1ELi1EEEJNS1_21reverse_power_functorIfEEfEEEvT_T0_DpT1_,comdat
	.globl	_ZN2at6native12_GLOBAL__N_125multi_tensor_apply_kernelINS1_18TensorListMetadataILi2EEENS1_21BinaryOpScalarFunctorIN3c104HalfELi2ELi1ELi1EEEJNS1_21reverse_power_functorIfEEfEEEvT_T0_DpT1_ ; -- Begin function _ZN2at6native12_GLOBAL__N_125multi_tensor_apply_kernelINS1_18TensorListMetadataILi2EEENS1_21BinaryOpScalarFunctorIN3c104HalfELi2ELi1ELi1EEEJNS1_21reverse_power_functorIfEEfEEEvT_T0_DpT1_
	.p2align	8
	.type	_ZN2at6native12_GLOBAL__N_125multi_tensor_apply_kernelINS1_18TensorListMetadataILi2EEENS1_21BinaryOpScalarFunctorIN3c104HalfELi2ELi1ELi1EEEJNS1_21reverse_power_functorIfEEfEEEvT_T0_DpT1_,@function
_ZN2at6native12_GLOBAL__N_125multi_tensor_apply_kernelINS1_18TensorListMetadataILi2EEENS1_21BinaryOpScalarFunctorIN3c104HalfELi2ELi1ELi1EEEJNS1_21reverse_power_functorIfEEfEEEvT_T0_DpT1_: ; @_ZN2at6native12_GLOBAL__N_125multi_tensor_apply_kernelINS1_18TensorListMetadataILi2EEENS1_21BinaryOpScalarFunctorIN3c104HalfELi2ELi1ELi1EEEJNS1_21reverse_power_functorIfEEfEEEvT_T0_DpT1_
; %bb.0:
	s_load_u8 s9, s[0:1], ttmp9 offset:0x600
	s_mov_b32 s6, ttmp9
	s_mov_b32 s7, 0
	s_delay_alu instid0(SALU_CYCLE_1)
	s_mul_u64 s[2:3], s[6:7], 3
	s_add_nc_u64 s[4:5], s[0:1], s[6:7]
	s_mov_b32 s15, s7
	s_add_nc_u64 s[2:3], s[4:5], s[2:3]
	s_mov_b32 s17, s7
	s_load_b32 s8, s[2:3], 0x740
	s_wait_kmcnt 0x0
	s_lshl_b32 s6, s9, 3
	s_clause 0x3
	s_load_b64 s[2:3], s[0:1], s6 offset:0x0
	s_load_b64 s[4:5], s[0:1], s6 offset:0x200
	;; [unrolled: 1-line block ×3, first 2 shown]
	s_load_b32 s26, s[0:1], 0xc4c
	s_ashr_i32 s9, s8, 31
	s_delay_alu instid0(SALU_CYCLE_1)
	s_lshl_b64 s[10:11], s[8:9], 17
	s_lshl_b64 s[8:9], s[8:9], 16
	s_wait_kmcnt 0x0
	s_add_nc_u64 s[18:19], s[2:3], s[10:11]
	s_add_nc_u64 s[20:21], s[4:5], s[10:11]
	s_and_b32 s16, s12, 3
	s_and_b32 s14, s20, 7
	;; [unrolled: 1-line block ×3, first 2 shown]
	s_or_b64 s[14:15], s[14:15], s[16:17]
	s_sub_nc_u64 s[8:9], s[12:13], s[8:9]
	s_or_b64 s[6:7], s[14:15], s[6:7]
	s_delay_alu instid0(SALU_CYCLE_1)
	s_cmp_eq_u64 s[6:7], 0
	s_mov_b32 s6, -1
	s_cbranch_scc1 .LBB81_21
; %bb.1:
	v_cmp_lt_i64_e64 s6, s[8:9], 1
	s_and_b32 vcc_lo, exec_lo, s6
	s_cbranch_vccnz .LBB81_20
; %bb.2:
	s_load_b32 s6, s[0:1], 0xc5c
	v_cmp_gt_i64_e64 s7, 0x10000, s[8:9]
	v_dual_mov_b32 v10, 0 :: v_dual_lshlrev_b32 v9, 1, v0
	v_cmp_gt_u64_e64 s12, 0x10000, s[8:9]
	s_mov_b32 s13, 0
	s_mov_b32 s25, 0x3e76c4e1
	v_add_co_u32 v1, s14, s2, v9
	s_and_b32 s7, s7, exec_lo
	v_add_co_ci_u32_e64 v2, null, s3, 0, s14
	s_cselect_b32 s15, s9, 0
	s_cselect_b32 s14, s8, 0x10000
	s_wait_kmcnt 0x0
	s_and_b32 s6, s6, 0xffff
	s_and_b32 s7, s12, exec_lo
	s_cselect_b32 s17, s9, 0
	s_cselect_b32 s16, s8, 0x10000
	s_lshl_b32 s22, s6, 1
	s_cmp_eq_f32 s26, 1.0
	v_add_co_u32 v3, s7, s4, v9
	s_delay_alu instid0(VALU_DEP_1)
	v_add_co_ci_u32_e64 v4, null, s5, 0, s7
	s_mul_i32 s23, s6, 3
	s_cselect_b32 s7, -1, 0
	s_lshl_b32 s12, s6, 2
	v_mad_co_u64_u32 v[7:8], null, s6, 6, v[9:10]
	v_add_co_u32 v14, s24, s12, v9
	v_add_co_u32 v9, s23, s23, v0
	s_wait_alu 0xf1ff
	v_add_co_ci_u32_e64 v10, null, 0, 0, s23
	v_add_co_u32 v13, s23, v0, s6
	v_add_co_u32 v5, vcc_lo, s2, v7
	v_add_co_ci_u32_e64 v15, null, 0, 0, s24
	s_delay_alu instid0(VALU_DEP_3)
	v_lshlrev_b32_e32 v21, 1, v13
	v_add_co_ci_u32_e64 v6, null, s3, v8, vcc_lo
	v_add_co_u32 v7, vcc_lo, s4, v7
	s_wait_alu 0xfffd
	v_add_co_ci_u32_e64 v8, null, s5, v8, vcc_lo
	v_add_co_u32 v11, vcc_lo, s2, v14
	v_add_co_u32 v19, s2, s2, v21
	s_wait_alu 0xfffd
	v_add_co_ci_u32_e64 v12, null, s3, v15, vcc_lo
	v_add_co_u32 v14, vcc_lo, s4, v14
	v_add_co_u32 v17, s22, s22, v0
	s_wait_alu 0xf1ff
	v_add_co_ci_u32_e64 v20, null, s3, 0, s2
	v_add_co_u32 v21, s2, s4, v21
	s_wait_alu 0xfffd
	v_add_co_ci_u32_e64 v15, null, s5, v15, vcc_lo
	v_add_co_ci_u32_e64 v16, null, 0, 0, s23
	v_add_co_ci_u32_e64 v18, null, 0, 0, s22
	s_wait_alu 0xf1ff
	v_add_co_ci_u32_e64 v22, null, s5, 0, s2
	s_lshl_b32 s24, s6, 3
	s_mov_b64 s[22:23], 0
	s_branch .LBB81_4
.LBB81_3:                               ;   in Loop: Header=BB81_4 Depth=1
	s_wait_alu 0xfffe
	s_or_b32 exec_lo, exec_lo, s5
	v_add_co_u32 v1, vcc_lo, v1, s24
	s_wait_alu 0xfffd
	v_add_co_ci_u32_e64 v2, null, 0, v2, vcc_lo
	v_add_co_u32 v3, vcc_lo, v3, s24
	s_wait_alu 0xfffd
	v_add_co_ci_u32_e64 v4, null, 0, v4, vcc_lo
	;; [unrolled: 3-line block ×5, first 2 shown]
	v_add_co_u32 v14, vcc_lo, v14, s24
	s_add_nc_u64 s[22:23], s[22:23], s[12:13]
	s_wait_alu 0xfffd
	v_add_co_ci_u32_e64 v15, null, 0, v15, vcc_lo
	v_add_co_u32 v19, vcc_lo, v19, s24
	s_wait_alu 0xfffe
	v_cmp_lt_i64_e64 s2, s[22:23], s[14:15]
	s_wait_alu 0xfffd
	v_add_co_ci_u32_e64 v20, null, 0, v20, vcc_lo
	v_add_co_u32 v21, vcc_lo, v21, s24
	s_wait_alu 0xfffd
	v_add_co_ci_u32_e64 v22, null, 0, v22, vcc_lo
	s_and_b32 vcc_lo, exec_lo, s2
	s_wait_alu 0xfffe
	s_cbranch_vccz .LBB81_20
.LBB81_4:                               ; =>This Inner Loop Header: Depth=1
	s_wait_alu 0xfffe
	v_add_co_u32 v23, s2, v0, s22
	s_wait_alu 0xf1ff
	v_add_co_ci_u32_e64 v24, null, 0, s23, s2
	v_mov_b32_e32 v26, 0
	s_delay_alu instid0(VALU_DEP_2)
	v_cmp_gt_u64_e64 s4, s[16:17], v[23:24]
	s_and_saveexec_b32 s2, s4
	s_cbranch_execz .LBB81_6
; %bb.5:                                ;   in Loop: Header=BB81_4 Depth=1
	v_add_co_u32 v23, vcc_lo, v1, s10
	s_wait_alu 0xfffd
	v_add_co_ci_u32_e64 v24, null, s11, v2, vcc_lo
	global_load_u16 v23, v[23:24], off
	s_wait_loadcnt 0x0
	v_cvt_f32_f16_e32 v26, v23
.LBB81_6:                               ;   in Loop: Header=BB81_4 Depth=1
	s_wait_alu 0xfffe
	s_or_b32 exec_lo, exec_lo, s2
	v_add_co_u32 v23, vcc_lo, v13, s22
	s_wait_alu 0xfffd
	v_add_co_ci_u32_e64 v24, null, s23, v16, vcc_lo
	v_mov_b32_e32 v25, 0
	s_delay_alu instid0(VALU_DEP_2)
	v_cmp_gt_u64_e64 s3, s[16:17], v[23:24]
	v_mov_b32_e32 v24, 0
	s_and_saveexec_b32 s2, s3
	s_cbranch_execz .LBB81_8
; %bb.7:                                ;   in Loop: Header=BB81_4 Depth=1
	v_add_co_u32 v27, vcc_lo, v19, s10
	s_wait_alu 0xfffd
	v_add_co_ci_u32_e64 v28, null, s11, v20, vcc_lo
	global_load_u16 v23, v[27:28], off
	s_wait_loadcnt 0x0
	v_cvt_f32_f16_e32 v25, v23
.LBB81_8:                               ;   in Loop: Header=BB81_4 Depth=1
	s_wait_alu 0xfffe
	s_or_b32 exec_lo, exec_lo, s2
	v_add_co_u32 v27, vcc_lo, v17, s22
	s_wait_alu 0xfffd
	v_add_co_ci_u32_e64 v28, null, s23, v18, vcc_lo
	s_delay_alu instid0(VALU_DEP_1)
	v_cmp_gt_u64_e64 s2, s[16:17], v[27:28]
	s_and_saveexec_b32 s5, s2
	s_cbranch_execz .LBB81_10
; %bb.9:                                ;   in Loop: Header=BB81_4 Depth=1
	v_add_co_u32 v23, vcc_lo, v11, s10
	s_wait_alu 0xfffd
	v_add_co_ci_u32_e64 v24, null, s11, v12, vcc_lo
	global_load_u16 v23, v[23:24], off
	s_wait_loadcnt 0x0
	v_cvt_f32_f16_e32 v24, v23
.LBB81_10:                              ;   in Loop: Header=BB81_4 Depth=1
	s_wait_alu 0xfffe
	s_or_b32 exec_lo, exec_lo, s5
	v_add_co_u32 v27, vcc_lo, v9, s22
	s_wait_alu 0xfffd
	v_add_co_ci_u32_e64 v28, null, s23, v10, vcc_lo
	v_mov_b32_e32 v23, 0
	s_delay_alu instid0(VALU_DEP_2)
	v_cmp_gt_u64_e32 vcc_lo, s[16:17], v[27:28]
	s_and_saveexec_b32 s6, vcc_lo
	s_cbranch_execnz .LBB81_15
; %bb.11:                               ;   in Loop: Header=BB81_4 Depth=1
	s_wait_alu 0xfffe
	s_or_b32 exec_lo, exec_lo, s6
	s_and_saveexec_b32 s27, s4
	s_cbranch_execnz .LBB81_16
.LBB81_12:                              ;   in Loop: Header=BB81_4 Depth=1
	s_wait_alu 0xfffe
	s_or_b32 exec_lo, exec_lo, s27
	s_and_saveexec_b32 s27, s3
	s_cbranch_execnz .LBB81_17
.LBB81_13:                              ;   in Loop: Header=BB81_4 Depth=1
	s_wait_alu 0xfffe
	s_or_b32 exec_lo, exec_lo, s27
	s_and_saveexec_b32 s6, s2
	s_cbranch_execnz .LBB81_18
.LBB81_14:                              ;   in Loop: Header=BB81_4 Depth=1
	s_wait_alu 0xfffe
	s_or_b32 exec_lo, exec_lo, s6
	s_and_saveexec_b32 s5, vcc_lo
	s_cbranch_execz .LBB81_3
	s_branch .LBB81_19
.LBB81_15:                              ;   in Loop: Header=BB81_4 Depth=1
	v_add_co_u32 v27, s5, v5, s10
	s_wait_alu 0xf1ff
	v_add_co_ci_u32_e64 v28, null, s11, v6, s5
	global_load_u16 v23, v[27:28], off
	s_wait_loadcnt 0x0
	v_cvt_f32_f16_e32 v23, v23
	s_wait_alu 0xfffe
	s_or_b32 exec_lo, exec_lo, s6
	s_and_saveexec_b32 s27, s4
	s_cbranch_execz .LBB81_12
.LBB81_16:                              ;   in Loop: Header=BB81_4 Depth=1
	v_cndmask_b32_e64 v28, v26, 1.0, s7
	s_delay_alu instid0(VALU_DEP_1) | instskip(SKIP_2) | instid1(VALU_DEP_2)
	v_cmp_neq_f32_e64 s4, 0, v28
	v_cmp_neq_f32_e64 s28, v28, |v28|
	s_wait_alu 0xf1ff
	v_cndmask_b32_e64 v29, 1.0, s26, s4
	s_delay_alu instid0(VALU_DEP_1)
	v_cvt_f64_f32_e64 v[26:27], |v29|
	v_cmp_lt_f32_e64 s29, |v29|, 1.0
	v_cmp_eq_f32_e64 s6, 0, v29
	s_xor_b32 s28, s28, s29
	v_frexp_exp_i32_f64_e32 v26, v[26:27]
	v_frexp_mant_f32_e64 v27, |v29|
	s_delay_alu instid0(VALU_DEP_1) | instskip(SKIP_1) | instid1(VALU_DEP_1)
	v_cmp_gt_f32_e64 s4, 0x3f2aaaab, v27
	s_wait_alu 0xf1ff
	v_cndmask_b32_e64 v30, 1.0, 2.0, s4
	s_delay_alu instid0(VALU_DEP_1) | instskip(NEXT) | instid1(VALU_DEP_1)
	v_mul_f32_e32 v27, v27, v30
	v_add_f32_e32 v30, 1.0, v27
	v_add_f32_e32 v32, -1.0, v27
	s_delay_alu instid0(VALU_DEP_2) | instskip(NEXT) | instid1(VALU_DEP_1)
	v_add_f32_e32 v34, -1.0, v30
	v_sub_f32_e32 v27, v27, v34
	v_rcp_f32_e32 v31, v30
	v_subrev_co_ci_u32_e64 v26, null, 0, v26, s4
	s_delay_alu instid0(TRANS32_DEP_1) | instskip(NEXT) | instid1(VALU_DEP_2)
	v_mul_f32_e32 v33, v32, v31
	v_cvt_f32_i32_e32 v26, v26
	s_delay_alu instid0(VALU_DEP_2) | instskip(NEXT) | instid1(VALU_DEP_1)
	v_mul_f32_e32 v35, v30, v33
	v_fma_f32 v30, v33, v30, -v35
	s_delay_alu instid0(VALU_DEP_1) | instskip(NEXT) | instid1(VALU_DEP_1)
	v_fmac_f32_e32 v30, v33, v27
	v_add_f32_e32 v27, v35, v30
	s_delay_alu instid0(VALU_DEP_1) | instskip(NEXT) | instid1(VALU_DEP_1)
	v_sub_f32_e32 v35, v27, v35
	v_sub_f32_e32 v30, v35, v30
	;; [unrolled: 1-line block ×3, first 2 shown]
	s_delay_alu instid0(VALU_DEP_1) | instskip(NEXT) | instid1(VALU_DEP_1)
	v_sub_f32_e32 v32, v32, v34
	v_sub_f32_e32 v27, v32, v27
	s_delay_alu instid0(VALU_DEP_1) | instskip(NEXT) | instid1(VALU_DEP_1)
	v_add_f32_e32 v27, v30, v27
	v_add_f32_e32 v27, v34, v27
	s_delay_alu instid0(VALU_DEP_1) | instskip(NEXT) | instid1(VALU_DEP_1)
	v_mul_f32_e32 v27, v31, v27
	v_add_f32_e32 v30, v33, v27
	s_delay_alu instid0(VALU_DEP_1) | instskip(NEXT) | instid1(VALU_DEP_1)
	v_sub_f32_e32 v31, v30, v33
	v_dual_mul_f32 v32, v30, v30 :: v_dual_sub_f32 v27, v27, v31
	s_delay_alu instid0(VALU_DEP_1) | instskip(NEXT) | instid1(VALU_DEP_2)
	v_fma_f32 v31, v30, v30, -v32
	v_add_f32_e32 v33, v27, v27
	s_delay_alu instid0(VALU_DEP_1) | instskip(NEXT) | instid1(VALU_DEP_1)
	v_fmac_f32_e32 v31, v30, v33
	v_add_f32_e32 v33, v32, v31
	s_delay_alu instid0(VALU_DEP_1) | instskip(SKIP_1) | instid1(VALU_DEP_1)
	v_fmaak_f32 v34, s25, v33, 0x3e91f4c4
	v_sub_f32_e32 v32, v33, v32
	v_dual_fmaak_f32 v34, v33, v34, 0x3ecccdef :: v_dual_sub_f32 v31, v31, v32
	s_delay_alu instid0(VALU_DEP_1) | instskip(NEXT) | instid1(VALU_DEP_1)
	v_mul_f32_e32 v35, v33, v34
	v_fma_f32 v32, v33, v34, -v35
	s_delay_alu instid0(VALU_DEP_1) | instskip(NEXT) | instid1(VALU_DEP_1)
	v_fmac_f32_e32 v32, v31, v34
	v_add_f32_e32 v34, v35, v32
	s_delay_alu instid0(VALU_DEP_1) | instskip(NEXT) | instid1(VALU_DEP_1)
	v_dual_sub_f32 v35, v34, v35 :: v_dual_add_f32 v36, 0x3f2aaaaa, v34
	v_dual_sub_f32 v32, v32, v35 :: v_dual_add_f32 v35, 0xbf2aaaaa, v36
	s_delay_alu instid0(VALU_DEP_1) | instskip(NEXT) | instid1(VALU_DEP_2)
	v_dual_add_f32 v32, 0x31739010, v32 :: v_dual_mul_f32 v37, v30, v33
	v_sub_f32_e32 v34, v34, v35
	s_delay_alu instid0(VALU_DEP_2) | instskip(NEXT) | instid1(VALU_DEP_2)
	v_fma_f32 v38, v33, v30, -v37
	v_add_f32_e32 v32, v32, v34
	s_delay_alu instid0(VALU_DEP_2) | instskip(SKIP_1) | instid1(VALU_DEP_2)
	v_fmac_f32_e32 v38, v33, v27
	v_ldexp_f32 v27, v27, 1
	v_dual_fmac_f32 v38, v31, v30 :: v_dual_add_f32 v31, v36, v32
	v_ldexp_f32 v30, v30, 1
	s_delay_alu instid0(VALU_DEP_2) | instskip(NEXT) | instid1(VALU_DEP_1)
	v_dual_add_f32 v33, v37, v38 :: v_dual_sub_f32 v34, v36, v31
	v_dual_mul_f32 v35, v33, v31 :: v_dual_add_f32 v32, v32, v34
	v_sub_f32_e32 v36, v33, v37
	s_delay_alu instid0(VALU_DEP_2) | instskip(NEXT) | instid1(VALU_DEP_2)
	v_fma_f32 v34, v33, v31, -v35
	v_sub_f32_e32 v36, v38, v36
	s_delay_alu instid0(VALU_DEP_2) | instskip(NEXT) | instid1(VALU_DEP_1)
	v_fmac_f32_e32 v34, v33, v32
	v_fmac_f32_e32 v34, v36, v31
	s_delay_alu instid0(VALU_DEP_1) | instskip(NEXT) | instid1(VALU_DEP_1)
	v_add_f32_e32 v31, v35, v34
	v_add_f32_e32 v33, v30, v31
	v_dual_sub_f32 v32, v31, v35 :: v_dual_mul_f32 v35, 0x3f317218, v26
	s_delay_alu instid0(VALU_DEP_2) | instskip(NEXT) | instid1(VALU_DEP_2)
	v_sub_f32_e32 v30, v33, v30
	v_sub_f32_e32 v32, v34, v32
	s_delay_alu instid0(VALU_DEP_3) | instskip(NEXT) | instid1(VALU_DEP_3)
	v_fma_f32 v34, 0x3f317218, v26, -v35
	v_sub_f32_e32 v30, v31, v30
	s_delay_alu instid0(VALU_DEP_2) | instskip(NEXT) | instid1(VALU_DEP_1)
	v_dual_add_f32 v27, v27, v32 :: v_dual_fmac_f32 v34, 0xb102e308, v26
	v_add_f32_e32 v26, v27, v30
	s_delay_alu instid0(VALU_DEP_2) | instskip(NEXT) | instid1(VALU_DEP_1)
	v_add_f32_e32 v27, v35, v34
	v_dual_add_f32 v30, v33, v26 :: v_dual_sub_f32 v35, v27, v35
	s_delay_alu instid0(VALU_DEP_1) | instskip(NEXT) | instid1(VALU_DEP_1)
	v_add_f32_e32 v31, v27, v30
	v_dual_sub_f32 v33, v30, v33 :: v_dual_sub_f32 v32, v31, v27
	s_delay_alu instid0(VALU_DEP_1) | instskip(SKIP_1) | instid1(VALU_DEP_2)
	v_sub_f32_e32 v36, v31, v32
	v_sub_f32_e32 v30, v30, v32
	v_dual_sub_f32 v27, v27, v36 :: v_dual_sub_f32 v34, v34, v35
	s_delay_alu instid0(VALU_DEP_1) | instskip(SKIP_1) | instid1(VALU_DEP_1)
	v_add_f32_e32 v27, v30, v27
	v_sub_f32_e32 v26, v26, v33
	v_add_f32_e32 v32, v34, v26
	s_delay_alu instid0(VALU_DEP_1) | instskip(NEXT) | instid1(VALU_DEP_1)
	v_add_f32_e32 v27, v32, v27
	v_dual_sub_f32 v30, v32, v34 :: v_dual_add_f32 v33, v31, v27
	s_delay_alu instid0(VALU_DEP_1) | instskip(NEXT) | instid1(VALU_DEP_1)
	v_dual_sub_f32 v32, v32, v30 :: v_dual_sub_f32 v31, v33, v31
	v_dual_sub_f32 v27, v27, v31 :: v_dual_sub_f32 v26, v26, v30
	s_delay_alu instid0(VALU_DEP_2) | instskip(NEXT) | instid1(VALU_DEP_1)
	v_sub_f32_e32 v30, v34, v32
	v_add_f32_e32 v26, v26, v30
	s_delay_alu instid0(VALU_DEP_1) | instskip(NEXT) | instid1(VALU_DEP_1)
	v_add_f32_e32 v26, v26, v27
	v_add_f32_e32 v27, v33, v26
	s_delay_alu instid0(VALU_DEP_1) | instskip(NEXT) | instid1(VALU_DEP_1)
	v_dual_sub_f32 v30, v27, v33 :: v_dual_mul_f32 v31, v28, v27
	v_sub_f32_e32 v26, v26, v30
	s_delay_alu instid0(VALU_DEP_2) | instskip(SKIP_1) | instid1(VALU_DEP_2)
	v_fma_f32 v27, v28, v27, -v31
	v_cmp_class_f32_e64 s4, v31, 0x204
	v_fmac_f32_e32 v27, v28, v26
	s_delay_alu instid0(VALU_DEP_1) | instskip(SKIP_1) | instid1(VALU_DEP_1)
	v_add_f32_e32 v26, v31, v27
	s_wait_alu 0xf1ff
	v_cndmask_b32_e64 v30, v26, v31, s4
	s_delay_alu instid0(VALU_DEP_1) | instskip(SKIP_1) | instid1(VALU_DEP_1)
	v_cmp_eq_f32_e64 s4, 0x42b17218, v30
	s_wait_alu 0xf1ff
	v_cndmask_b32_e64 v32, 0, 0x37000000, s4
	v_cmp_neq_f32_e64 s4, 0x7f800000, |v30|
	s_delay_alu instid0(VALU_DEP_2) | instskip(SKIP_1) | instid1(VALU_DEP_2)
	v_sub_f32_e32 v33, v30, v32
	v_sub_f32_e32 v26, v26, v31
	v_mul_f32_e32 v34, 0x3fb8aa3b, v33
	s_delay_alu instid0(VALU_DEP_2) | instskip(SKIP_2) | instid1(VALU_DEP_4)
	v_sub_f32_e32 v26, v27, v26
	v_trunc_f32_e32 v27, v28
	v_cmp_nlt_f32_e64 s5, 0x42b17218, v33
	v_fma_f32 v35, 0x3fb8aa3b, v33, -v34
	v_rndne_f32_e32 v36, v34
	s_wait_alu 0xf1ff
	v_cndmask_b32_e64 v26, 0, v26, s4
	v_cmp_ngt_f32_e64 s4, 0xc2ce8ed0, v33
	s_delay_alu instid0(VALU_DEP_3) | instskip(SKIP_1) | instid1(VALU_DEP_4)
	v_dual_fmac_f32 v35, 0x32a5705f, v33 :: v_dual_sub_f32 v34, v34, v36
	v_cvt_i32_f32_e32 v31, v36
	v_add_f32_e32 v26, v32, v26
	s_delay_alu instid0(VALU_DEP_3) | instskip(NEXT) | instid1(VALU_DEP_1)
	v_add_f32_e32 v34, v34, v35
	v_exp_f32_e32 v34, v34
	s_delay_alu instid0(TRANS32_DEP_1) | instskip(SKIP_2) | instid1(VALU_DEP_2)
	v_ldexp_f32 v31, v34, v31
	v_mul_f32_e32 v34, 0.5, v28
	s_wait_alu 0xf1ff
	v_cndmask_b32_e64 v30, 0, v31, s4
	s_delay_alu instid0(VALU_DEP_2) | instskip(SKIP_1) | instid1(VALU_DEP_3)
	v_trunc_f32_e32 v31, v34
	v_cmp_eq_f32_e64 s4, v27, v28
	v_cndmask_b32_e64 v27, 0x7f800000, v30, s5
	s_delay_alu instid0(VALU_DEP_3) | instskip(NEXT) | instid1(VALU_DEP_2)
	v_cmp_neq_f32_e64 s5, v31, v34
	v_fma_f32 v26, v27, v26, v27
	s_and_b32 s5, s4, s5
	s_wait_alu 0xfffe
	v_cndmask_b32_e64 v30, 0, v29, s5
	v_cndmask_b32_e64 v31, 1.0, v29, s5
	v_cmp_class_f32_e64 s5, v27, 0x204
	s_wait_alu 0xf1ff
	s_delay_alu instid0(VALU_DEP_1) | instskip(SKIP_2) | instid1(VALU_DEP_3)
	v_cndmask_b32_e64 v26, v26, v27, s5
	v_cmp_gt_f32_e64 s5, 0, v28
	v_cndmask_b32_e64 v27, 0x7f800000, 0, s28
	v_bfi_b32 v26, 0x7fffffff, v26, v31
	s_delay_alu instid0(VALU_DEP_1)
	v_cndmask_b32_e64 v31, 0x7fc00000, v26, s4
	s_xor_b32 s4, s5, s6
	v_cmp_class_f32_e64 s5, v29, 0x204
	s_wait_alu 0xfffe
	v_cndmask_b32_e64 v32, 0x7f800000, 0, s4
	v_cmp_neq_f32_e64 s4, |v29|, 1.0
	s_delay_alu instid0(VALU_DEP_2) | instskip(SKIP_1) | instid1(VALU_DEP_2)
	v_bfi_b32 v30, 0x7fffffff, v32, v30
	s_wait_alu 0xf1ff
	v_cndmask_b32_e64 v27, 1.0, v27, s4
	v_cmp_gt_f32_e64 s4, 0, v29
	s_wait_alu 0xf1ff
	s_delay_alu instid0(VALU_DEP_1) | instskip(SKIP_2) | instid1(VALU_DEP_1)
	v_cndmask_b32_e64 v26, v26, v31, s4
	v_cmp_class_f32_e64 s4, v28, 0x204
	s_wait_alu 0xf1ff
	v_cndmask_b32_e64 v26, v26, v27, s4
	s_or_b32 s4, s6, s5
	s_wait_alu 0xfffe
	s_delay_alu instid0(VALU_DEP_1) | instskip(SKIP_2) | instid1(VALU_DEP_1)
	v_cndmask_b32_e64 v26, v26, v30, s4
	v_cmp_o_f32_e64 s4, v29, v28
	s_wait_alu 0xf1ff
	v_cndmask_b32_e64 v28, 0x7fc00000, v26, s4
	v_add_co_u32 v26, s4, v3, s10
	s_wait_alu 0xf1ff
	v_add_co_ci_u32_e64 v27, null, s11, v4, s4
	s_delay_alu instid0(VALU_DEP_3)
	v_cvt_f16_f32_e32 v28, v28
	global_store_b16 v[26:27], v28, off
	s_or_b32 exec_lo, exec_lo, s27
	s_and_saveexec_b32 s27, s3
	s_cbranch_execz .LBB81_13
.LBB81_17:                              ;   in Loop: Header=BB81_4 Depth=1
	v_cndmask_b32_e64 v27, v25, 1.0, s7
	s_delay_alu instid0(VALU_DEP_1) | instskip(SKIP_2) | instid1(VALU_DEP_2)
	v_cmp_neq_f32_e64 s3, 0, v27
	v_cmp_neq_f32_e64 s28, v27, |v27|
	s_wait_alu 0xf1ff
	v_cndmask_b32_e64 v28, 1.0, s26, s3
	s_delay_alu instid0(VALU_DEP_1) | instskip(SKIP_2) | instid1(VALU_DEP_3)
	v_frexp_mant_f32_e64 v25, |v28|
	v_cmp_lt_f32_e64 s29, |v28|, 1.0
	v_cmp_eq_f32_e64 s6, 0, v28
	v_cmp_gt_f32_e64 s3, 0x3f2aaaab, v25
	s_xor_b32 s28, s28, s29
	v_cndmask_b32_e64 v26, 1.0, 2.0, s3
	s_delay_alu instid0(VALU_DEP_1) | instskip(NEXT) | instid1(VALU_DEP_1)
	v_mul_f32_e32 v25, v25, v26
	v_add_f32_e32 v26, 1.0, v25
	v_add_f32_e32 v30, -1.0, v25
	s_delay_alu instid0(VALU_DEP_2) | instskip(NEXT) | instid1(VALU_DEP_1)
	v_add_f32_e32 v32, -1.0, v26
	v_sub_f32_e32 v25, v25, v32
	v_rcp_f32_e32 v29, v26
	s_delay_alu instid0(TRANS32_DEP_1) | instskip(NEXT) | instid1(VALU_DEP_1)
	v_mul_f32_e32 v31, v30, v29
	v_mul_f32_e32 v33, v26, v31
	s_delay_alu instid0(VALU_DEP_1) | instskip(NEXT) | instid1(VALU_DEP_1)
	v_fma_f32 v26, v31, v26, -v33
	v_fmac_f32_e32 v26, v31, v25
	s_delay_alu instid0(VALU_DEP_1) | instskip(NEXT) | instid1(VALU_DEP_1)
	v_add_f32_e32 v25, v33, v26
	v_sub_f32_e32 v32, v30, v25
	s_delay_alu instid0(VALU_DEP_1) | instskip(NEXT) | instid1(VALU_DEP_1)
	v_dual_sub_f32 v33, v25, v33 :: v_dual_sub_f32 v30, v30, v32
	v_dual_sub_f32 v26, v33, v26 :: v_dual_sub_f32 v25, v30, v25
	s_delay_alu instid0(VALU_DEP_1) | instskip(NEXT) | instid1(VALU_DEP_1)
	v_add_f32_e32 v25, v26, v25
	v_add_f32_e32 v25, v32, v25
	s_delay_alu instid0(VALU_DEP_1) | instskip(NEXT) | instid1(VALU_DEP_1)
	v_mul_f32_e32 v25, v29, v25
	v_add_f32_e32 v29, v31, v25
	s_delay_alu instid0(VALU_DEP_1) | instskip(NEXT) | instid1(VALU_DEP_1)
	v_sub_f32_e32 v26, v29, v31
	v_sub_f32_e32 v31, v25, v26
	s_delay_alu instid0(VALU_DEP_1) | instskip(NEXT) | instid1(VALU_DEP_1)
	v_dual_mul_f32 v30, v29, v29 :: v_dual_add_f32 v25, v31, v31
	v_fma_f32 v32, v29, v29, -v30
	s_delay_alu instid0(VALU_DEP_1) | instskip(SKIP_1) | instid1(VALU_DEP_2)
	v_fmac_f32_e32 v32, v29, v25
	v_cvt_f64_f32_e64 v[25:26], |v28|
	v_add_f32_e32 v33, v30, v32
	s_delay_alu instid0(VALU_DEP_1) | instskip(SKIP_1) | instid1(VALU_DEP_2)
	v_fmaak_f32 v34, s25, v33, 0x3e91f4c4
	v_sub_f32_e32 v30, v33, v30
	v_fmaak_f32 v34, v33, v34, 0x3ecccdef
	s_delay_alu instid0(VALU_DEP_2) | instskip(NEXT) | instid1(VALU_DEP_2)
	v_sub_f32_e32 v30, v32, v30
	v_mul_f32_e32 v35, v33, v34
	s_delay_alu instid0(VALU_DEP_1) | instskip(NEXT) | instid1(VALU_DEP_1)
	v_fma_f32 v32, v33, v34, -v35
	v_dual_fmac_f32 v32, v30, v34 :: v_dual_mul_f32 v37, v29, v33
	s_delay_alu instid0(VALU_DEP_1) | instskip(SKIP_1) | instid1(VALU_DEP_2)
	v_add_f32_e32 v34, v35, v32
	v_frexp_exp_i32_f64_e32 v25, v[25:26]
	v_sub_f32_e32 v35, v34, v35
	s_delay_alu instid0(VALU_DEP_1) | instskip(SKIP_1) | instid1(VALU_DEP_1)
	v_sub_f32_e32 v26, v32, v35
	v_fma_f32 v35, v33, v29, -v37
	v_dual_add_f32 v36, 0x3f2aaaaa, v34 :: v_dual_fmac_f32 v35, v33, v31
	s_delay_alu instid0(VALU_DEP_1) | instskip(SKIP_1) | instid1(VALU_DEP_3)
	v_add_f32_e32 v32, 0xbf2aaaaa, v36
	v_ldexp_f32 v31, v31, 1
	v_dual_fmac_f32 v35, v30, v29 :: v_dual_add_f32 v26, 0x31739010, v26
	s_delay_alu instid0(VALU_DEP_3) | instskip(NEXT) | instid1(VALU_DEP_1)
	v_sub_f32_e32 v32, v34, v32
	v_add_f32_e32 v26, v26, v32
	s_delay_alu instid0(VALU_DEP_1) | instskip(NEXT) | instid1(VALU_DEP_1)
	v_add_f32_e32 v30, v36, v26
	v_sub_f32_e32 v33, v36, v30
	v_subrev_co_ci_u32_e64 v25, null, 0, v25, s3
	s_delay_alu instid0(VALU_DEP_2) | instskip(NEXT) | instid1(VALU_DEP_2)
	v_add_f32_e32 v26, v26, v33
	v_cvt_f32_i32_e32 v25, v25
	v_add_f32_e32 v32, v37, v35
	s_delay_alu instid0(VALU_DEP_1) | instskip(SKIP_1) | instid1(VALU_DEP_2)
	v_mul_f32_e32 v34, v32, v30
	v_sub_f32_e32 v36, v32, v37
	v_fma_f32 v33, v32, v30, -v34
	s_delay_alu instid0(VALU_DEP_2) | instskip(NEXT) | instid1(VALU_DEP_2)
	v_sub_f32_e32 v35, v35, v36
	v_fmac_f32_e32 v33, v32, v26
	v_ldexp_f32 v26, v29, 1
	s_delay_alu instid0(VALU_DEP_2) | instskip(NEXT) | instid1(VALU_DEP_1)
	v_fmac_f32_e32 v33, v35, v30
	v_add_f32_e32 v29, v34, v33
	s_delay_alu instid0(VALU_DEP_1) | instskip(SKIP_2) | instid1(VALU_DEP_3)
	v_add_f32_e32 v30, v26, v29
	v_sub_f32_e32 v32, v29, v34
	v_mul_f32_e32 v34, 0x3f317218, v25
	v_sub_f32_e32 v26, v30, v26
	s_delay_alu instid0(VALU_DEP_3) | instskip(NEXT) | instid1(VALU_DEP_3)
	v_sub_f32_e32 v32, v33, v32
	v_fma_f32 v33, 0x3f317218, v25, -v34
	s_delay_alu instid0(VALU_DEP_2) | instskip(NEXT) | instid1(VALU_DEP_2)
	v_dual_sub_f32 v26, v29, v26 :: v_dual_add_f32 v29, v31, v32
	v_fmac_f32_e32 v33, 0xb102e308, v25
	s_delay_alu instid0(VALU_DEP_2) | instskip(NEXT) | instid1(VALU_DEP_1)
	v_add_f32_e32 v25, v29, v26
	v_add_f32_e32 v29, v30, v25
	s_delay_alu instid0(VALU_DEP_1) | instskip(NEXT) | instid1(VALU_DEP_1)
	v_sub_f32_e32 v30, v29, v30
	v_dual_sub_f32 v25, v25, v30 :: v_dual_add_f32 v26, v34, v33
	s_delay_alu instid0(VALU_DEP_1) | instskip(NEXT) | instid1(VALU_DEP_1)
	v_sub_f32_e32 v34, v26, v34
	v_sub_f32_e32 v33, v33, v34
	v_add_f32_e32 v31, v26, v29
	s_delay_alu instid0(VALU_DEP_2) | instskip(NEXT) | instid1(VALU_DEP_2)
	v_add_f32_e32 v30, v33, v25
	v_sub_f32_e32 v32, v31, v26
	s_delay_alu instid0(VALU_DEP_1) | instskip(NEXT) | instid1(VALU_DEP_1)
	v_sub_f32_e32 v35, v31, v32
	v_dual_sub_f32 v29, v29, v32 :: v_dual_sub_f32 v26, v26, v35
	s_delay_alu instid0(VALU_DEP_1) | instskip(NEXT) | instid1(VALU_DEP_1)
	v_dual_add_f32 v26, v29, v26 :: v_dual_sub_f32 v29, v30, v33
	v_add_f32_e32 v26, v30, v26
	s_delay_alu instid0(VALU_DEP_2) | instskip(NEXT) | instid1(VALU_DEP_2)
	v_sub_f32_e32 v30, v30, v29
	v_dual_sub_f32 v25, v25, v29 :: v_dual_add_f32 v32, v31, v26
	s_delay_alu instid0(VALU_DEP_1) | instskip(NEXT) | instid1(VALU_DEP_1)
	v_dual_sub_f32 v29, v33, v30 :: v_dual_sub_f32 v30, v32, v31
	v_dual_add_f32 v25, v25, v29 :: v_dual_sub_f32 v26, v26, v30
	s_delay_alu instid0(VALU_DEP_1) | instskip(NEXT) | instid1(VALU_DEP_1)
	v_add_f32_e32 v25, v25, v26
	v_add_f32_e32 v26, v32, v25
	s_delay_alu instid0(VALU_DEP_1) | instskip(NEXT) | instid1(VALU_DEP_1)
	v_dual_sub_f32 v29, v26, v32 :: v_dual_mul_f32 v30, v27, v26
	v_sub_f32_e32 v25, v25, v29
	s_delay_alu instid0(VALU_DEP_2) | instskip(SKIP_1) | instid1(VALU_DEP_2)
	v_fma_f32 v26, v27, v26, -v30
	v_cmp_class_f32_e64 s3, v30, 0x204
	v_fmac_f32_e32 v26, v27, v25
	s_delay_alu instid0(VALU_DEP_1) | instskip(SKIP_1) | instid1(VALU_DEP_1)
	v_add_f32_e32 v25, v30, v26
	s_wait_alu 0xf1ff
	v_cndmask_b32_e64 v29, v25, v30, s3
	s_delay_alu instid0(VALU_DEP_1) | instskip(SKIP_1) | instid1(VALU_DEP_1)
	v_cmp_eq_f32_e64 s3, 0x42b17218, v29
	s_wait_alu 0xf1ff
	v_cndmask_b32_e64 v31, 0, 0x37000000, s3
	v_cmp_neq_f32_e64 s3, 0x7f800000, |v29|
	s_delay_alu instid0(VALU_DEP_2) | instskip(SKIP_2) | instid1(VALU_DEP_3)
	v_sub_f32_e32 v32, v29, v31
	v_sub_f32_e32 v25, v25, v30
	v_trunc_f32_e32 v29, v27
	v_mul_f32_e32 v33, 0x3fb8aa3b, v32
	s_delay_alu instid0(VALU_DEP_3) | instskip(NEXT) | instid1(VALU_DEP_2)
	v_sub_f32_e32 v25, v26, v25
	v_fma_f32 v34, 0x3fb8aa3b, v32, -v33
	v_rndne_f32_e32 v35, v33
	s_wait_alu 0xf1ff
	s_delay_alu instid0(VALU_DEP_3) | instskip(SKIP_1) | instid1(VALU_DEP_3)
	v_cndmask_b32_e64 v25, 0, v25, s3
	v_cmp_ngt_f32_e64 s3, 0xc2ce8ed0, v32
	v_dual_fmac_f32 v34, 0x32a5705f, v32 :: v_dual_sub_f32 v33, v33, v35
	v_cvt_i32_f32_e32 v30, v35
	s_delay_alu instid0(VALU_DEP_4) | instskip(NEXT) | instid1(VALU_DEP_3)
	v_add_f32_e32 v25, v31, v25
	v_add_f32_e32 v33, v33, v34
	s_delay_alu instid0(VALU_DEP_1) | instskip(NEXT) | instid1(TRANS32_DEP_1)
	v_exp_f32_e32 v33, v33
	v_ldexp_f32 v26, v33, v30
	v_mul_f32_e32 v30, 0.5, v27
	s_wait_alu 0xf1ff
	s_delay_alu instid0(VALU_DEP_2) | instskip(SKIP_1) | instid1(VALU_DEP_3)
	v_cndmask_b32_e64 v26, 0, v26, s3
	v_cmp_nlt_f32_e64 s3, 0x42b17218, v32
	v_trunc_f32_e32 v33, v30
	s_wait_alu 0xf1ff
	s_delay_alu instid0(VALU_DEP_2) | instskip(SKIP_1) | instid1(VALU_DEP_3)
	v_cndmask_b32_e64 v26, 0x7f800000, v26, s3
	v_cmp_eq_f32_e64 s3, v29, v27
	v_cmp_neq_f32_e64 s4, v33, v30
	s_delay_alu instid0(VALU_DEP_3)
	v_fma_f32 v25, v26, v25, v26
	v_cmp_class_f32_e64 s5, v26, 0x204
	s_and_b32 s4, s3, s4
	s_wait_alu 0xfffe
	v_cndmask_b32_e64 v29, 1.0, v28, s4
	v_cndmask_b32_e64 v31, 0, v28, s4
	v_cndmask_b32_e64 v25, v25, v26, s5
	v_cndmask_b32_e64 v26, 0x7f800000, 0, s28
	v_cmp_gt_f32_e64 s5, 0, v27
	v_cmp_class_f32_e64 s4, v28, 0x204
	s_delay_alu instid0(VALU_DEP_4) | instskip(SKIP_3) | instid1(VALU_DEP_2)
	v_bfi_b32 v25, 0x7fffffff, v25, v29
	s_xor_b32 s5, s5, s6
	s_wait_alu 0xfffe
	v_cndmask_b32_e64 v29, 0x7f800000, 0, s5
	v_cndmask_b32_e64 v30, 0x7fc00000, v25, s3
	v_cmp_neq_f32_e64 s3, |v28|, 1.0
	s_delay_alu instid0(VALU_DEP_3) | instskip(SKIP_1) | instid1(VALU_DEP_2)
	v_bfi_b32 v29, 0x7fffffff, v29, v31
	s_wait_alu 0xf1ff
	v_cndmask_b32_e64 v26, 1.0, v26, s3
	v_cmp_gt_f32_e64 s3, 0, v28
	s_wait_alu 0xf1ff
	s_delay_alu instid0(VALU_DEP_1) | instskip(SKIP_2) | instid1(VALU_DEP_1)
	v_cndmask_b32_e64 v25, v25, v30, s3
	v_cmp_class_f32_e64 s3, v27, 0x204
	s_wait_alu 0xf1ff
	v_cndmask_b32_e64 v25, v25, v26, s3
	s_or_b32 s3, s6, s4
	s_wait_alu 0xfffe
	s_delay_alu instid0(VALU_DEP_1) | instskip(SKIP_2) | instid1(VALU_DEP_1)
	v_cndmask_b32_e64 v25, v25, v29, s3
	v_cmp_o_f32_e64 s3, v28, v27
	s_wait_alu 0xf1ff
	v_cndmask_b32_e64 v25, 0x7fc00000, v25, s3
	s_delay_alu instid0(VALU_DEP_1)
	v_cvt_f16_f32_e32 v27, v25
	v_add_co_u32 v25, s3, v21, s10
	s_wait_alu 0xf1ff
	v_add_co_ci_u32_e64 v26, null, s11, v22, s3
	global_store_b16 v[25:26], v27, off
	s_or_b32 exec_lo, exec_lo, s27
	s_and_saveexec_b32 s6, s2
	s_cbranch_execz .LBB81_14
.LBB81_18:                              ;   in Loop: Header=BB81_4 Depth=1
	v_cndmask_b32_e64 v26, v24, 1.0, s7
	s_delay_alu instid0(VALU_DEP_1) | instskip(SKIP_2) | instid1(VALU_DEP_2)
	v_cmp_neq_f32_e64 s2, 0, v26
	v_cmp_neq_f32_e64 s27, v26, |v26|
	s_wait_alu 0xf1ff
	v_cndmask_b32_e64 v27, 1.0, s26, s2
	s_delay_alu instid0(VALU_DEP_1) | instskip(SKIP_2) | instid1(VALU_DEP_3)
	v_frexp_mant_f32_e64 v24, |v27|
	v_cmp_lt_f32_e64 s28, |v27|, 1.0
	v_cmp_eq_f32_e64 s5, 0, v27
	v_cmp_gt_f32_e64 s2, 0x3f2aaaab, v24
	s_xor_b32 s27, s27, s28
	v_cndmask_b32_e64 v25, 1.0, 2.0, s2
	s_delay_alu instid0(VALU_DEP_1) | instskip(NEXT) | instid1(VALU_DEP_1)
	v_mul_f32_e32 v24, v24, v25
	v_add_f32_e32 v25, 1.0, v24
	v_add_f32_e32 v29, -1.0, v24
	s_delay_alu instid0(VALU_DEP_2) | instskip(NEXT) | instid1(VALU_DEP_1)
	v_add_f32_e32 v31, -1.0, v25
	v_sub_f32_e32 v24, v24, v31
	v_rcp_f32_e32 v28, v25
	s_delay_alu instid0(TRANS32_DEP_1) | instskip(NEXT) | instid1(VALU_DEP_1)
	v_mul_f32_e32 v30, v29, v28
	v_mul_f32_e32 v32, v25, v30
	s_delay_alu instid0(VALU_DEP_1) | instskip(NEXT) | instid1(VALU_DEP_1)
	v_fma_f32 v25, v30, v25, -v32
	v_fmac_f32_e32 v25, v30, v24
	s_delay_alu instid0(VALU_DEP_1) | instskip(NEXT) | instid1(VALU_DEP_1)
	v_add_f32_e32 v24, v32, v25
	v_sub_f32_e32 v31, v29, v24
	s_delay_alu instid0(VALU_DEP_1) | instskip(NEXT) | instid1(VALU_DEP_1)
	v_dual_sub_f32 v32, v24, v32 :: v_dual_sub_f32 v29, v29, v31
	v_dual_sub_f32 v25, v32, v25 :: v_dual_sub_f32 v24, v29, v24
	s_delay_alu instid0(VALU_DEP_1) | instskip(NEXT) | instid1(VALU_DEP_1)
	v_add_f32_e32 v24, v25, v24
	v_add_f32_e32 v24, v31, v24
	s_delay_alu instid0(VALU_DEP_1) | instskip(NEXT) | instid1(VALU_DEP_1)
	v_mul_f32_e32 v24, v28, v24
	v_add_f32_e32 v28, v30, v24
	s_delay_alu instid0(VALU_DEP_1) | instskip(NEXT) | instid1(VALU_DEP_1)
	v_sub_f32_e32 v25, v28, v30
	v_sub_f32_e32 v30, v24, v25
	s_delay_alu instid0(VALU_DEP_1) | instskip(NEXT) | instid1(VALU_DEP_1)
	v_dual_mul_f32 v29, v28, v28 :: v_dual_add_f32 v24, v30, v30
	v_fma_f32 v31, v28, v28, -v29
	s_delay_alu instid0(VALU_DEP_1) | instskip(SKIP_1) | instid1(VALU_DEP_2)
	v_fmac_f32_e32 v31, v28, v24
	v_cvt_f64_f32_e64 v[24:25], |v27|
	v_add_f32_e32 v32, v29, v31
	s_delay_alu instid0(VALU_DEP_1) | instskip(SKIP_1) | instid1(VALU_DEP_2)
	v_fmaak_f32 v33, s25, v32, 0x3e91f4c4
	v_sub_f32_e32 v29, v32, v29
	v_fmaak_f32 v33, v32, v33, 0x3ecccdef
	s_delay_alu instid0(VALU_DEP_2) | instskip(NEXT) | instid1(VALU_DEP_2)
	v_sub_f32_e32 v29, v31, v29
	v_mul_f32_e32 v34, v32, v33
	s_delay_alu instid0(VALU_DEP_1) | instskip(NEXT) | instid1(VALU_DEP_1)
	v_fma_f32 v31, v32, v33, -v34
	v_dual_fmac_f32 v31, v29, v33 :: v_dual_mul_f32 v36, v28, v32
	s_delay_alu instid0(VALU_DEP_1) | instskip(SKIP_1) | instid1(VALU_DEP_2)
	v_add_f32_e32 v33, v34, v31
	v_frexp_exp_i32_f64_e32 v24, v[24:25]
	v_sub_f32_e32 v34, v33, v34
	s_delay_alu instid0(VALU_DEP_1) | instskip(SKIP_1) | instid1(VALU_DEP_1)
	v_sub_f32_e32 v25, v31, v34
	v_fma_f32 v34, v32, v28, -v36
	v_dual_add_f32 v35, 0x3f2aaaaa, v33 :: v_dual_fmac_f32 v34, v32, v30
	s_delay_alu instid0(VALU_DEP_1) | instskip(SKIP_1) | instid1(VALU_DEP_3)
	v_add_f32_e32 v31, 0xbf2aaaaa, v35
	v_ldexp_f32 v30, v30, 1
	v_dual_fmac_f32 v34, v29, v28 :: v_dual_add_f32 v25, 0x31739010, v25
	s_delay_alu instid0(VALU_DEP_3) | instskip(NEXT) | instid1(VALU_DEP_1)
	v_sub_f32_e32 v31, v33, v31
	v_add_f32_e32 v25, v25, v31
	s_delay_alu instid0(VALU_DEP_1) | instskip(NEXT) | instid1(VALU_DEP_1)
	v_add_f32_e32 v29, v35, v25
	v_sub_f32_e32 v32, v35, v29
	v_subrev_co_ci_u32_e64 v24, null, 0, v24, s2
	s_delay_alu instid0(VALU_DEP_2) | instskip(NEXT) | instid1(VALU_DEP_2)
	v_add_f32_e32 v25, v25, v32
	v_cvt_f32_i32_e32 v24, v24
	v_add_f32_e32 v31, v36, v34
	s_delay_alu instid0(VALU_DEP_1) | instskip(SKIP_1) | instid1(VALU_DEP_2)
	v_mul_f32_e32 v33, v31, v29
	v_sub_f32_e32 v35, v31, v36
	v_fma_f32 v32, v31, v29, -v33
	s_delay_alu instid0(VALU_DEP_2) | instskip(NEXT) | instid1(VALU_DEP_2)
	v_sub_f32_e32 v34, v34, v35
	v_fmac_f32_e32 v32, v31, v25
	v_ldexp_f32 v25, v28, 1
	s_delay_alu instid0(VALU_DEP_2) | instskip(NEXT) | instid1(VALU_DEP_1)
	v_fmac_f32_e32 v32, v34, v29
	v_add_f32_e32 v28, v33, v32
	s_delay_alu instid0(VALU_DEP_1) | instskip(SKIP_2) | instid1(VALU_DEP_3)
	v_add_f32_e32 v29, v25, v28
	v_sub_f32_e32 v31, v28, v33
	v_mul_f32_e32 v33, 0x3f317218, v24
	v_sub_f32_e32 v25, v29, v25
	s_delay_alu instid0(VALU_DEP_3) | instskip(NEXT) | instid1(VALU_DEP_3)
	v_sub_f32_e32 v31, v32, v31
	v_fma_f32 v32, 0x3f317218, v24, -v33
	s_delay_alu instid0(VALU_DEP_2) | instskip(NEXT) | instid1(VALU_DEP_2)
	v_dual_sub_f32 v25, v28, v25 :: v_dual_add_f32 v28, v30, v31
	v_fmac_f32_e32 v32, 0xb102e308, v24
	s_delay_alu instid0(VALU_DEP_2) | instskip(NEXT) | instid1(VALU_DEP_1)
	v_add_f32_e32 v24, v28, v25
	v_add_f32_e32 v28, v29, v24
	s_delay_alu instid0(VALU_DEP_1) | instskip(NEXT) | instid1(VALU_DEP_1)
	v_sub_f32_e32 v29, v28, v29
	v_dual_sub_f32 v24, v24, v29 :: v_dual_add_f32 v25, v33, v32
	s_delay_alu instid0(VALU_DEP_1) | instskip(NEXT) | instid1(VALU_DEP_1)
	v_sub_f32_e32 v33, v25, v33
	v_sub_f32_e32 v32, v32, v33
	v_add_f32_e32 v30, v25, v28
	s_delay_alu instid0(VALU_DEP_2) | instskip(NEXT) | instid1(VALU_DEP_2)
	v_add_f32_e32 v29, v32, v24
	v_sub_f32_e32 v31, v30, v25
	s_delay_alu instid0(VALU_DEP_1) | instskip(NEXT) | instid1(VALU_DEP_1)
	v_sub_f32_e32 v34, v30, v31
	v_dual_sub_f32 v28, v28, v31 :: v_dual_sub_f32 v25, v25, v34
	s_delay_alu instid0(VALU_DEP_1) | instskip(NEXT) | instid1(VALU_DEP_1)
	v_dual_add_f32 v25, v28, v25 :: v_dual_sub_f32 v28, v29, v32
	v_add_f32_e32 v25, v29, v25
	s_delay_alu instid0(VALU_DEP_2) | instskip(NEXT) | instid1(VALU_DEP_2)
	v_sub_f32_e32 v29, v29, v28
	v_dual_sub_f32 v24, v24, v28 :: v_dual_add_f32 v31, v30, v25
	s_delay_alu instid0(VALU_DEP_1) | instskip(NEXT) | instid1(VALU_DEP_1)
	v_dual_sub_f32 v28, v32, v29 :: v_dual_sub_f32 v29, v31, v30
	v_dual_add_f32 v24, v24, v28 :: v_dual_sub_f32 v25, v25, v29
	s_delay_alu instid0(VALU_DEP_1) | instskip(NEXT) | instid1(VALU_DEP_1)
	v_add_f32_e32 v24, v24, v25
	v_add_f32_e32 v25, v31, v24
	s_delay_alu instid0(VALU_DEP_1) | instskip(NEXT) | instid1(VALU_DEP_1)
	v_dual_sub_f32 v28, v25, v31 :: v_dual_mul_f32 v29, v26, v25
	v_sub_f32_e32 v24, v24, v28
	s_delay_alu instid0(VALU_DEP_2) | instskip(SKIP_1) | instid1(VALU_DEP_2)
	v_fma_f32 v25, v26, v25, -v29
	v_cmp_class_f32_e64 s2, v29, 0x204
	v_fmac_f32_e32 v25, v26, v24
	s_delay_alu instid0(VALU_DEP_1) | instskip(SKIP_1) | instid1(VALU_DEP_1)
	v_add_f32_e32 v24, v29, v25
	s_wait_alu 0xf1ff
	v_cndmask_b32_e64 v28, v24, v29, s2
	s_delay_alu instid0(VALU_DEP_1) | instskip(SKIP_1) | instid1(VALU_DEP_1)
	v_cmp_eq_f32_e64 s2, 0x42b17218, v28
	s_wait_alu 0xf1ff
	v_cndmask_b32_e64 v30, 0, 0x37000000, s2
	v_cmp_neq_f32_e64 s2, 0x7f800000, |v28|
	s_delay_alu instid0(VALU_DEP_2) | instskip(SKIP_2) | instid1(VALU_DEP_3)
	v_sub_f32_e32 v31, v28, v30
	v_sub_f32_e32 v24, v24, v29
	v_trunc_f32_e32 v28, v26
	v_mul_f32_e32 v32, 0x3fb8aa3b, v31
	s_delay_alu instid0(VALU_DEP_3) | instskip(NEXT) | instid1(VALU_DEP_2)
	v_sub_f32_e32 v24, v25, v24
	v_fma_f32 v33, 0x3fb8aa3b, v31, -v32
	v_rndne_f32_e32 v34, v32
	s_wait_alu 0xf1ff
	s_delay_alu instid0(VALU_DEP_3) | instskip(SKIP_1) | instid1(VALU_DEP_3)
	v_cndmask_b32_e64 v24, 0, v24, s2
	v_cmp_ngt_f32_e64 s2, 0xc2ce8ed0, v31
	v_dual_fmac_f32 v33, 0x32a5705f, v31 :: v_dual_sub_f32 v32, v32, v34
	v_cvt_i32_f32_e32 v29, v34
	s_delay_alu instid0(VALU_DEP_4) | instskip(NEXT) | instid1(VALU_DEP_3)
	v_add_f32_e32 v24, v30, v24
	v_add_f32_e32 v32, v32, v33
	s_delay_alu instid0(VALU_DEP_1) | instskip(NEXT) | instid1(TRANS32_DEP_1)
	v_exp_f32_e32 v32, v32
	v_ldexp_f32 v25, v32, v29
	v_mul_f32_e32 v29, 0.5, v26
	s_wait_alu 0xf1ff
	s_delay_alu instid0(VALU_DEP_2) | instskip(SKIP_1) | instid1(VALU_DEP_3)
	v_cndmask_b32_e64 v25, 0, v25, s2
	v_cmp_nlt_f32_e64 s2, 0x42b17218, v31
	v_trunc_f32_e32 v32, v29
	s_wait_alu 0xf1ff
	s_delay_alu instid0(VALU_DEP_2) | instskip(SKIP_1) | instid1(VALU_DEP_3)
	v_cndmask_b32_e64 v25, 0x7f800000, v25, s2
	v_cmp_eq_f32_e64 s2, v28, v26
	v_cmp_neq_f32_e64 s3, v32, v29
	s_delay_alu instid0(VALU_DEP_3)
	v_fma_f32 v24, v25, v24, v25
	v_cmp_class_f32_e64 s4, v25, 0x204
	s_and_b32 s3, s2, s3
	s_wait_alu 0xfffe
	v_cndmask_b32_e64 v28, 1.0, v27, s3
	v_cndmask_b32_e64 v30, 0, v27, s3
	v_cndmask_b32_e64 v24, v24, v25, s4
	;; [unrolled: 1-line block ×3, first 2 shown]
	v_cmp_gt_f32_e64 s4, 0, v26
	v_cmp_class_f32_e64 s3, v27, 0x204
	s_delay_alu instid0(VALU_DEP_4) | instskip(SKIP_3) | instid1(VALU_DEP_2)
	v_bfi_b32 v24, 0x7fffffff, v24, v28
	s_xor_b32 s4, s4, s5
	s_wait_alu 0xfffe
	v_cndmask_b32_e64 v28, 0x7f800000, 0, s4
	v_cndmask_b32_e64 v29, 0x7fc00000, v24, s2
	v_cmp_neq_f32_e64 s2, |v27|, 1.0
	s_delay_alu instid0(VALU_DEP_3) | instskip(SKIP_1) | instid1(VALU_DEP_2)
	v_bfi_b32 v28, 0x7fffffff, v28, v30
	s_wait_alu 0xf1ff
	v_cndmask_b32_e64 v25, 1.0, v25, s2
	v_cmp_gt_f32_e64 s2, 0, v27
	s_wait_alu 0xf1ff
	s_delay_alu instid0(VALU_DEP_1) | instskip(SKIP_2) | instid1(VALU_DEP_1)
	v_cndmask_b32_e64 v24, v24, v29, s2
	v_cmp_class_f32_e64 s2, v26, 0x204
	s_wait_alu 0xf1ff
	v_cndmask_b32_e64 v24, v24, v25, s2
	s_or_b32 s2, s5, s3
	s_wait_alu 0xfffe
	s_delay_alu instid0(VALU_DEP_1) | instskip(SKIP_2) | instid1(VALU_DEP_1)
	v_cndmask_b32_e64 v24, v24, v28, s2
	v_cmp_o_f32_e64 s2, v27, v26
	s_wait_alu 0xf1ff
	v_cndmask_b32_e64 v24, 0x7fc00000, v24, s2
	s_delay_alu instid0(VALU_DEP_1)
	v_cvt_f16_f32_e32 v26, v24
	v_add_co_u32 v24, s2, v14, s10
	s_wait_alu 0xf1ff
	v_add_co_ci_u32_e64 v25, null, s11, v15, s2
	global_store_b16 v[24:25], v26, off
	s_or_b32 exec_lo, exec_lo, s6
	s_and_saveexec_b32 s5, vcc_lo
	s_cbranch_execz .LBB81_3
.LBB81_19:                              ;   in Loop: Header=BB81_4 Depth=1
	v_cndmask_b32_e64 v25, v23, 1.0, s7
	s_delay_alu instid0(VALU_DEP_1) | instskip(SKIP_3) | instid1(VALU_DEP_1)
	v_cmp_neq_f32_e32 vcc_lo, 0, v25
	v_cmp_neq_f32_e64 s6, v25, |v25|
	s_wait_alu 0xfffd
	v_cndmask_b32_e64 v26, 1.0, s26, vcc_lo
	v_frexp_mant_f32_e64 v23, |v26|
	v_cmp_lt_f32_e64 s27, |v26|, 1.0
	v_cmp_eq_f32_e64 s4, 0, v26
	s_delay_alu instid0(VALU_DEP_3) | instskip(SKIP_3) | instid1(VALU_DEP_1)
	v_cmp_gt_f32_e32 vcc_lo, 0x3f2aaaab, v23
	s_xor_b32 s6, s6, s27
	s_wait_alu 0xfffd
	v_cndmask_b32_e64 v24, 1.0, 2.0, vcc_lo
	v_mul_f32_e32 v23, v23, v24
	s_delay_alu instid0(VALU_DEP_1) | instskip(SKIP_1) | instid1(VALU_DEP_2)
	v_add_f32_e32 v24, 1.0, v23
	v_add_f32_e32 v28, -1.0, v23
	v_add_f32_e32 v30, -1.0, v24
	s_delay_alu instid0(VALU_DEP_1) | instskip(SKIP_1) | instid1(TRANS32_DEP_1)
	v_sub_f32_e32 v23, v23, v30
	v_rcp_f32_e32 v27, v24
	v_mul_f32_e32 v29, v28, v27
	s_delay_alu instid0(VALU_DEP_1) | instskip(NEXT) | instid1(VALU_DEP_1)
	v_mul_f32_e32 v31, v24, v29
	v_fma_f32 v24, v29, v24, -v31
	s_delay_alu instid0(VALU_DEP_1) | instskip(NEXT) | instid1(VALU_DEP_1)
	v_fmac_f32_e32 v24, v29, v23
	v_add_f32_e32 v23, v31, v24
	s_delay_alu instid0(VALU_DEP_1) | instskip(NEXT) | instid1(VALU_DEP_1)
	v_sub_f32_e32 v30, v28, v23
	v_dual_sub_f32 v31, v23, v31 :: v_dual_sub_f32 v28, v28, v30
	s_delay_alu instid0(VALU_DEP_1) | instskip(NEXT) | instid1(VALU_DEP_1)
	v_dual_sub_f32 v24, v31, v24 :: v_dual_sub_f32 v23, v28, v23
	v_add_f32_e32 v23, v24, v23
	s_delay_alu instid0(VALU_DEP_1) | instskip(NEXT) | instid1(VALU_DEP_1)
	v_add_f32_e32 v23, v30, v23
	v_mul_f32_e32 v23, v27, v23
	s_delay_alu instid0(VALU_DEP_1) | instskip(NEXT) | instid1(VALU_DEP_1)
	v_add_f32_e32 v27, v29, v23
	v_sub_f32_e32 v24, v27, v29
	s_delay_alu instid0(VALU_DEP_1) | instskip(NEXT) | instid1(VALU_DEP_1)
	v_sub_f32_e32 v29, v23, v24
	v_dual_mul_f32 v28, v27, v27 :: v_dual_add_f32 v23, v29, v29
	s_delay_alu instid0(VALU_DEP_1) | instskip(NEXT) | instid1(VALU_DEP_1)
	v_fma_f32 v30, v27, v27, -v28
	v_fmac_f32_e32 v30, v27, v23
	v_cvt_f64_f32_e64 v[23:24], |v26|
	s_delay_alu instid0(VALU_DEP_2) | instskip(NEXT) | instid1(VALU_DEP_1)
	v_add_f32_e32 v31, v28, v30
	v_fmaak_f32 v32, s25, v31, 0x3e91f4c4
	v_sub_f32_e32 v28, v31, v28
	s_delay_alu instid0(VALU_DEP_2) | instskip(NEXT) | instid1(VALU_DEP_2)
	v_fmaak_f32 v32, v31, v32, 0x3ecccdef
	v_sub_f32_e32 v28, v30, v28
	s_delay_alu instid0(VALU_DEP_2) | instskip(NEXT) | instid1(VALU_DEP_1)
	v_mul_f32_e32 v33, v31, v32
	v_fma_f32 v30, v31, v32, -v33
	s_delay_alu instid0(VALU_DEP_1) | instskip(NEXT) | instid1(VALU_DEP_1)
	v_dual_fmac_f32 v30, v28, v32 :: v_dual_mul_f32 v35, v27, v31
	v_add_f32_e32 v32, v33, v30
	v_frexp_exp_i32_f64_e32 v23, v[23:24]
	s_delay_alu instid0(VALU_DEP_2) | instskip(NEXT) | instid1(VALU_DEP_1)
	v_sub_f32_e32 v33, v32, v33
	v_sub_f32_e32 v24, v30, v33
	v_fma_f32 v33, v31, v27, -v35
	s_delay_alu instid0(VALU_DEP_1) | instskip(NEXT) | instid1(VALU_DEP_1)
	v_dual_add_f32 v34, 0x3f2aaaaa, v32 :: v_dual_fmac_f32 v33, v31, v29
	v_add_f32_e32 v30, 0xbf2aaaaa, v34
	v_ldexp_f32 v29, v29, 1
	s_delay_alu instid0(VALU_DEP_3) | instskip(NEXT) | instid1(VALU_DEP_3)
	v_dual_fmac_f32 v33, v28, v27 :: v_dual_add_f32 v24, 0x31739010, v24
	v_sub_f32_e32 v30, v32, v30
	s_delay_alu instid0(VALU_DEP_1) | instskip(NEXT) | instid1(VALU_DEP_1)
	v_add_f32_e32 v24, v24, v30
	v_add_f32_e32 v28, v34, v24
	s_delay_alu instid0(VALU_DEP_1) | instskip(SKIP_1) | instid1(VALU_DEP_2)
	v_sub_f32_e32 v31, v34, v28
	v_subrev_co_ci_u32_e64 v23, null, 0, v23, vcc_lo
	v_add_f32_e32 v24, v24, v31
	s_delay_alu instid0(VALU_DEP_2) | instskip(SKIP_1) | instid1(VALU_DEP_1)
	v_cvt_f32_i32_e32 v23, v23
	v_add_f32_e32 v30, v35, v33
	v_mul_f32_e32 v32, v30, v28
	v_sub_f32_e32 v34, v30, v35
	s_delay_alu instid0(VALU_DEP_2) | instskip(NEXT) | instid1(VALU_DEP_2)
	v_fma_f32 v31, v30, v28, -v32
	v_sub_f32_e32 v33, v33, v34
	s_delay_alu instid0(VALU_DEP_2) | instskip(SKIP_1) | instid1(VALU_DEP_2)
	v_fmac_f32_e32 v31, v30, v24
	v_ldexp_f32 v24, v27, 1
	v_fmac_f32_e32 v31, v33, v28
	s_delay_alu instid0(VALU_DEP_1) | instskip(NEXT) | instid1(VALU_DEP_1)
	v_add_f32_e32 v27, v32, v31
	v_add_f32_e32 v28, v24, v27
	v_sub_f32_e32 v30, v27, v32
	v_mul_f32_e32 v32, 0x3f317218, v23
	s_delay_alu instid0(VALU_DEP_3) | instskip(NEXT) | instid1(VALU_DEP_3)
	v_sub_f32_e32 v24, v28, v24
	v_sub_f32_e32 v30, v31, v30
	s_delay_alu instid0(VALU_DEP_3) | instskip(NEXT) | instid1(VALU_DEP_2)
	v_fma_f32 v31, 0x3f317218, v23, -v32
	v_dual_sub_f32 v24, v27, v24 :: v_dual_add_f32 v27, v29, v30
	s_delay_alu instid0(VALU_DEP_2) | instskip(NEXT) | instid1(VALU_DEP_2)
	v_fmac_f32_e32 v31, 0xb102e308, v23
	v_add_f32_e32 v23, v27, v24
	s_delay_alu instid0(VALU_DEP_1) | instskip(NEXT) | instid1(VALU_DEP_1)
	v_add_f32_e32 v27, v28, v23
	v_sub_f32_e32 v28, v27, v28
	s_delay_alu instid0(VALU_DEP_1) | instskip(NEXT) | instid1(VALU_DEP_1)
	v_dual_sub_f32 v23, v23, v28 :: v_dual_add_f32 v24, v32, v31
	v_sub_f32_e32 v32, v24, v32
	s_delay_alu instid0(VALU_DEP_1) | instskip(SKIP_1) | instid1(VALU_DEP_2)
	v_sub_f32_e32 v31, v31, v32
	v_add_f32_e32 v29, v24, v27
	v_add_f32_e32 v28, v31, v23
	s_delay_alu instid0(VALU_DEP_2) | instskip(NEXT) | instid1(VALU_DEP_1)
	v_sub_f32_e32 v30, v29, v24
	v_sub_f32_e32 v33, v29, v30
	s_delay_alu instid0(VALU_DEP_1) | instskip(NEXT) | instid1(VALU_DEP_1)
	v_dual_sub_f32 v27, v27, v30 :: v_dual_sub_f32 v24, v24, v33
	v_dual_add_f32 v24, v27, v24 :: v_dual_sub_f32 v27, v28, v31
	s_delay_alu instid0(VALU_DEP_1) | instskip(NEXT) | instid1(VALU_DEP_2)
	v_add_f32_e32 v24, v28, v24
	v_sub_f32_e32 v28, v28, v27
	s_delay_alu instid0(VALU_DEP_2) | instskip(NEXT) | instid1(VALU_DEP_1)
	v_dual_sub_f32 v23, v23, v27 :: v_dual_add_f32 v30, v29, v24
	v_dual_sub_f32 v27, v31, v28 :: v_dual_sub_f32 v28, v30, v29
	s_delay_alu instid0(VALU_DEP_1) | instskip(NEXT) | instid1(VALU_DEP_1)
	v_dual_add_f32 v23, v23, v27 :: v_dual_sub_f32 v24, v24, v28
	v_add_f32_e32 v23, v23, v24
	s_delay_alu instid0(VALU_DEP_1) | instskip(NEXT) | instid1(VALU_DEP_1)
	v_add_f32_e32 v24, v30, v23
	v_dual_sub_f32 v27, v24, v30 :: v_dual_mul_f32 v28, v25, v24
	s_delay_alu instid0(VALU_DEP_1) | instskip(NEXT) | instid1(VALU_DEP_2)
	v_sub_f32_e32 v23, v23, v27
	v_fma_f32 v24, v25, v24, -v28
	v_cmp_class_f32_e64 vcc_lo, v28, 0x204
	s_delay_alu instid0(VALU_DEP_2) | instskip(NEXT) | instid1(VALU_DEP_1)
	v_fmac_f32_e32 v24, v25, v23
	v_add_f32_e32 v23, v28, v24
	s_wait_alu 0xfffd
	s_delay_alu instid0(VALU_DEP_1) | instskip(NEXT) | instid1(VALU_DEP_1)
	v_cndmask_b32_e32 v27, v23, v28, vcc_lo
	v_cmp_eq_f32_e32 vcc_lo, 0x42b17218, v27
	s_wait_alu 0xfffd
	v_cndmask_b32_e64 v29, 0, 0x37000000, vcc_lo
	v_cmp_neq_f32_e64 vcc_lo, 0x7f800000, |v27|
	s_delay_alu instid0(VALU_DEP_2) | instskip(SKIP_2) | instid1(VALU_DEP_3)
	v_sub_f32_e32 v30, v27, v29
	v_sub_f32_e32 v23, v23, v28
	v_trunc_f32_e32 v27, v25
	v_mul_f32_e32 v31, 0x3fb8aa3b, v30
	s_delay_alu instid0(VALU_DEP_3) | instskip(NEXT) | instid1(VALU_DEP_2)
	v_sub_f32_e32 v23, v24, v23
	v_fma_f32 v32, 0x3fb8aa3b, v30, -v31
	v_rndne_f32_e32 v33, v31
	s_wait_alu 0xfffd
	s_delay_alu instid0(VALU_DEP_3) | instskip(SKIP_1) | instid1(VALU_DEP_3)
	v_cndmask_b32_e32 v23, 0, v23, vcc_lo
	v_cmp_ngt_f32_e32 vcc_lo, 0xc2ce8ed0, v30
	v_dual_fmac_f32 v32, 0x32a5705f, v30 :: v_dual_sub_f32 v31, v31, v33
	v_cvt_i32_f32_e32 v28, v33
	s_delay_alu instid0(VALU_DEP_4) | instskip(NEXT) | instid1(VALU_DEP_3)
	v_add_f32_e32 v23, v29, v23
	v_add_f32_e32 v31, v31, v32
	s_delay_alu instid0(VALU_DEP_1) | instskip(NEXT) | instid1(TRANS32_DEP_1)
	v_exp_f32_e32 v31, v31
	v_ldexp_f32 v24, v31, v28
	v_mul_f32_e32 v28, 0.5, v25
	s_wait_alu 0xfffd
	s_delay_alu instid0(VALU_DEP_2) | instskip(SKIP_1) | instid1(VALU_DEP_3)
	v_cndmask_b32_e32 v24, 0, v24, vcc_lo
	v_cmp_nlt_f32_e32 vcc_lo, 0x42b17218, v30
	v_trunc_f32_e32 v31, v28
	s_wait_alu 0xfffd
	s_delay_alu instid0(VALU_DEP_3) | instskip(SKIP_1) | instid1(VALU_DEP_3)
	v_cndmask_b32_e32 v24, 0x7f800000, v24, vcc_lo
	v_cmp_eq_f32_e32 vcc_lo, v27, v25
	v_cmp_neq_f32_e64 s2, v31, v28
	s_delay_alu instid0(VALU_DEP_3)
	v_fma_f32 v23, v24, v23, v24
	v_cmp_class_f32_e64 s3, v24, 0x204
	s_and_b32 s2, vcc_lo, s2
	s_wait_alu 0xfffe
	v_cndmask_b32_e64 v27, 1.0, v26, s2
	v_cndmask_b32_e64 v29, 0, v26, s2
	v_cndmask_b32_e64 v23, v23, v24, s3
	v_cndmask_b32_e64 v24, 0x7f800000, 0, s6
	v_cmp_gt_f32_e64 s3, 0, v25
	v_cmp_class_f32_e64 s2, v26, 0x204
	s_delay_alu instid0(VALU_DEP_4) | instskip(SKIP_3) | instid1(VALU_DEP_2)
	v_bfi_b32 v23, 0x7fffffff, v23, v27
	s_xor_b32 s3, s3, s4
	s_wait_alu 0xfffe
	v_cndmask_b32_e64 v27, 0x7f800000, 0, s3
	v_cndmask_b32_e32 v28, 0x7fc00000, v23, vcc_lo
	v_cmp_neq_f32_e64 vcc_lo, |v26|, 1.0
	s_delay_alu instid0(VALU_DEP_3)
	v_bfi_b32 v27, 0x7fffffff, v27, v29
	s_wait_alu 0xfffd
	v_cndmask_b32_e32 v24, 1.0, v24, vcc_lo
	v_cmp_gt_f32_e32 vcc_lo, 0, v26
	s_wait_alu 0xfffd
	v_cndmask_b32_e32 v23, v23, v28, vcc_lo
	v_cmp_class_f32_e64 vcc_lo, v25, 0x204
	s_wait_alu 0xfffd
	s_delay_alu instid0(VALU_DEP_2) | instskip(SKIP_2) | instid1(VALU_DEP_1)
	v_cndmask_b32_e32 v23, v23, v24, vcc_lo
	s_or_b32 vcc_lo, s4, s2
	s_wait_alu 0xfffe
	v_cndmask_b32_e32 v23, v23, v27, vcc_lo
	v_cmp_o_f32_e32 vcc_lo, v26, v25
	s_wait_alu 0xfffd
	s_delay_alu instid0(VALU_DEP_2) | instskip(NEXT) | instid1(VALU_DEP_1)
	v_cndmask_b32_e32 v23, 0x7fc00000, v23, vcc_lo
	v_cvt_f16_f32_e32 v25, v23
	v_add_co_u32 v23, vcc_lo, v7, s10
	s_wait_alu 0xfffd
	v_add_co_ci_u32_e64 v24, null, s11, v8, vcc_lo
	global_store_b16 v[23:24], v25, off
	s_branch .LBB81_3
.LBB81_20:
	s_mov_b32 s6, 0
.LBB81_21:
	s_wait_alu 0xfffe
	s_and_not1_b32 vcc_lo, exec_lo, s6
	s_wait_alu 0xfffe
	s_cbranch_vccnz .LBB81_25
; %bb.22:
	v_cmp_gt_i64_e64 s2, 0x10000, s[8:9]
	v_dual_mov_b32 v2, 0 :: v_dual_lshlrev_b32 v1, 2, v0
	s_mov_b32 s25, 0
	s_and_b32 s2, s2, exec_lo
	s_cselect_b32 s23, s9, 0
	s_cselect_b32 s22, s8, 0x10000
	s_mov_b32 s2, exec_lo
	s_wait_alu 0xfffe
	v_cmpx_gt_i64_e64 s[22:23], v[1:2]
	s_cbranch_execz .LBB81_25
; %bb.23:
	s_load_b32 s0, s[0:1], 0xc5c
	s_cmp_eq_f32 s26, 1.0
	v_mov_b32_e32 v1, v2
	v_lshlrev_b32_e32 v5, 3, v0
	s_mov_b32 s29, 0x3e76c4e1
	s_cselect_b32 s27, -1, 0
	s_mov_b32 s30, s25
	s_wait_kmcnt 0x0
	s_and_b32 s28, s0, 0xffff
	s_wait_alu 0xfffe
	s_lshl_b32 s24, s28, 3
.LBB81_24:                              ; =>This Inner Loop Header: Depth=1
	v_add_co_u32 v2, s0, s18, v5
	s_wait_alu 0xf1ff
	v_add_co_ci_u32_e64 v3, null, s19, 0, s0
	v_add_co_u32 v0, vcc_lo, v0, s28
	s_wait_alu 0xfffd
	v_add_co_ci_u32_e64 v1, null, 0, v1, vcc_lo
	s_clause 0x2
	global_load_u16 v4, v[2:3], off offset:6
	global_load_b32 v6, v[2:3], off offset:2
	global_load_b64 v[2:3], v[2:3], off
	s_wait_loadcnt 0x0
	v_add_co_u32 v3, s31, s20, v5
	s_wait_alu 0xfffe
	s_add_nc_u64 s[18:19], s[18:19], s[24:25]
	v_cvt_f32_f16_e32 v4, v4
	v_cvt_f32_f16_e32 v7, v6
	;; [unrolled: 1-line block ×3, first 2 shown]
	v_lshrrev_b32_e32 v8, 16, v6
	s_delay_alu instid0(VALU_DEP_4) | instskip(NEXT) | instid1(VALU_DEP_3)
	v_cndmask_b32_e64 v4, v4, 1.0, s27
	v_cndmask_b32_e64 v6, v2, 1.0, s27
	;; [unrolled: 1-line block ×3, first 2 shown]
	s_delay_alu instid0(VALU_DEP_4) | instskip(NEXT) | instid1(VALU_DEP_4)
	v_cvt_f32_f16_e32 v8, v8
	v_trunc_f32_e32 v15, v4
	v_cmp_gt_f32_e64 s7, 0, v4
	v_cmp_neq_f32_e32 vcc_lo, 0, v6
	v_cmp_neq_f32_e64 s11, v6, |v6|
	v_cndmask_b32_e64 v8, v8, 1.0, s27
	v_mul_f32_e32 v12, 0.5, v6
	v_trunc_f32_e32 v13, v2
	s_wait_alu 0xfffd
	v_cndmask_b32_e64 v7, 1.0, s26, vcc_lo
	v_cmp_neq_f32_e32 vcc_lo, 0, v2
	v_mul_f32_e32 v21, 0.5, v8
	v_trunc_f32_e32 v18, v12
	v_trunc_f32_e32 v11, v6
	v_cmp_lt_f32_e64 s12, |v7|, 1.0
	s_wait_alu 0xfffd
	v_cndmask_b32_e64 v9, 1.0, s26, vcc_lo
	v_frexp_mant_f32_e64 v17, |v7|
	v_cmp_neq_f32_e64 s10, v18, v12
	v_cmp_neq_f32_e32 vcc_lo, 0, v4
	s_xor_b32 s11, s11, s12
	v_frexp_mant_f32_e64 v19, |v9|
	v_cmp_gt_f32_e64 s9, 0x3f2aaaab, v17
	v_cmp_gt_f32_e64 s5, 0, v6
	s_wait_alu 0xfffd
	v_cndmask_b32_e64 v10, 1.0, s26, vcc_lo
	v_cmp_eq_f32_e32 vcc_lo, 0, v7
	v_cmp_gt_f32_e64 s12, 0x3f2aaaab, v19
	s_wait_alu 0xf1ff
	v_cndmask_b32_e64 v23, 1.0, 2.0, s9
	v_cmp_neq_f32_e64 s2, 0, v8
	v_cmp_neq_f32_e64 s14, v2, |v2|
	v_cmp_lt_f32_e64 s15, |v9|, 1.0
	v_cndmask_b32_e64 v18, 1.0, 2.0, s12
	v_mul_f32_e32 v16, 0.5, v4
	v_cmp_gt_f32_e64 s6, 0, v2
	v_cmp_eq_f32_e64 s3, v13, v2
	v_cmp_eq_f32_e64 s0, 0, v9
	v_dual_mul_f32 v37, v19, v18 :: v_dual_mul_f32 v36, v17, v23
	v_cmp_eq_f32_e64 s1, v11, v6
	s_wait_alu 0xf1ff
	v_cndmask_b32_e64 v11, 1.0, s26, s2
	v_frexp_mant_f32_e64 v22, |v10|
	v_dual_add_f32 v43, -1.0, v37 :: v_dual_mul_f32 v14, 0.5, v2
	v_add_f32_e32 v41, -1.0, v36
	s_xor_b32 s5, s5, vcc_lo
	v_cmp_eq_f32_e64 s4, v15, v4
	s_wait_alu 0xfffe
	v_cndmask_b32_e64 v32, 0x7f800000, 0, s5
	v_trunc_f32_e32 v13, v14
	s_xor_b32 s5, s14, s15
	v_trunc_f32_e32 v15, v16
	v_trunc_f32_e32 v20, v8
	v_cndmask_b32_e64 v12, 0x7f800000, 0, s11
	v_cmp_neq_f32_e64 s13, v13, v14
	s_wait_alu 0xfffe
	v_cndmask_b32_e64 v13, 0x7f800000, 0, s5
	s_xor_b32 s5, s6, s0
	v_cmp_neq_f32_e64 s11, |v7|, 1.0
	v_frexp_mant_f32_e64 v34, |v11|
	v_cmp_gt_f32_e64 s15, 0x3f2aaaab, v22
	v_cmp_gt_f32_e64 s8, 0, v8
	v_cmp_eq_f32_e64 s2, 0, v10
	s_wait_alu 0xfffe
	v_cndmask_b32_e64 v33, 0x7f800000, 0, s5
	v_cmp_eq_f32_e64 s5, 0, v11
	v_cvt_f64_f32_e64 v[24:25], |v7|
	v_cvt_f64_f32_e64 v[26:27], |v9|
	;; [unrolled: 1-line block ×3, first 2 shown]
	v_cmp_neq_f32_e64 s17, v4, |v4|
	v_cmp_neq_f32_e64 s37, v8, |v8|
	v_cmp_lt_f32_e64 s38, |v10|, 1.0
	v_cmp_neq_f32_e64 s14, |v9|, 1.0
	v_trunc_f32_e32 v14, v21
	v_cmp_lt_f32_e64 s39, |v11|, 1.0
	v_cmp_neq_f32_e64 s16, v15, v16
	v_cmp_eq_f32_e64 s6, v20, v8
	s_wait_alu 0xf1ff
	v_cndmask_b32_e64 v20, 1.0, 2.0, s15
	v_cndmask_b32_e64 v12, 1.0, v12, s11
	v_cmp_gt_f32_e64 s11, 0x3f2aaaab, v34
	s_xor_b32 s7, s7, s2
	s_xor_b32 s8, s8, s5
	;; [unrolled: 1-line block ×3, first 2 shown]
	s_wait_alu 0xfffe
	v_cndmask_b32_e64 v35, 0x7f800000, 0, s7
	s_and_b32 s7, s1, s10
	s_and_b32 s10, s3, s13
	v_cndmask_b32_e64 v13, 1.0, v13, s14
	v_cmp_neq_f32_e64 s13, v14, v21
	s_xor_b32 s14, s37, s39
	v_cndmask_b32_e64 v21, 0x7f800000, 0, s8
	s_and_b32 s8, s4, s16
	v_cndmask_b32_e64 v15, 0x7f800000, 0, s17
	v_cmp_neq_f32_e64 s17, |v10|, 1.0
	v_cndmask_b32_e64 v17, 1.0, 2.0, s11
	s_wait_alu 0xfffe
	v_cndmask_b32_e64 v19, 0x7f800000, 0, s14
	v_cmp_neq_f32_e64 s14, |v11|, 1.0
	v_cndmask_b32_e64 v39, 0, v9, s10
	v_cndmask_b32_e64 v40, 0, v10, s8
	v_add_f32_e32 v42, 1.0, v36
	v_mul_f32_e32 v38, v22, v20
	v_cvt_f64_f32_e64 v[30:31], |v11|
	s_wait_alu 0xf1ff
	v_cndmask_b32_e64 v14, 1.0, v15, s17
	v_cndmask_b32_e64 v20, 0, v7, s7
	v_mul_f32_e32 v34, v34, v17
	v_add_f32_e32 v44, 1.0, v37
	v_cndmask_b32_e64 v15, 1.0, v19, s14
	v_bfi_b32 v19, 0x7fffffff, v33, v39
	v_bfi_b32 v17, 0x7fffffff, v35, v40
	v_add_f32_e32 v33, -1.0, v42
	v_add_f32_e32 v45, -1.0, v38
	v_rcp_f32_e32 v35, v42
	v_cndmask_b32_e64 v16, 1.0, v7, s7
	s_and_b32 s7, s6, s13
	v_bfi_b32 v20, 0x7fffffff, v32, v20
	s_wait_alu 0xfffe
	v_cndmask_b32_e64 v32, 0, v11, s7
	v_add_f32_e32 v47, -1.0, v34
	v_dual_add_f32 v39, -1.0, v44 :: v_dual_add_f32 v46, 1.0, v38
	v_rcp_f32_e32 v40, v44
	v_add_f32_e32 v48, 1.0, v34
	v_bfi_b32 v21, 0x7fffffff, v21, v32
	s_delay_alu instid0(VALU_DEP_3)
	v_dual_sub_f32 v32, v36, v33 :: v_dual_sub_f32 v33, v37, v39
	v_rcp_f32_e32 v50, v46
	v_mul_f32_e32 v39, v41, v35
	v_add_f32_e32 v37, -1.0, v48
	v_add_f32_e32 v49, -1.0, v46
	v_rcp_f32_e32 v36, v48
	v_frexp_exp_i32_f64_e32 v24, v[24:25]
	v_frexp_exp_i32_f64_e32 v25, v[26:27]
	v_sub_f32_e32 v34, v34, v37
	v_dual_sub_f32 v38, v38, v49 :: v_dual_mul_f32 v49, v43, v40
	s_delay_alu instid0(TRANS32_DEP_2) | instskip(SKIP_3) | instid1(TRANS32_DEP_1)
	v_mul_f32_e32 v51, v45, v50
	v_frexp_exp_i32_f64_e32 v26, v[28:29]
	v_cmp_class_f32_e64 s33, v7, 0x204
	v_cndmask_b32_e64 v22, 1.0, v10, s8
	v_dual_mul_f32 v52, v44, v49 :: v_dual_mul_f32 v53, v47, v36
	v_mul_f32_e32 v54, v46, v51
	v_frexp_exp_i32_f64_e32 v30, v[30:31]
	s_or_b32 vcc_lo, vcc_lo, s33
	s_delay_alu instid0(VALU_DEP_3)
	v_fma_f32 v28, v49, v44, -v52
	v_mul_f32_e32 v37, v42, v39
	v_cndmask_b32_e64 v23, 1.0, v11, s7
	v_cndmask_b32_e64 v18, 1.0, v9, s10
	v_cmp_class_f32_e64 s34, v9, 0x204
	v_fmac_f32_e32 v28, v49, v33
	v_fma_f32 v27, v39, v42, -v37
	v_fma_f32 v42, v51, v46, -v54
	v_mul_f32_e32 v29, v48, v53
	v_cmp_class_f32_e64 s35, v10, 0x204
	v_add_f32_e32 v33, v52, v28
	v_cmp_class_f32_e64 s36, v11, 0x204
	v_fmac_f32_e32 v42, v51, v38
	v_fmac_f32_e32 v27, v39, v32
	v_fma_f32 v31, v53, v48, -v29
	v_sub_f32_e32 v46, v43, v33
	v_sub_f32_e32 v44, v33, v52
	s_or_b32 s0, s0, s34
	s_or_b32 s2, s2, s35
	v_fmac_f32_e32 v31, v53, v34
	v_add_f32_e32 v34, v54, v42
	v_add_f32_e32 v32, v37, v27
	v_subrev_co_ci_u32_e64 v24, null, 0, v24, s9
	s_delay_alu instid0(VALU_DEP_2) | instskip(NEXT) | instid1(VALU_DEP_4)
	v_dual_sub_f32 v37, v32, v37 :: v_dual_sub_f32 v38, v41, v32
	v_sub_f32_e32 v52, v34, v54
	v_subrev_co_ci_u32_e64 v25, null, 0, v25, s12
	s_delay_alu instid0(VALU_DEP_3) | instskip(SKIP_4) | instid1(VALU_DEP_3)
	v_sub_f32_e32 v27, v37, v27
	v_sub_f32_e32 v37, v43, v46
	v_dual_sub_f32 v41, v41, v38 :: v_dual_sub_f32 v28, v44, v28
	v_sub_f32_e32 v42, v52, v42
	v_subrev_co_ci_u32_e64 v26, null, 0, v26, s15
	v_sub_f32_e32 v32, v41, v32
	v_add_f32_e32 v48, v29, v31
	v_sub_f32_e32 v33, v37, v33
	v_cvt_f32_i32_e32 v24, v24
	v_cvt_f32_i32_e32 v25, v25
	v_dual_add_f32 v27, v27, v32 :: v_dual_sub_f32 v54, v45, v34
	v_sub_f32_e32 v29, v48, v29
	v_sub_f32_e32 v43, v47, v48
	v_subrev_co_ci_u32_e64 v30, null, 0, v30, s11
	s_delay_alu instid0(VALU_DEP_4) | instskip(NEXT) | instid1(VALU_DEP_4)
	v_sub_f32_e32 v44, v45, v54
	v_sub_f32_e32 v29, v29, v31
	s_delay_alu instid0(VALU_DEP_4) | instskip(SKIP_1) | instid1(VALU_DEP_4)
	v_dual_sub_f32 v37, v47, v43 :: v_dual_add_f32 v28, v28, v33
	v_cvt_f32_i32_e32 v26, v26
	v_sub_f32_e32 v34, v44, v34
	v_cvt_f32_i32_e32 v30, v30
	s_delay_alu instid0(VALU_DEP_4) | instskip(SKIP_2) | instid1(VALU_DEP_3)
	v_sub_f32_e32 v31, v37, v48
	v_add_f32_e32 v28, v46, v28
	v_add_f32_e32 v27, v38, v27
	v_dual_add_f32 v32, v42, v34 :: v_dual_add_f32 v29, v29, v31
	s_delay_alu instid0(VALU_DEP_2) | instskip(NEXT) | instid1(VALU_DEP_1)
	v_dual_mul_f32 v28, v40, v28 :: v_dual_mul_f32 v27, v35, v27
	v_dual_add_f32 v31, v54, v32 :: v_dual_add_f32 v32, v39, v27
	s_delay_alu instid0(VALU_DEP_3) | instskip(NEXT) | instid1(VALU_DEP_2)
	v_add_f32_e32 v29, v43, v29
	v_dual_mul_f32 v31, v50, v31 :: v_dual_mul_f32 v50, 0x3f317218, v30
	s_delay_alu instid0(VALU_DEP_3) | instskip(NEXT) | instid1(VALU_DEP_3)
	v_sub_f32_e32 v38, v32, v39
	v_mul_f32_e32 v29, v36, v29
	v_dual_mul_f32 v36, 0x3f317218, v25 :: v_dual_add_f32 v33, v49, v28
	s_delay_alu instid0(VALU_DEP_4) | instskip(SKIP_2) | instid1(VALU_DEP_4)
	v_dual_add_f32 v34, v51, v31 :: v_dual_mul_f32 v35, 0x3f317218, v24
	v_mul_f32_e32 v39, v32, v32
	v_ldexp_f32 v40, v32, 1
	v_mul_f32_e32 v42, v33, v33
	s_delay_alu instid0(VALU_DEP_4) | instskip(SKIP_4) | instid1(VALU_DEP_4)
	v_mul_f32_e32 v46, v34, v34
	v_dual_mul_f32 v37, 0x3f317218, v26 :: v_dual_add_f32 v44, v53, v29
	v_fma_f32 v48, 0x3f317218, v24, -v35
	v_sub_f32_e32 v41, v33, v49
	v_fma_f32 v49, 0x3f317218, v25, -v36
	v_dual_sub_f32 v27, v27, v38 :: v_dual_sub_f32 v52, v44, v53
	s_delay_alu instid0(VALU_DEP_4) | instskip(NEXT) | instid1(VALU_DEP_4)
	v_dual_fmac_f32 v48, 0xb102e308, v24 :: v_dual_sub_f32 v45, v34, v51
	v_sub_f32_e32 v28, v28, v41
	v_fma_f32 v51, 0x3f317218, v26, -v37
	v_fmac_f32_e32 v49, 0xb102e308, v25
	v_fma_f32 v24, 0x3f317218, v30, -v50
	v_mul_f32_e32 v53, v44, v44
	v_add_f32_e32 v59, v35, v48
	s_delay_alu instid0(VALU_DEP_4) | instskip(SKIP_3) | instid1(VALU_DEP_4)
	v_dual_fmac_f32 v51, 0xb102e308, v26 :: v_dual_add_f32 v60, v36, v49
	v_sub_f32_e32 v31, v31, v45
	v_fma_f32 v45, v34, v34, -v46
	v_fmac_f32_e32 v24, 0xb102e308, v30
	v_add_f32_e32 v30, v37, v51
	v_fma_f32 v41, v33, v33, -v42
	v_add_f32_e32 v57, v31, v31
	v_dual_sub_f32 v35, v59, v35 :: v_dual_sub_f32 v36, v60, v36
	v_fma_f32 v38, v32, v32, -v39
	v_ldexp_f32 v56, v28, 1
	s_delay_alu instid0(VALU_DEP_4) | instskip(SKIP_4) | instid1(VALU_DEP_4)
	v_fmac_f32_e32 v45, v34, v57
	v_add_f32_e32 v57, v50, v24
	v_add_f32_e32 v55, v28, v28
	v_dual_sub_f32 v35, v48, v35 :: v_dual_sub_f32 v36, v49, v36
	v_ldexp_f32 v26, v27, 1
	v_sub_f32_e32 v48, v57, v50
	s_delay_alu instid0(VALU_DEP_4)
	v_fmac_f32_e32 v41, v33, v55
	v_add_f32_e32 v25, v27, v27
	v_ldexp_f32 v43, v33, 1
	v_ldexp_f32 v58, v31, 1
	v_sub_f32_e32 v24, v24, v48
	v_dual_add_f32 v62, v42, v41 :: v_dual_sub_f32 v29, v29, v52
	v_fmac_f32_e32 v38, v32, v25
	v_fma_f32 v52, v44, v44, -v53
	v_ldexp_f32 v47, v34, 1
	s_delay_alu instid0(VALU_DEP_4) | instskip(SKIP_2) | instid1(VALU_DEP_3)
	v_dual_sub_f32 v42, v62, v42 :: v_dual_add_f32 v25, v29, v29
	v_ldexp_f32 v55, v29, 1
	v_ldexp_f32 v54, v44, 1
	v_dual_sub_f32 v41, v41, v42 :: v_dual_fmac_f32 v52, v44, v25
	v_add_f32_e32 v25, v46, v45
	s_delay_alu instid0(VALU_DEP_2) | instskip(NEXT) | instid1(VALU_DEP_2)
	v_dual_add_f32 v61, v39, v38 :: v_dual_add_f32 v64, v53, v52
	v_sub_f32_e32 v46, v25, v46
	v_mul_f32_e32 v66, v34, v25
	s_delay_alu instid0(VALU_DEP_3) | instskip(SKIP_1) | instid1(VALU_DEP_4)
	v_dual_mul_f32 v50, v32, v61 :: v_dual_mul_f32 v63, v33, v62
	v_sub_f32_e32 v39, v61, v39
	v_sub_f32_e32 v45, v45, v46
	s_delay_alu instid0(VALU_DEP_4) | instskip(SKIP_2) | instid1(VALU_DEP_3)
	v_fma_f32 v46, v25, v34, -v66
	v_sub_f32_e32 v37, v30, v37
	v_fma_f32 v42, v62, v33, -v63
	v_dual_fmaak_f32 v49, s29, v61, 0x3e91f4c4 :: v_dual_fmac_f32 v46, v25, v31
	s_delay_alu instid0(VALU_DEP_2) | instskip(NEXT) | instid1(VALU_DEP_2)
	v_dual_sub_f32 v37, v51, v37 :: v_dual_fmac_f32 v42, v62, v28
	v_fmaak_f32 v48, v61, v49, 0x3ecccdef
	s_delay_alu instid0(VALU_DEP_3) | instskip(NEXT) | instid1(VALU_DEP_3)
	v_dual_fmac_f32 v46, v45, v34 :: v_dual_sub_f32 v53, v64, v53
	v_dual_fmaak_f32 v51, s29, v62, 0x3e91f4c4 :: v_dual_fmac_f32 v42, v41, v33
	s_delay_alu instid0(VALU_DEP_1) | instskip(NEXT) | instid1(VALU_DEP_1)
	v_dual_sub_f32 v52, v52, v53 :: v_dual_fmaak_f32 v49, v62, v51, 0x3ecccdef
	v_mul_f32_e32 v28, v62, v49
	v_sub_f32_e32 v38, v38, v39
	v_fma_f32 v39, v61, v32, -v50
	s_delay_alu instid0(VALU_DEP_3) | instskip(NEXT) | instid1(VALU_DEP_2)
	v_fma_f32 v33, v62, v49, -v28
	v_fmac_f32_e32 v39, v61, v27
	v_mul_f32_e32 v27, v61, v48
	s_delay_alu instid0(VALU_DEP_2) | instskip(NEXT) | instid1(VALU_DEP_2)
	v_fmac_f32_e32 v39, v38, v32
	v_fma_f32 v32, v61, v48, -v27
	s_delay_alu instid0(VALU_DEP_2) | instskip(NEXT) | instid1(VALU_DEP_1)
	v_dual_fmaak_f32 v65, s29, v25, 0x3e91f4c4 :: v_dual_add_f32 v34, v50, v39
	v_dual_fmac_f32 v32, v38, v48 :: v_dual_fmaak_f32 v65, v25, v65, 0x3ecccdef
	v_dual_fmaak_f32 v51, s29, v64, 0x3e91f4c4 :: v_dual_add_f32 v38, v63, v42
	s_delay_alu instid0(VALU_DEP_2) | instskip(SKIP_1) | instid1(VALU_DEP_2)
	v_dual_add_f32 v48, v27, v32 :: v_dual_mul_f32 v31, v25, v65
	v_fmac_f32_e32 v33, v41, v49
	v_fma_f32 v25, v25, v65, -v31
	s_delay_alu instid0(VALU_DEP_1) | instskip(SKIP_1) | instid1(VALU_DEP_4)
	v_fmac_f32_e32 v25, v45, v65
	v_mul_f32_e32 v67, v44, v64
	v_dual_sub_f32 v45, v34, v50 :: v_dual_add_f32 v50, v28, v33
	s_delay_alu instid0(VALU_DEP_2) | instskip(NEXT) | instid1(VALU_DEP_2)
	v_fma_f32 v53, v64, v44, -v67
	v_dual_sub_f32 v28, v50, v28 :: v_dual_fmaak_f32 v51, v64, v51, 0x3ecccdef
	s_delay_alu instid0(VALU_DEP_1) | instskip(NEXT) | instid1(VALU_DEP_1)
	v_dual_sub_f32 v28, v33, v28 :: v_dual_fmac_f32 v53, v64, v29
	v_dual_mul_f32 v29, v64, v51 :: v_dual_add_f32 v28, 0x31739010, v28
	s_delay_alu instid0(VALU_DEP_2) | instskip(NEXT) | instid1(VALU_DEP_2)
	v_fmac_f32_e32 v53, v52, v44
	v_fma_f32 v41, v64, v51, -v29
	s_delay_alu instid0(VALU_DEP_1) | instskip(NEXT) | instid1(VALU_DEP_1)
	v_dual_add_f32 v44, v66, v46 :: v_dual_fmac_f32 v41, v52, v51
	v_dual_sub_f32 v51, v44, v66 :: v_dual_add_f32 v52, v31, v25
	s_delay_alu instid0(VALU_DEP_1) | instskip(SKIP_1) | instid1(VALU_DEP_1)
	v_dual_sub_f32 v46, v46, v51 :: v_dual_add_f32 v51, 0x3f2aaaaa, v52
	v_sub_f32_e32 v49, v38, v63
	v_dual_sub_f32 v27, v48, v27 :: v_dual_sub_f32 v42, v42, v49
	v_add_f32_e32 v49, 0x3f2aaaaa, v50
	s_delay_alu instid0(VALU_DEP_2) | instskip(NEXT) | instid1(VALU_DEP_2)
	v_sub_f32_e32 v27, v32, v27
	v_add_f32_e32 v33, 0xbf2aaaaa, v49
	s_delay_alu instid0(VALU_DEP_2) | instskip(NEXT) | instid1(VALU_DEP_2)
	v_add_f32_e32 v27, 0x31739010, v27
	v_sub_f32_e32 v33, v50, v33
	s_delay_alu instid0(VALU_DEP_1) | instskip(SKIP_1) | instid1(VALU_DEP_2)
	v_add_f32_e32 v28, v28, v33
	v_add_f32_e32 v61, v67, v53
	v_add_f32_e32 v33, v49, v28
	s_delay_alu instid0(VALU_DEP_2) | instskip(SKIP_1) | instid1(VALU_DEP_1)
	v_dual_sub_f32 v62, v61, v67 :: v_dual_sub_f32 v39, v39, v45
	v_add_f32_e32 v45, 0x3f2aaaaa, v48
	v_dual_sub_f32 v53, v53, v62 :: v_dual_add_f32 v32, 0xbf2aaaaa, v45
	s_delay_alu instid0(VALU_DEP_1) | instskip(SKIP_3) | instid1(VALU_DEP_4)
	v_sub_f32_e32 v32, v48, v32
	v_sub_f32_e32 v48, v49, v33
	v_add_f32_e32 v63, v29, v41
	v_mul_f32_e32 v49, v38, v33
	v_add_f32_e32 v27, v27, v32
	s_delay_alu instid0(VALU_DEP_4) | instskip(NEXT) | instid1(VALU_DEP_4)
	v_add_f32_e32 v28, v28, v48
	v_dual_add_f32 v62, 0x3f2aaaaa, v63 :: v_dual_sub_f32 v29, v63, v29
	s_delay_alu instid0(VALU_DEP_4) | instskip(NEXT) | instid1(VALU_DEP_2)
	v_fma_f32 v48, v38, v33, -v49
	v_sub_f32_e32 v29, v41, v29
	s_delay_alu instid0(VALU_DEP_2) | instskip(NEXT) | instid1(VALU_DEP_2)
	v_dual_add_f32 v41, 0xbf2aaaaa, v62 :: v_dual_fmac_f32 v48, v38, v28
	v_add_f32_e32 v29, 0x31739010, v29
	s_delay_alu instid0(VALU_DEP_2) | instskip(NEXT) | instid1(VALU_DEP_1)
	v_sub_f32_e32 v32, v63, v41
	v_dual_fmac_f32 v48, v42, v33 :: v_dual_add_f32 v29, v29, v32
	s_delay_alu instid0(VALU_DEP_1) | instskip(NEXT) | instid1(VALU_DEP_1)
	v_add_f32_e32 v50, v62, v29
	v_mul_f32_e32 v63, v61, v50
	v_dual_sub_f32 v31, v52, v31 :: v_dual_sub_f32 v62, v62, v50
	s_delay_alu instid0(VALU_DEP_2) | instskip(NEXT) | instid1(VALU_DEP_2)
	v_fma_f32 v28, v61, v50, -v63
	v_sub_f32_e32 v25, v25, v31
	v_add_f32_e32 v31, 0xbf2aaaaa, v51
	s_delay_alu instid0(VALU_DEP_2) | instskip(NEXT) | instid1(VALU_DEP_2)
	v_add_f32_e32 v25, 0x31739010, v25
	v_sub_f32_e32 v31, v52, v31
	s_delay_alu instid0(VALU_DEP_1) | instskip(SKIP_1) | instid1(VALU_DEP_1)
	v_add_f32_e32 v25, v25, v31
	v_add_f32_e32 v31, v45, v27
	v_sub_f32_e32 v41, v45, v31
	v_mul_f32_e32 v45, v34, v31
	s_delay_alu instid0(VALU_DEP_2) | instskip(NEXT) | instid1(VALU_DEP_2)
	v_add_f32_e32 v27, v27, v41
	v_fma_f32 v41, v34, v31, -v45
	s_delay_alu instid0(VALU_DEP_1) | instskip(SKIP_1) | instid1(VALU_DEP_2)
	v_fmac_f32_e32 v41, v34, v27
	v_add_f32_e32 v27, v29, v62
	v_fmac_f32_e32 v41, v39, v31
	s_delay_alu instid0(VALU_DEP_2) | instskip(SKIP_1) | instid1(VALU_DEP_2)
	v_fmac_f32_e32 v28, v61, v27
	v_add_f32_e32 v27, v49, v48
	v_fmac_f32_e32 v28, v53, v50
	v_add_f32_e32 v32, v51, v25
	s_delay_alu instid0(VALU_DEP_3) | instskip(SKIP_1) | instid1(VALU_DEP_4)
	v_sub_f32_e32 v33, v27, v49
	v_add_f32_e32 v34, v43, v27
	v_add_f32_e32 v38, v63, v28
	s_delay_alu instid0(VALU_DEP_4) | instskip(SKIP_2) | instid1(VALU_DEP_3)
	v_sub_f32_e32 v51, v51, v32
	v_mul_f32_e32 v52, v44, v32
	v_sub_f32_e32 v33, v48, v33
	v_add_f32_e32 v25, v25, v51
	s_delay_alu instid0(VALU_DEP_3) | instskip(NEXT) | instid1(VALU_DEP_1)
	v_fma_f32 v51, v44, v32, -v52
	v_fmac_f32_e32 v51, v44, v25
	v_dual_add_f32 v25, v45, v41 :: v_dual_add_f32 v44, v54, v38
	s_delay_alu instid0(VALU_DEP_2) | instskip(NEXT) | instid1(VALU_DEP_2)
	v_fmac_f32_e32 v51, v46, v32
	v_sub_f32_e32 v31, v25, v45
	s_delay_alu instid0(VALU_DEP_1) | instskip(NEXT) | instid1(VALU_DEP_1)
	v_dual_add_f32 v32, v40, v25 :: v_dual_sub_f32 v31, v41, v31
	v_dual_sub_f32 v40, v32, v40 :: v_dual_sub_f32 v41, v34, v43
	v_sub_f32_e32 v43, v38, v63
	s_delay_alu instid0(VALU_DEP_2) | instskip(NEXT) | instid1(VALU_DEP_3)
	v_dual_add_f32 v26, v26, v31 :: v_dual_sub_f32 v25, v25, v40
	v_sub_f32_e32 v27, v27, v41
	v_add_f32_e32 v31, v56, v33
	s_delay_alu instid0(VALU_DEP_4) | instskip(SKIP_1) | instid1(VALU_DEP_3)
	v_sub_f32_e32 v28, v28, v43
	v_sub_f32_e32 v33, v44, v54
	v_dual_add_f32 v25, v26, v25 :: v_dual_add_f32 v26, v31, v27
	s_delay_alu instid0(VALU_DEP_2) | instskip(NEXT) | instid1(VALU_DEP_2)
	v_dual_add_f32 v28, v55, v28 :: v_dual_sub_f32 v27, v38, v33
	v_add_f32_e32 v31, v32, v25
	s_delay_alu instid0(VALU_DEP_3) | instskip(NEXT) | instid1(VALU_DEP_3)
	v_add_f32_e32 v33, v34, v26
	v_add_f32_e32 v27, v28, v27
	s_delay_alu instid0(VALU_DEP_3) | instskip(SKIP_1) | instid1(VALU_DEP_4)
	v_add_f32_e32 v38, v59, v31
	v_sub_f32_e32 v32, v31, v32
	v_sub_f32_e32 v34, v33, v34
	s_delay_alu instid0(VALU_DEP_2) | instskip(NEXT) | instid1(VALU_DEP_4)
	v_dual_add_f32 v40, v44, v27 :: v_dual_sub_f32 v25, v25, v32
	v_sub_f32_e32 v32, v38, v59
	s_delay_alu instid0(VALU_DEP_2) | instskip(SKIP_1) | instid1(VALU_DEP_3)
	v_dual_sub_f32 v26, v26, v34 :: v_dual_sub_f32 v43, v40, v44
	v_add_f32_e32 v44, v57, v40
	v_sub_f32_e32 v31, v31, v32
	s_delay_alu instid0(VALU_DEP_3) | instskip(NEXT) | instid1(VALU_DEP_3)
	v_sub_f32_e32 v27, v27, v43
	v_sub_f32_e32 v43, v44, v57
	s_delay_alu instid0(VALU_DEP_1) | instskip(SKIP_1) | instid1(VALU_DEP_4)
	v_sub_f32_e32 v50, v44, v43
	v_sub_f32_e32 v40, v40, v43
	v_add_f32_e32 v43, v24, v27
	v_add_f32_e32 v29, v52, v51
	s_delay_alu instid0(VALU_DEP_1) | instskip(NEXT) | instid1(VALU_DEP_1)
	v_dual_sub_f32 v39, v29, v52 :: v_dual_add_f32 v42, v47, v29
	v_sub_f32_e32 v39, v51, v39
	s_delay_alu instid0(VALU_DEP_2) | instskip(NEXT) | instid1(VALU_DEP_2)
	v_sub_f32_e32 v45, v42, v47
	v_add_f32_e32 v39, v58, v39
	s_delay_alu instid0(VALU_DEP_2) | instskip(SKIP_1) | instid1(VALU_DEP_2)
	v_sub_f32_e32 v29, v29, v45
	v_dual_sub_f32 v45, v38, v32 :: v_dual_add_f32 v32, v35, v25
	v_add_f32_e32 v29, v39, v29
	s_delay_alu instid0(VALU_DEP_2) | instskip(NEXT) | instid1(VALU_DEP_2)
	v_dual_sub_f32 v45, v59, v45 :: v_dual_sub_f32 v48, v32, v35
	v_add_f32_e32 v28, v42, v29
	s_delay_alu instid0(VALU_DEP_2) | instskip(NEXT) | instid1(VALU_DEP_3)
	v_add_f32_e32 v31, v31, v45
	v_sub_f32_e32 v45, v32, v48
	v_sub_f32_e32 v25, v25, v48
	;; [unrolled: 1-line block ×3, first 2 shown]
	v_dual_sub_f32 v41, v28, v42 :: v_dual_add_f32 v42, v30, v28
	s_delay_alu instid0(VALU_DEP_4) | instskip(SKIP_1) | instid1(VALU_DEP_3)
	v_sub_f32_e32 v35, v35, v45
	v_add_f32_e32 v31, v32, v31
	v_sub_f32_e32 v29, v29, v41
	s_delay_alu instid0(VALU_DEP_4) | instskip(NEXT) | instid1(VALU_DEP_4)
	v_sub_f32_e32 v41, v42, v30
	v_add_f32_e32 v25, v25, v35
	s_delay_alu instid0(VALU_DEP_4) | instskip(NEXT) | instid1(VALU_DEP_3)
	v_add_f32_e32 v35, v38, v31
	v_sub_f32_e32 v47, v42, v41
	v_sub_f32_e32 v28, v28, v41
	s_delay_alu instid0(VALU_DEP_2) | instskip(NEXT) | instid1(VALU_DEP_1)
	v_dual_add_f32 v41, v37, v29 :: v_dual_sub_f32 v30, v30, v47
	v_dual_sub_f32 v47, v41, v37 :: v_dual_add_f32 v28, v28, v30
	s_delay_alu instid0(VALU_DEP_1) | instskip(SKIP_1) | instid1(VALU_DEP_3)
	v_sub_f32_e32 v30, v41, v47
	v_sub_f32_e32 v29, v29, v47
	v_add_f32_e32 v28, v41, v28
	s_delay_alu instid0(VALU_DEP_3) | instskip(NEXT) | instid1(VALU_DEP_1)
	v_sub_f32_e32 v30, v37, v30
	v_dual_add_f32 v29, v29, v30 :: v_dual_add_f32 v30, v42, v28
	v_add_f32_e32 v39, v60, v33
	s_delay_alu instid0(VALU_DEP_1) | instskip(NEXT) | instid1(VALU_DEP_1)
	v_sub_f32_e32 v34, v39, v60
	v_sub_f32_e32 v46, v39, v34
	;; [unrolled: 1-line block ×3, first 2 shown]
	v_add_f32_e32 v34, v36, v26
	s_delay_alu instid0(VALU_DEP_1) | instskip(NEXT) | instid1(VALU_DEP_1)
	v_dual_sub_f32 v46, v60, v46 :: v_dual_sub_f32 v49, v34, v36
	v_dual_add_f32 v33, v33, v46 :: v_dual_sub_f32 v46, v34, v49
	v_dual_sub_f32 v26, v26, v49 :: v_dual_sub_f32 v49, v43, v24
	s_delay_alu instid0(VALU_DEP_2) | instskip(NEXT) | instid1(VALU_DEP_3)
	v_dual_add_f32 v33, v34, v33 :: v_dual_add_f32 v34, v40, v48
	v_sub_f32_e32 v32, v36, v46
	s_delay_alu instid0(VALU_DEP_3) | instskip(SKIP_1) | instid1(VALU_DEP_4)
	v_sub_f32_e32 v36, v43, v49
	v_sub_f32_e32 v27, v27, v49
	v_add_f32_e32 v34, v43, v34
	s_delay_alu instid0(VALU_DEP_4) | instskip(NEXT) | instid1(VALU_DEP_4)
	v_add_f32_e32 v26, v26, v32
	v_sub_f32_e32 v24, v24, v36
	v_sub_f32_e32 v36, v35, v38
	v_sub_f32_e32 v38, v30, v42
	s_delay_alu instid0(VALU_DEP_3) | instskip(NEXT) | instid1(VALU_DEP_2)
	v_dual_add_f32 v24, v27, v24 :: v_dual_add_f32 v27, v44, v34
	v_dual_sub_f32 v31, v31, v36 :: v_dual_sub_f32 v28, v28, v38
	s_delay_alu instid0(VALU_DEP_1) | instskip(NEXT) | instid1(VALU_DEP_2)
	v_dual_sub_f32 v36, v27, v44 :: v_dual_add_f32 v25, v25, v31
	v_add_f32_e32 v28, v29, v28
	s_delay_alu instid0(VALU_DEP_2) | instskip(NEXT) | instid1(VALU_DEP_1)
	v_sub_f32_e32 v31, v34, v36
	v_dual_add_f32 v29, v35, v25 :: v_dual_add_f32 v24, v24, v31
	s_delay_alu instid0(VALU_DEP_1) | instskip(NEXT) | instid1(VALU_DEP_1)
	v_dual_add_f32 v31, v30, v28 :: v_dual_sub_f32 v34, v29, v35
	v_dual_mul_f32 v35, v6, v29 :: v_dual_sub_f32 v30, v31, v30
	v_add_f32_e32 v32, v39, v33
	s_delay_alu instid0(VALU_DEP_3) | instskip(NEXT) | instid1(VALU_DEP_3)
	v_dual_mul_f32 v38, v4, v31 :: v_dual_sub_f32 v25, v25, v34
	v_fma_f32 v29, v6, v29, -v35
	s_delay_alu instid0(VALU_DEP_4) | instskip(NEXT) | instid1(VALU_DEP_4)
	v_sub_f32_e32 v28, v28, v30
	v_sub_f32_e32 v37, v32, v39
	s_delay_alu instid0(VALU_DEP_4)
	v_fma_f32 v30, v4, v31, -v38
	v_cmp_class_f32_e64 s7, v35, 0x204
	v_fmac_f32_e32 v29, v6, v25
	v_cmp_class_f32_e64 s9, v38, 0x204
	v_sub_f32_e32 v33, v33, v37
	v_add_f32_e32 v37, v27, v24
	v_fmac_f32_e32 v30, v4, v28
	s_delay_alu instid0(VALU_DEP_2) | instskip(NEXT) | instid1(VALU_DEP_1)
	v_dual_add_f32 v26, v26, v33 :: v_dual_sub_f32 v27, v37, v27
	v_add_f32_e32 v33, v32, v26
	s_delay_alu instid0(VALU_DEP_2) | instskip(NEXT) | instid1(VALU_DEP_2)
	v_sub_f32_e32 v24, v24, v27
	v_sub_f32_e32 v32, v33, v32
	v_mul_f32_e32 v36, v2, v33
	s_delay_alu instid0(VALU_DEP_2) | instskip(NEXT) | instid1(VALU_DEP_2)
	v_sub_f32_e32 v26, v26, v32
	v_fma_f32 v32, v2, v33, -v36
	v_mul_f32_e32 v33, v8, v37
	v_cmp_class_f32_e64 s8, v36, 0x204
	s_delay_alu instid0(VALU_DEP_3) | instskip(NEXT) | instid1(VALU_DEP_3)
	v_fmac_f32_e32 v32, v2, v26
	v_fma_f32 v25, v8, v37, -v33
	s_delay_alu instid0(VALU_DEP_2) | instskip(NEXT) | instid1(VALU_DEP_2)
	v_dual_add_f32 v26, v35, v29 :: v_dual_add_f32 v27, v36, v32
	v_dual_fmac_f32 v25, v8, v24 :: v_dual_add_f32 v24, v38, v30
	s_delay_alu instid0(VALU_DEP_2)
	v_sub_f32_e32 v28, v26, v35
	s_wait_alu 0xf1ff
	v_cndmask_b32_e64 v26, v26, v35, s7
	v_sub_f32_e32 v31, v27, v36
	v_cndmask_b32_e64 v27, v27, v36, s8
	v_sub_f32_e32 v35, v24, v38
	v_cndmask_b32_e64 v24, v24, v38, s9
	v_add_f32_e32 v34, v33, v25
	v_cmp_class_f32_e64 s7, v33, 0x204
	v_cmp_eq_f32_e64 s9, 0x42b17218, v27
	v_dual_sub_f32 v31, v32, v31 :: v_dual_sub_f32 v28, v29, v28
	v_cmp_eq_f32_e64 s8, 0x42b17218, v26
	v_sub_f32_e32 v36, v34, v33
	s_wait_alu 0xf1ff
	v_cndmask_b32_e64 v32, 0, 0x37000000, s9
	v_cmp_eq_f32_e64 s9, 0x42b17218, v24
	v_cndmask_b32_e64 v33, v34, v33, s7
	v_cndmask_b32_e64 v29, 0, 0x37000000, s8
	v_cmp_neq_f32_e64 s8, 0x7f800000, |v27|
	v_sub_f32_e32 v30, v30, v35
	s_wait_alu 0xf1ff
	v_cndmask_b32_e64 v34, 0, 0x37000000, s9
	v_cmp_neq_f32_e64 s9, 0x7f800000, |v26|
	v_cmp_neq_f32_e64 s7, 0x7f800000, |v24|
	v_sub_f32_e32 v26, v26, v29
	v_cndmask_b32_e64 v31, 0, v31, s8
	v_sub_f32_e32 v27, v27, v32
	s_wait_alu 0xf1ff
	v_cndmask_b32_e64 v28, 0, v28, s9
	v_cmp_eq_f32_e64 s9, 0x42b17218, v33
	v_sub_f32_e32 v25, v25, v36
	v_cmp_neq_f32_e64 s8, 0x7f800000, |v33|
	v_cndmask_b32_e64 v30, 0, v30, s7
	v_sub_f32_e32 v24, v24, v34
	s_wait_alu 0xf1ff
	v_cndmask_b32_e64 v35, 0, 0x37000000, s9
	v_dual_add_f32 v28, v29, v28 :: v_dual_mul_f32 v29, 0x3fb8aa3b, v26
	v_add_f32_e32 v31, v32, v31
	v_mul_f32_e32 v32, 0x3fb8aa3b, v27
	v_cndmask_b32_e64 v25, 0, v25, s8
	v_dual_sub_f32 v33, v33, v35 :: v_dual_add_f32 v30, v34, v30
	v_mul_f32_e32 v34, 0x3fb8aa3b, v24
	v_fma_f32 v36, 0x3fb8aa3b, v26, -v29
	v_rndne_f32_e32 v37, v29
	v_fma_f32 v38, 0x3fb8aa3b, v27, -v32
	v_rndne_f32_e32 v39, v32
	v_add_f32_e32 v25, v35, v25
	v_mul_f32_e32 v35, 0x3fb8aa3b, v33
	v_fma_f32 v40, 0x3fb8aa3b, v24, -v34
	v_rndne_f32_e32 v41, v34
	v_dual_fmac_f32 v36, 0x32a5705f, v26 :: v_dual_sub_f32 v29, v29, v37
	v_fmac_f32_e32 v38, 0x32a5705f, v27
	v_sub_f32_e32 v32, v32, v39
	v_fma_f32 v42, 0x3fb8aa3b, v33, -v35
	v_rndne_f32_e32 v43, v35
	v_fmac_f32_e32 v40, 0x32a5705f, v24
	v_dual_sub_f32 v34, v34, v41 :: v_dual_add_f32 v29, v29, v36
	v_add_f32_e32 v32, v32, v38
	s_delay_alu instid0(VALU_DEP_4) | instskip(NEXT) | instid1(VALU_DEP_3)
	v_dual_fmac_f32 v42, 0x32a5705f, v33 :: v_dual_sub_f32 v35, v35, v43
	v_add_f32_e32 v34, v34, v40
	s_delay_alu instid0(VALU_DEP_4) | instskip(NEXT) | instid1(VALU_DEP_3)
	v_exp_f32_e32 v29, v29
	v_exp_f32_e32 v32, v32
	v_cvt_i32_f32_e32 v37, v37
	v_add_f32_e32 v35, v35, v42
	v_exp_f32_e32 v34, v34
	v_cvt_i32_f32_e32 v39, v39
	v_cvt_i32_f32_e32 v41, v41
	;; [unrolled: 1-line block ×3, first 2 shown]
	v_exp_f32_e32 v35, v35
	v_cmp_ngt_f32_e64 s7, 0xc2ce8ed0, v27
	v_ldexp_f32 v29, v29, v37
	v_ldexp_f32 v32, v32, v39
	v_cmp_ngt_f32_e64 s8, 0xc2ce8ed0, v24
	v_cmp_ngt_f32_e64 s9, 0xc2ce8ed0, v26
	v_ldexp_f32 v34, v34, v41
	v_cmp_nlt_f32_e64 s10, 0x42b17218, v26
	s_wait_alu 0xf1ff
	v_cndmask_b32_e64 v32, 0, v32, s7
	v_cmp_nlt_f32_e64 s7, 0x42b17218, v27
	v_cndmask_b32_e64 v29, 0, v29, s9
	v_ldexp_f32 v27, v35, v36
	v_cmp_ngt_f32_e64 s9, 0xc2ce8ed0, v33
	v_cndmask_b32_e64 v34, 0, v34, s8
	v_cmp_nlt_f32_e64 s8, 0x42b17218, v24
	v_cndmask_b32_e64 v24, 0x7f800000, v29, s10
	s_wait_alu 0xf1ff
	v_cndmask_b32_e64 v26, 0x7f800000, v32, s7
	v_cndmask_b32_e64 v27, 0, v27, s9
	v_cmp_nlt_f32_e64 s7, 0x42b17218, v33
	v_cndmask_b32_e64 v29, 0x7f800000, v34, s8
	v_fma_f32 v28, v24, v28, v24
	v_fma_f32 v31, v26, v31, v26
	v_cmp_class_f32_e64 s8, v26, 0x204
	s_wait_alu 0xf1ff
	v_cndmask_b32_e64 v27, 0x7f800000, v27, s7
	v_fma_f32 v30, v29, v30, v29
	v_cmp_class_f32_e64 s7, v29, 0x204
	v_cmp_class_f32_e64 s9, v24, 0x204
	v_cndmask_b32_e64 v26, v31, v26, s8
	v_fma_f32 v25, v27, v25, v27
	v_cmp_class_f32_e64 s8, v27, 0x204
	s_wait_alu 0xf1ff
	v_cndmask_b32_e64 v24, v28, v24, s9
	v_cndmask_b32_e64 v28, v30, v29, s7
	v_bfi_b32 v18, 0x7fffffff, v26, v18
	s_delay_alu instid0(VALU_DEP_3) | instskip(SKIP_1) | instid1(VALU_DEP_4)
	v_bfi_b32 v16, 0x7fffffff, v24, v16
	v_cndmask_b32_e64 v24, v25, v27, s8
	v_bfi_b32 v22, 0x7fffffff, v28, v22
	s_delay_alu instid0(VALU_DEP_4)
	v_cndmask_b32_e64 v26, 0x7fc00000, v18, s3
	v_cmp_gt_f32_e64 s3, 0, v10
	v_cndmask_b32_e64 v25, 0x7fc00000, v16, s1
	v_cmp_gt_f32_e64 s1, 0, v9
	v_bfi_b32 v23, 0x7fffffff, v24, v23
	v_cndmask_b32_e64 v24, 0x7fc00000, v22, s4
	v_cmp_gt_f32_e64 s4, 0, v7
	s_wait_alu 0xf1ff
	v_cndmask_b32_e64 v18, v18, v26, s1
	v_cmp_class_f32_e64 s1, v2, 0x204
	v_cndmask_b32_e64 v22, v22, v24, s3
	v_cndmask_b32_e64 v16, v16, v25, s4
	;; [unrolled: 1-line block ×3, first 2 shown]
	v_cmp_gt_f32_e64 s4, 0, v11
	v_cmp_class_f32_e64 s6, v6, 0x204
	v_cmp_class_f32_e64 s3, v4, 0x204
	s_wait_alu 0xf1ff
	v_cndmask_b32_e64 v13, v18, v13, s1
	v_cmp_class_f32_e64 s1, v8, 0x204
	v_cndmask_b32_e64 v12, v16, v12, s6
	v_cndmask_b32_e64 v16, v23, v25, s4
	;; [unrolled: 1-line block ×3, first 2 shown]
	s_wait_alu 0xfffe
	s_delay_alu instid0(VALU_DEP_3)
	v_cndmask_b32_e32 v12, v12, v20, vcc_lo
	v_cmp_o_f32_e32 vcc_lo, v7, v6
	s_wait_alu 0xf1ff
	v_cndmask_b32_e64 v7, v16, v15, s1
	v_cndmask_b32_e64 v6, v13, v19, s0
	v_cmp_o_f32_e64 s0, v9, v2
	v_cndmask_b32_e64 v2, v14, v17, s2
	s_or_b32 s2, s5, s36
	v_cmp_o_f32_e64 s1, v10, v4
	s_wait_alu 0xfffe
	v_cndmask_b32_e64 v4, v7, v21, s2
	s_wait_alu 0xfffd
	v_cndmask_b32_e32 v9, 0x7fc00000, v12, vcc_lo
	v_cmp_o_f32_e32 vcc_lo, v11, v8
	v_cndmask_b32_e64 v10, 0x7fc00000, v6, s0
	s_wait_alu 0xf1ff
	v_cndmask_b32_e64 v2, 0x7fc00000, v2, s1
	v_lshlrev_b64_e32 v[6:7], 2, v[0:1]
	v_cvt_f16_f32_e32 v8, v9
	s_wait_alu 0xfffd
	v_cndmask_b32_e32 v4, 0x7fc00000, v4, vcc_lo
	v_cvt_f16_f32_e32 v9, v10
	v_cvt_f16_f32_e32 v2, v2
	v_cmp_le_i64_e32 vcc_lo, s[22:23], v[6:7]
	s_delay_alu instid0(VALU_DEP_4) | instskip(SKIP_3) | instid1(VALU_DEP_3)
	v_cvt_f16_f32_e32 v10, v4
	v_add_co_ci_u32_e64 v4, null, s21, 0, s31
	v_pack_b32_f16 v6, v8, v9
	s_add_nc_u64 s[20:21], s[20:21], s[24:25]
	v_pack_b32_f16 v7, v10, v2
	s_or_b32 s30, vcc_lo, s30
	global_store_b64 v[3:4], v[6:7], off
	s_wait_alu 0xfffe
	s_and_not1_b32 exec_lo, exec_lo, s30
	s_cbranch_execnz .LBB81_24
.LBB81_25:
	s_endpgm
	.section	.rodata,"a",@progbits
	.p2align	6, 0x0
	.amdhsa_kernel _ZN2at6native12_GLOBAL__N_125multi_tensor_apply_kernelINS1_18TensorListMetadataILi2EEENS1_21BinaryOpScalarFunctorIN3c104HalfELi2ELi1ELi1EEEJNS1_21reverse_power_functorIfEEfEEEvT_T0_DpT1_
		.amdhsa_group_segment_fixed_size 0
		.amdhsa_private_segment_fixed_size 0
		.amdhsa_kernarg_size 3408
		.amdhsa_user_sgpr_count 2
		.amdhsa_user_sgpr_dispatch_ptr 0
		.amdhsa_user_sgpr_queue_ptr 0
		.amdhsa_user_sgpr_kernarg_segment_ptr 1
		.amdhsa_user_sgpr_dispatch_id 0
		.amdhsa_user_sgpr_private_segment_size 0
		.amdhsa_wavefront_size32 1
		.amdhsa_uses_dynamic_stack 0
		.amdhsa_enable_private_segment 0
		.amdhsa_system_sgpr_workgroup_id_x 1
		.amdhsa_system_sgpr_workgroup_id_y 0
		.amdhsa_system_sgpr_workgroup_id_z 0
		.amdhsa_system_sgpr_workgroup_info 0
		.amdhsa_system_vgpr_workitem_id 0
		.amdhsa_next_free_vgpr 68
		.amdhsa_next_free_sgpr 40
		.amdhsa_reserve_vcc 1
		.amdhsa_float_round_mode_32 0
		.amdhsa_float_round_mode_16_64 0
		.amdhsa_float_denorm_mode_32 3
		.amdhsa_float_denorm_mode_16_64 3
		.amdhsa_fp16_overflow 0
		.amdhsa_workgroup_processor_mode 1
		.amdhsa_memory_ordered 1
		.amdhsa_forward_progress 1
		.amdhsa_inst_pref_size 87
		.amdhsa_round_robin_scheduling 0
		.amdhsa_exception_fp_ieee_invalid_op 0
		.amdhsa_exception_fp_denorm_src 0
		.amdhsa_exception_fp_ieee_div_zero 0
		.amdhsa_exception_fp_ieee_overflow 0
		.amdhsa_exception_fp_ieee_underflow 0
		.amdhsa_exception_fp_ieee_inexact 0
		.amdhsa_exception_int_div_zero 0
	.end_amdhsa_kernel
	.section	.text._ZN2at6native12_GLOBAL__N_125multi_tensor_apply_kernelINS1_18TensorListMetadataILi2EEENS1_21BinaryOpScalarFunctorIN3c104HalfELi2ELi1ELi1EEEJNS1_21reverse_power_functorIfEEfEEEvT_T0_DpT1_,"axG",@progbits,_ZN2at6native12_GLOBAL__N_125multi_tensor_apply_kernelINS1_18TensorListMetadataILi2EEENS1_21BinaryOpScalarFunctorIN3c104HalfELi2ELi1ELi1EEEJNS1_21reverse_power_functorIfEEfEEEvT_T0_DpT1_,comdat
.Lfunc_end81:
	.size	_ZN2at6native12_GLOBAL__N_125multi_tensor_apply_kernelINS1_18TensorListMetadataILi2EEENS1_21BinaryOpScalarFunctorIN3c104HalfELi2ELi1ELi1EEEJNS1_21reverse_power_functorIfEEfEEEvT_T0_DpT1_, .Lfunc_end81-_ZN2at6native12_GLOBAL__N_125multi_tensor_apply_kernelINS1_18TensorListMetadataILi2EEENS1_21BinaryOpScalarFunctorIN3c104HalfELi2ELi1ELi1EEEJNS1_21reverse_power_functorIfEEfEEEvT_T0_DpT1_
                                        ; -- End function
	.set _ZN2at6native12_GLOBAL__N_125multi_tensor_apply_kernelINS1_18TensorListMetadataILi2EEENS1_21BinaryOpScalarFunctorIN3c104HalfELi2ELi1ELi1EEEJNS1_21reverse_power_functorIfEEfEEEvT_T0_DpT1_.num_vgpr, 68
	.set _ZN2at6native12_GLOBAL__N_125multi_tensor_apply_kernelINS1_18TensorListMetadataILi2EEENS1_21BinaryOpScalarFunctorIN3c104HalfELi2ELi1ELi1EEEJNS1_21reverse_power_functorIfEEfEEEvT_T0_DpT1_.num_agpr, 0
	.set _ZN2at6native12_GLOBAL__N_125multi_tensor_apply_kernelINS1_18TensorListMetadataILi2EEENS1_21BinaryOpScalarFunctorIN3c104HalfELi2ELi1ELi1EEEJNS1_21reverse_power_functorIfEEfEEEvT_T0_DpT1_.numbered_sgpr, 40
	.set _ZN2at6native12_GLOBAL__N_125multi_tensor_apply_kernelINS1_18TensorListMetadataILi2EEENS1_21BinaryOpScalarFunctorIN3c104HalfELi2ELi1ELi1EEEJNS1_21reverse_power_functorIfEEfEEEvT_T0_DpT1_.num_named_barrier, 0
	.set _ZN2at6native12_GLOBAL__N_125multi_tensor_apply_kernelINS1_18TensorListMetadataILi2EEENS1_21BinaryOpScalarFunctorIN3c104HalfELi2ELi1ELi1EEEJNS1_21reverse_power_functorIfEEfEEEvT_T0_DpT1_.private_seg_size, 0
	.set _ZN2at6native12_GLOBAL__N_125multi_tensor_apply_kernelINS1_18TensorListMetadataILi2EEENS1_21BinaryOpScalarFunctorIN3c104HalfELi2ELi1ELi1EEEJNS1_21reverse_power_functorIfEEfEEEvT_T0_DpT1_.uses_vcc, 1
	.set _ZN2at6native12_GLOBAL__N_125multi_tensor_apply_kernelINS1_18TensorListMetadataILi2EEENS1_21BinaryOpScalarFunctorIN3c104HalfELi2ELi1ELi1EEEJNS1_21reverse_power_functorIfEEfEEEvT_T0_DpT1_.uses_flat_scratch, 0
	.set _ZN2at6native12_GLOBAL__N_125multi_tensor_apply_kernelINS1_18TensorListMetadataILi2EEENS1_21BinaryOpScalarFunctorIN3c104HalfELi2ELi1ELi1EEEJNS1_21reverse_power_functorIfEEfEEEvT_T0_DpT1_.has_dyn_sized_stack, 0
	.set _ZN2at6native12_GLOBAL__N_125multi_tensor_apply_kernelINS1_18TensorListMetadataILi2EEENS1_21BinaryOpScalarFunctorIN3c104HalfELi2ELi1ELi1EEEJNS1_21reverse_power_functorIfEEfEEEvT_T0_DpT1_.has_recursion, 0
	.set _ZN2at6native12_GLOBAL__N_125multi_tensor_apply_kernelINS1_18TensorListMetadataILi2EEENS1_21BinaryOpScalarFunctorIN3c104HalfELi2ELi1ELi1EEEJNS1_21reverse_power_functorIfEEfEEEvT_T0_DpT1_.has_indirect_call, 0
	.section	.AMDGPU.csdata,"",@progbits
; Kernel info:
; codeLenInByte = 11128
; TotalNumSgprs: 42
; NumVgprs: 68
; ScratchSize: 0
; MemoryBound: 0
; FloatMode: 240
; IeeeMode: 1
; LDSByteSize: 0 bytes/workgroup (compile time only)
; SGPRBlocks: 0
; VGPRBlocks: 8
; NumSGPRsForWavesPerEU: 42
; NumVGPRsForWavesPerEU: 68
; Occupancy: 16
; WaveLimiterHint : 0
; COMPUTE_PGM_RSRC2:SCRATCH_EN: 0
; COMPUTE_PGM_RSRC2:USER_SGPR: 2
; COMPUTE_PGM_RSRC2:TRAP_HANDLER: 0
; COMPUTE_PGM_RSRC2:TGID_X_EN: 1
; COMPUTE_PGM_RSRC2:TGID_Y_EN: 0
; COMPUTE_PGM_RSRC2:TGID_Z_EN: 0
; COMPUTE_PGM_RSRC2:TIDIG_COMP_CNT: 0
	.section	.text._ZN2at6native12_GLOBAL__N_125multi_tensor_apply_kernelINS1_18TensorListMetadataILi2EEENS1_21BinaryOpScalarFunctorIN3c108BFloat16ELi2ELi1ELi1EEEJNS1_21reverse_power_functorIfEEfEEEvT_T0_DpT1_,"axG",@progbits,_ZN2at6native12_GLOBAL__N_125multi_tensor_apply_kernelINS1_18TensorListMetadataILi2EEENS1_21BinaryOpScalarFunctorIN3c108BFloat16ELi2ELi1ELi1EEEJNS1_21reverse_power_functorIfEEfEEEvT_T0_DpT1_,comdat
	.globl	_ZN2at6native12_GLOBAL__N_125multi_tensor_apply_kernelINS1_18TensorListMetadataILi2EEENS1_21BinaryOpScalarFunctorIN3c108BFloat16ELi2ELi1ELi1EEEJNS1_21reverse_power_functorIfEEfEEEvT_T0_DpT1_ ; -- Begin function _ZN2at6native12_GLOBAL__N_125multi_tensor_apply_kernelINS1_18TensorListMetadataILi2EEENS1_21BinaryOpScalarFunctorIN3c108BFloat16ELi2ELi1ELi1EEEJNS1_21reverse_power_functorIfEEfEEEvT_T0_DpT1_
	.p2align	8
	.type	_ZN2at6native12_GLOBAL__N_125multi_tensor_apply_kernelINS1_18TensorListMetadataILi2EEENS1_21BinaryOpScalarFunctorIN3c108BFloat16ELi2ELi1ELi1EEEJNS1_21reverse_power_functorIfEEfEEEvT_T0_DpT1_,@function
_ZN2at6native12_GLOBAL__N_125multi_tensor_apply_kernelINS1_18TensorListMetadataILi2EEENS1_21BinaryOpScalarFunctorIN3c108BFloat16ELi2ELi1ELi1EEEJNS1_21reverse_power_functorIfEEfEEEvT_T0_DpT1_: ; @_ZN2at6native12_GLOBAL__N_125multi_tensor_apply_kernelINS1_18TensorListMetadataILi2EEENS1_21BinaryOpScalarFunctorIN3c108BFloat16ELi2ELi1ELi1EEEJNS1_21reverse_power_functorIfEEfEEEvT_T0_DpT1_
; %bb.0:
	s_load_u8 s8, s[0:1], ttmp9 offset:0x600
	s_mov_b32 s2, ttmp9
	s_mov_b32 s3, 0
	s_delay_alu instid0(SALU_CYCLE_1)
	s_mul_u64 s[4:5], s[2:3], 3
	s_add_nc_u64 s[6:7], s[0:1], s[2:3]
	s_mov_b32 s11, s3
	s_add_nc_u64 s[4:5], s[6:7], s[4:5]
	s_mov_b32 s13, s3
	s_load_b32 s4, s[4:5], 0x740
	s_wait_kmcnt 0x0
	s_lshl_b32 s2, s8, 3
	s_clause 0x3
	s_load_b64 s[18:19], s[0:1], s2 offset:0x0
	s_load_b64 s[20:21], s[0:1], s2 offset:0x200
	;; [unrolled: 1-line block ×3, first 2 shown]
	s_load_b32 s24, s[0:1], 0xc4c
	s_ashr_i32 s5, s4, 31
	s_delay_alu instid0(SALU_CYCLE_1)
	s_lshl_b64 s[8:9], s[4:5], 17
	s_lshl_b64 s[4:5], s[4:5], 16
	s_wait_kmcnt 0x0
	s_add_nc_u64 s[14:15], s[18:19], s[8:9]
	s_and_b32 s10, s20, 7
	s_and_b32 s12, s6, 3
	;; [unrolled: 1-line block ×3, first 2 shown]
	s_or_b64 s[10:11], s[10:11], s[12:13]
	s_delay_alu instid0(SALU_CYCLE_1)
	s_or_b64 s[2:3], s[10:11], s[2:3]
	s_sub_nc_u64 s[10:11], s[6:7], s[4:5]
	s_cmp_eq_u64 s[2:3], 0
	s_mov_b32 s2, -1
	s_cbranch_scc1 .LBB82_21
; %bb.1:
	v_cmp_lt_i64_e64 s2, s[10:11], 1
	s_and_b32 vcc_lo, exec_lo, s2
	s_cbranch_vccnz .LBB82_20
; %bb.2:
	s_load_b32 s2, s[0:1], 0xc5c
	v_cmp_gt_i64_e64 s3, 0x10000, s[10:11]
	v_cmp_gt_u64_e64 s4, 0x10000, s[10:11]
	v_dual_mov_b32 v10, 0 :: v_dual_lshlrev_b32 v9, 1, v0
	s_mov_b32 s13, 0
	s_mov_b64 s[22:23], 0
	s_and_b32 s3, s3, exec_lo
	s_cselect_b32 s15, s11, 0
	s_cselect_b32 s14, s10, 0x10000
	v_add_co_u32 v1, s5, s18, v9
	s_delay_alu instid0(VALU_DEP_1)
	v_add_co_ci_u32_e64 v2, null, s19, 0, s5
	s_mov_b32 s26, 0x3e76c4e1
	s_wait_kmcnt 0x0
	s_and_b32 s2, s2, 0xffff
	s_and_b32 s3, s4, exec_lo
	s_cselect_b32 s17, s11, 0
	s_cselect_b32 s16, s10, 0x10000
	s_lshl_b32 s3, s2, 1
	s_cmp_eq_f32 s24, 1.0
	v_add_co_u32 v3, s4, s20, v9
	s_wait_alu 0xf1ff
	v_add_co_ci_u32_e64 v4, null, s21, 0, s4
	s_mul_i32 s4, s2, 3
	s_cselect_b32 s7, -1, 0
	s_lshl_b32 s12, s2, 2
	v_mad_co_u64_u32 v[7:8], null, s2, 6, v[9:10]
	v_add_co_u32 v14, s5, s12, v9
	s_wait_alu 0xfffe
	v_add_co_u32 v9, s4, s4, v0
	s_wait_alu 0xf1ff
	v_add_co_ci_u32_e64 v10, null, 0, 0, s4
	v_add_co_u32 v13, s4, v0, s2
	v_add_co_u32 v5, vcc_lo, s18, v7
	v_add_co_ci_u32_e64 v15, null, 0, 0, s5
	s_delay_alu instid0(VALU_DEP_3)
	v_lshlrev_b32_e32 v21, 1, v13
	v_add_co_ci_u32_e64 v6, null, s19, v8, vcc_lo
	v_add_co_u32 v7, vcc_lo, s20, v7
	v_add_co_u32 v17, s3, s3, v0
	s_wait_alu 0xfffd
	v_add_co_ci_u32_e64 v8, null, s21, v8, vcc_lo
	v_add_co_u32 v11, vcc_lo, s18, v14
	s_wait_alu 0xf1ff
	v_add_co_ci_u32_e64 v18, null, 0, 0, s3
	v_add_co_u32 v19, s3, s18, v21
	s_wait_alu 0xfffd
	v_add_co_ci_u32_e64 v12, null, s19, v15, vcc_lo
	v_add_co_u32 v14, vcc_lo, s20, v14
	s_wait_alu 0xf1ff
	v_add_co_ci_u32_e64 v20, null, s19, 0, s3
	v_add_co_u32 v21, s3, s20, v21
	s_wait_alu 0xfffd
	v_add_co_ci_u32_e64 v15, null, s21, v15, vcc_lo
	v_add_co_ci_u32_e64 v16, null, 0, 0, s4
	s_wait_alu 0xf1ff
	v_add_co_ci_u32_e64 v22, null, s21, 0, s3
	s_lshl_b32 s25, s2, 3
	s_branch .LBB82_4
.LBB82_3:                               ;   in Loop: Header=BB82_4 Depth=1
	s_wait_alu 0xfffe
	s_or_b32 exec_lo, exec_lo, s5
	v_add_co_u32 v1, vcc_lo, v1, s25
	s_wait_alu 0xfffd
	v_add_co_ci_u32_e64 v2, null, 0, v2, vcc_lo
	v_add_co_u32 v3, vcc_lo, v3, s25
	s_wait_alu 0xfffd
	v_add_co_ci_u32_e64 v4, null, 0, v4, vcc_lo
	;; [unrolled: 3-line block ×5, first 2 shown]
	v_add_co_u32 v14, vcc_lo, v14, s25
	s_add_nc_u64 s[22:23], s[22:23], s[12:13]
	s_wait_alu 0xfffd
	v_add_co_ci_u32_e64 v15, null, 0, v15, vcc_lo
	v_add_co_u32 v19, vcc_lo, v19, s25
	s_wait_alu 0xfffe
	v_cmp_lt_i64_e64 s2, s[22:23], s[14:15]
	s_wait_alu 0xfffd
	v_add_co_ci_u32_e64 v20, null, 0, v20, vcc_lo
	v_add_co_u32 v21, vcc_lo, v21, s25
	s_wait_alu 0xfffd
	v_add_co_ci_u32_e64 v22, null, 0, v22, vcc_lo
	s_and_b32 vcc_lo, exec_lo, s2
	s_wait_alu 0xfffe
	s_cbranch_vccz .LBB82_20
.LBB82_4:                               ; =>This Inner Loop Header: Depth=1
	v_add_co_u32 v23, s2, v0, s22
	s_wait_alu 0xf1ff
	v_add_co_ci_u32_e64 v24, null, 0, s23, s2
	v_mov_b32_e32 v26, 0
	s_delay_alu instid0(VALU_DEP_2)
	v_cmp_gt_u64_e64 s4, s[16:17], v[23:24]
	s_and_saveexec_b32 s2, s4
	s_cbranch_execz .LBB82_6
; %bb.5:                                ;   in Loop: Header=BB82_4 Depth=1
	v_add_co_u32 v23, vcc_lo, v1, s8
	s_wait_alu 0xfffd
	v_add_co_ci_u32_e64 v24, null, s9, v2, vcc_lo
	global_load_u16 v23, v[23:24], off
	s_wait_loadcnt 0x0
	v_lshlrev_b32_e32 v26, 16, v23
.LBB82_6:                               ;   in Loop: Header=BB82_4 Depth=1
	s_wait_alu 0xfffe
	s_or_b32 exec_lo, exec_lo, s2
	v_add_co_u32 v23, vcc_lo, v13, s22
	s_wait_alu 0xfffd
	v_add_co_ci_u32_e64 v24, null, s23, v16, vcc_lo
	v_mov_b32_e32 v25, 0
	s_delay_alu instid0(VALU_DEP_2)
	v_cmp_gt_u64_e64 s3, s[16:17], v[23:24]
	v_mov_b32_e32 v24, 0
	s_and_saveexec_b32 s2, s3
	s_cbranch_execz .LBB82_8
; %bb.7:                                ;   in Loop: Header=BB82_4 Depth=1
	v_add_co_u32 v27, vcc_lo, v19, s8
	s_wait_alu 0xfffd
	v_add_co_ci_u32_e64 v28, null, s9, v20, vcc_lo
	global_load_u16 v23, v[27:28], off
	s_wait_loadcnt 0x0
	v_lshlrev_b32_e32 v25, 16, v23
.LBB82_8:                               ;   in Loop: Header=BB82_4 Depth=1
	s_wait_alu 0xfffe
	s_or_b32 exec_lo, exec_lo, s2
	v_add_co_u32 v27, vcc_lo, v17, s22
	s_wait_alu 0xfffd
	v_add_co_ci_u32_e64 v28, null, s23, v18, vcc_lo
	s_delay_alu instid0(VALU_DEP_1)
	v_cmp_gt_u64_e64 s2, s[16:17], v[27:28]
	s_and_saveexec_b32 s5, s2
	s_cbranch_execz .LBB82_10
; %bb.9:                                ;   in Loop: Header=BB82_4 Depth=1
	v_add_co_u32 v23, vcc_lo, v11, s8
	s_wait_alu 0xfffd
	v_add_co_ci_u32_e64 v24, null, s9, v12, vcc_lo
	global_load_u16 v23, v[23:24], off
	s_wait_loadcnt 0x0
	v_lshlrev_b32_e32 v24, 16, v23
.LBB82_10:                              ;   in Loop: Header=BB82_4 Depth=1
	s_wait_alu 0xfffe
	s_or_b32 exec_lo, exec_lo, s5
	v_add_co_u32 v27, vcc_lo, v9, s22
	s_wait_alu 0xfffd
	v_add_co_ci_u32_e64 v28, null, s23, v10, vcc_lo
	v_mov_b32_e32 v23, 0
	s_delay_alu instid0(VALU_DEP_2)
	v_cmp_gt_u64_e32 vcc_lo, s[16:17], v[27:28]
	s_and_saveexec_b32 s6, vcc_lo
	s_cbranch_execnz .LBB82_15
; %bb.11:                               ;   in Loop: Header=BB82_4 Depth=1
	s_wait_alu 0xfffe
	s_or_b32 exec_lo, exec_lo, s6
	s_and_saveexec_b32 s27, s4
	s_cbranch_execnz .LBB82_16
.LBB82_12:                              ;   in Loop: Header=BB82_4 Depth=1
	s_wait_alu 0xfffe
	s_or_b32 exec_lo, exec_lo, s27
	s_and_saveexec_b32 s27, s3
	s_cbranch_execnz .LBB82_17
.LBB82_13:                              ;   in Loop: Header=BB82_4 Depth=1
	s_wait_alu 0xfffe
	s_or_b32 exec_lo, exec_lo, s27
	s_and_saveexec_b32 s6, s2
	s_cbranch_execnz .LBB82_18
.LBB82_14:                              ;   in Loop: Header=BB82_4 Depth=1
	s_wait_alu 0xfffe
	s_or_b32 exec_lo, exec_lo, s6
	s_and_saveexec_b32 s5, vcc_lo
	s_cbranch_execz .LBB82_3
	s_branch .LBB82_19
.LBB82_15:                              ;   in Loop: Header=BB82_4 Depth=1
	v_add_co_u32 v27, s5, v5, s8
	s_wait_alu 0xf1ff
	v_add_co_ci_u32_e64 v28, null, s9, v6, s5
	global_load_u16 v23, v[27:28], off
	s_wait_loadcnt 0x0
	v_lshlrev_b32_e32 v23, 16, v23
	s_wait_alu 0xfffe
	s_or_b32 exec_lo, exec_lo, s6
	s_and_saveexec_b32 s27, s4
	s_cbranch_execz .LBB82_12
.LBB82_16:                              ;   in Loop: Header=BB82_4 Depth=1
	v_cndmask_b32_e64 v28, v26, 1.0, s7
	s_delay_alu instid0(VALU_DEP_1) | instskip(SKIP_2) | instid1(VALU_DEP_2)
	v_cmp_neq_f32_e64 s4, 0, v28
	v_cmp_neq_f32_e64 s28, v28, |v28|
	s_wait_alu 0xf1ff
	v_cndmask_b32_e64 v29, 1.0, s24, s4
	s_delay_alu instid0(VALU_DEP_1)
	v_cvt_f64_f32_e64 v[26:27], |v29|
	v_cmp_lt_f32_e64 s29, |v29|, 1.0
	v_cmp_eq_f32_e64 s6, 0, v29
	s_xor_b32 s28, s28, s29
	v_frexp_exp_i32_f64_e32 v26, v[26:27]
	v_frexp_mant_f32_e64 v27, |v29|
	s_delay_alu instid0(VALU_DEP_1) | instskip(SKIP_1) | instid1(VALU_DEP_1)
	v_cmp_gt_f32_e64 s4, 0x3f2aaaab, v27
	s_wait_alu 0xf1ff
	v_cndmask_b32_e64 v30, 1.0, 2.0, s4
	s_delay_alu instid0(VALU_DEP_1) | instskip(NEXT) | instid1(VALU_DEP_1)
	v_mul_f32_e32 v27, v27, v30
	v_add_f32_e32 v30, 1.0, v27
	v_add_f32_e32 v32, -1.0, v27
	s_delay_alu instid0(VALU_DEP_2) | instskip(NEXT) | instid1(VALU_DEP_1)
	v_add_f32_e32 v34, -1.0, v30
	v_sub_f32_e32 v27, v27, v34
	v_rcp_f32_e32 v31, v30
	v_subrev_co_ci_u32_e64 v26, null, 0, v26, s4
	s_delay_alu instid0(TRANS32_DEP_1) | instskip(NEXT) | instid1(VALU_DEP_2)
	v_mul_f32_e32 v33, v32, v31
	v_cvt_f32_i32_e32 v26, v26
	s_delay_alu instid0(VALU_DEP_2) | instskip(NEXT) | instid1(VALU_DEP_1)
	v_mul_f32_e32 v35, v30, v33
	v_fma_f32 v30, v33, v30, -v35
	s_delay_alu instid0(VALU_DEP_1) | instskip(NEXT) | instid1(VALU_DEP_1)
	v_fmac_f32_e32 v30, v33, v27
	v_add_f32_e32 v27, v35, v30
	s_delay_alu instid0(VALU_DEP_1) | instskip(NEXT) | instid1(VALU_DEP_1)
	v_sub_f32_e32 v35, v27, v35
	v_sub_f32_e32 v30, v35, v30
	;; [unrolled: 1-line block ×3, first 2 shown]
	s_delay_alu instid0(VALU_DEP_1) | instskip(NEXT) | instid1(VALU_DEP_1)
	v_sub_f32_e32 v32, v32, v34
	v_sub_f32_e32 v27, v32, v27
	s_delay_alu instid0(VALU_DEP_1) | instskip(NEXT) | instid1(VALU_DEP_1)
	v_add_f32_e32 v27, v30, v27
	v_add_f32_e32 v27, v34, v27
	s_delay_alu instid0(VALU_DEP_1) | instskip(NEXT) | instid1(VALU_DEP_1)
	v_mul_f32_e32 v27, v31, v27
	v_add_f32_e32 v30, v33, v27
	s_delay_alu instid0(VALU_DEP_1) | instskip(NEXT) | instid1(VALU_DEP_1)
	v_sub_f32_e32 v31, v30, v33
	v_dual_mul_f32 v32, v30, v30 :: v_dual_sub_f32 v27, v27, v31
	s_delay_alu instid0(VALU_DEP_1) | instskip(NEXT) | instid1(VALU_DEP_2)
	v_fma_f32 v31, v30, v30, -v32
	v_add_f32_e32 v33, v27, v27
	s_delay_alu instid0(VALU_DEP_1) | instskip(NEXT) | instid1(VALU_DEP_1)
	v_fmac_f32_e32 v31, v30, v33
	v_add_f32_e32 v33, v32, v31
	s_delay_alu instid0(VALU_DEP_1) | instskip(SKIP_1) | instid1(VALU_DEP_1)
	v_fmaak_f32 v34, s26, v33, 0x3e91f4c4
	v_sub_f32_e32 v32, v33, v32
	v_dual_fmaak_f32 v34, v33, v34, 0x3ecccdef :: v_dual_sub_f32 v31, v31, v32
	s_delay_alu instid0(VALU_DEP_1) | instskip(NEXT) | instid1(VALU_DEP_1)
	v_mul_f32_e32 v35, v33, v34
	v_fma_f32 v32, v33, v34, -v35
	s_delay_alu instid0(VALU_DEP_1) | instskip(NEXT) | instid1(VALU_DEP_1)
	v_fmac_f32_e32 v32, v31, v34
	v_add_f32_e32 v34, v35, v32
	s_delay_alu instid0(VALU_DEP_1) | instskip(NEXT) | instid1(VALU_DEP_1)
	v_dual_sub_f32 v35, v34, v35 :: v_dual_add_f32 v36, 0x3f2aaaaa, v34
	v_dual_sub_f32 v32, v32, v35 :: v_dual_add_f32 v35, 0xbf2aaaaa, v36
	s_delay_alu instid0(VALU_DEP_1) | instskip(NEXT) | instid1(VALU_DEP_2)
	v_dual_add_f32 v32, 0x31739010, v32 :: v_dual_mul_f32 v37, v30, v33
	v_sub_f32_e32 v34, v34, v35
	s_delay_alu instid0(VALU_DEP_2) | instskip(NEXT) | instid1(VALU_DEP_2)
	v_fma_f32 v38, v33, v30, -v37
	v_add_f32_e32 v32, v32, v34
	s_delay_alu instid0(VALU_DEP_2) | instskip(SKIP_1) | instid1(VALU_DEP_2)
	v_fmac_f32_e32 v38, v33, v27
	v_ldexp_f32 v27, v27, 1
	v_dual_fmac_f32 v38, v31, v30 :: v_dual_add_f32 v31, v36, v32
	v_ldexp_f32 v30, v30, 1
	s_delay_alu instid0(VALU_DEP_2) | instskip(NEXT) | instid1(VALU_DEP_1)
	v_dual_add_f32 v33, v37, v38 :: v_dual_sub_f32 v34, v36, v31
	v_dual_mul_f32 v35, v33, v31 :: v_dual_add_f32 v32, v32, v34
	v_sub_f32_e32 v36, v33, v37
	s_delay_alu instid0(VALU_DEP_2) | instskip(NEXT) | instid1(VALU_DEP_2)
	v_fma_f32 v34, v33, v31, -v35
	v_sub_f32_e32 v36, v38, v36
	s_delay_alu instid0(VALU_DEP_2) | instskip(NEXT) | instid1(VALU_DEP_1)
	v_fmac_f32_e32 v34, v33, v32
	v_fmac_f32_e32 v34, v36, v31
	s_delay_alu instid0(VALU_DEP_1) | instskip(NEXT) | instid1(VALU_DEP_1)
	v_add_f32_e32 v31, v35, v34
	v_add_f32_e32 v33, v30, v31
	v_dual_sub_f32 v32, v31, v35 :: v_dual_mul_f32 v35, 0x3f317218, v26
	s_delay_alu instid0(VALU_DEP_2) | instskip(NEXT) | instid1(VALU_DEP_2)
	v_sub_f32_e32 v30, v33, v30
	v_sub_f32_e32 v32, v34, v32
	s_delay_alu instid0(VALU_DEP_3) | instskip(NEXT) | instid1(VALU_DEP_3)
	v_fma_f32 v34, 0x3f317218, v26, -v35
	v_sub_f32_e32 v30, v31, v30
	s_delay_alu instid0(VALU_DEP_2) | instskip(NEXT) | instid1(VALU_DEP_1)
	v_dual_add_f32 v27, v27, v32 :: v_dual_fmac_f32 v34, 0xb102e308, v26
	v_add_f32_e32 v26, v27, v30
	s_delay_alu instid0(VALU_DEP_2) | instskip(NEXT) | instid1(VALU_DEP_1)
	v_add_f32_e32 v27, v35, v34
	v_dual_add_f32 v30, v33, v26 :: v_dual_sub_f32 v35, v27, v35
	s_delay_alu instid0(VALU_DEP_1) | instskip(NEXT) | instid1(VALU_DEP_1)
	v_add_f32_e32 v31, v27, v30
	v_dual_sub_f32 v33, v30, v33 :: v_dual_sub_f32 v32, v31, v27
	s_delay_alu instid0(VALU_DEP_1) | instskip(SKIP_1) | instid1(VALU_DEP_2)
	v_sub_f32_e32 v36, v31, v32
	v_sub_f32_e32 v30, v30, v32
	v_dual_sub_f32 v27, v27, v36 :: v_dual_sub_f32 v34, v34, v35
	s_delay_alu instid0(VALU_DEP_1) | instskip(SKIP_1) | instid1(VALU_DEP_1)
	v_add_f32_e32 v27, v30, v27
	v_sub_f32_e32 v26, v26, v33
	v_add_f32_e32 v32, v34, v26
	s_delay_alu instid0(VALU_DEP_1) | instskip(NEXT) | instid1(VALU_DEP_1)
	v_add_f32_e32 v27, v32, v27
	v_dual_sub_f32 v30, v32, v34 :: v_dual_add_f32 v33, v31, v27
	s_delay_alu instid0(VALU_DEP_1) | instskip(NEXT) | instid1(VALU_DEP_1)
	v_dual_sub_f32 v32, v32, v30 :: v_dual_sub_f32 v31, v33, v31
	v_dual_sub_f32 v27, v27, v31 :: v_dual_sub_f32 v26, v26, v30
	s_delay_alu instid0(VALU_DEP_2) | instskip(NEXT) | instid1(VALU_DEP_1)
	v_sub_f32_e32 v30, v34, v32
	v_add_f32_e32 v26, v26, v30
	s_delay_alu instid0(VALU_DEP_1) | instskip(NEXT) | instid1(VALU_DEP_1)
	v_add_f32_e32 v26, v26, v27
	v_add_f32_e32 v27, v33, v26
	s_delay_alu instid0(VALU_DEP_1) | instskip(NEXT) | instid1(VALU_DEP_1)
	v_dual_sub_f32 v30, v27, v33 :: v_dual_mul_f32 v31, v28, v27
	v_sub_f32_e32 v26, v26, v30
	s_delay_alu instid0(VALU_DEP_2) | instskip(SKIP_1) | instid1(VALU_DEP_2)
	v_fma_f32 v27, v28, v27, -v31
	v_cmp_class_f32_e64 s4, v31, 0x204
	v_fmac_f32_e32 v27, v28, v26
	s_delay_alu instid0(VALU_DEP_1) | instskip(SKIP_1) | instid1(VALU_DEP_1)
	v_add_f32_e32 v26, v31, v27
	s_wait_alu 0xf1ff
	v_cndmask_b32_e64 v30, v26, v31, s4
	s_delay_alu instid0(VALU_DEP_1) | instskip(SKIP_1) | instid1(VALU_DEP_1)
	v_cmp_eq_f32_e64 s4, 0x42b17218, v30
	s_wait_alu 0xf1ff
	v_cndmask_b32_e64 v32, 0, 0x37000000, s4
	v_cmp_neq_f32_e64 s4, 0x7f800000, |v30|
	s_delay_alu instid0(VALU_DEP_2) | instskip(SKIP_1) | instid1(VALU_DEP_2)
	v_sub_f32_e32 v33, v30, v32
	v_sub_f32_e32 v26, v26, v31
	v_mul_f32_e32 v34, 0x3fb8aa3b, v33
	s_delay_alu instid0(VALU_DEP_2) | instskip(SKIP_2) | instid1(VALU_DEP_4)
	v_sub_f32_e32 v26, v27, v26
	v_trunc_f32_e32 v27, v28
	v_cmp_nlt_f32_e64 s5, 0x42b17218, v33
	v_fma_f32 v35, 0x3fb8aa3b, v33, -v34
	v_rndne_f32_e32 v36, v34
	s_wait_alu 0xf1ff
	v_cndmask_b32_e64 v26, 0, v26, s4
	v_cmp_ngt_f32_e64 s4, 0xc2ce8ed0, v33
	s_delay_alu instid0(VALU_DEP_3) | instskip(SKIP_1) | instid1(VALU_DEP_4)
	v_dual_fmac_f32 v35, 0x32a5705f, v33 :: v_dual_sub_f32 v34, v34, v36
	v_cvt_i32_f32_e32 v31, v36
	v_add_f32_e32 v26, v32, v26
	s_delay_alu instid0(VALU_DEP_3) | instskip(NEXT) | instid1(VALU_DEP_1)
	v_add_f32_e32 v34, v34, v35
	v_exp_f32_e32 v34, v34
	s_delay_alu instid0(TRANS32_DEP_1) | instskip(SKIP_2) | instid1(VALU_DEP_2)
	v_ldexp_f32 v31, v34, v31
	v_mul_f32_e32 v34, 0.5, v28
	s_wait_alu 0xf1ff
	v_cndmask_b32_e64 v30, 0, v31, s4
	s_delay_alu instid0(VALU_DEP_2) | instskip(SKIP_1) | instid1(VALU_DEP_3)
	v_trunc_f32_e32 v31, v34
	v_cmp_eq_f32_e64 s4, v27, v28
	v_cndmask_b32_e64 v27, 0x7f800000, v30, s5
	s_delay_alu instid0(VALU_DEP_3) | instskip(NEXT) | instid1(VALU_DEP_2)
	v_cmp_neq_f32_e64 s5, v31, v34
	v_fma_f32 v26, v27, v26, v27
	s_and_b32 s5, s4, s5
	s_wait_alu 0xfffe
	v_cndmask_b32_e64 v30, 0, v29, s5
	v_cndmask_b32_e64 v31, 1.0, v29, s5
	v_cmp_class_f32_e64 s5, v27, 0x204
	s_wait_alu 0xf1ff
	s_delay_alu instid0(VALU_DEP_1) | instskip(SKIP_2) | instid1(VALU_DEP_3)
	v_cndmask_b32_e64 v26, v26, v27, s5
	v_cmp_gt_f32_e64 s5, 0, v28
	v_cndmask_b32_e64 v27, 0x7f800000, 0, s28
	v_bfi_b32 v26, 0x7fffffff, v26, v31
	s_delay_alu instid0(VALU_DEP_1)
	v_cndmask_b32_e64 v31, 0x7fc00000, v26, s4
	s_xor_b32 s4, s5, s6
	v_cmp_class_f32_e64 s5, v29, 0x204
	s_wait_alu 0xfffe
	v_cndmask_b32_e64 v32, 0x7f800000, 0, s4
	v_cmp_neq_f32_e64 s4, |v29|, 1.0
	s_delay_alu instid0(VALU_DEP_2) | instskip(SKIP_1) | instid1(VALU_DEP_2)
	v_bfi_b32 v30, 0x7fffffff, v32, v30
	s_wait_alu 0xf1ff
	v_cndmask_b32_e64 v27, 1.0, v27, s4
	v_cmp_gt_f32_e64 s4, 0, v29
	s_wait_alu 0xf1ff
	s_delay_alu instid0(VALU_DEP_1) | instskip(SKIP_2) | instid1(VALU_DEP_1)
	v_cndmask_b32_e64 v26, v26, v31, s4
	v_cmp_class_f32_e64 s4, v28, 0x204
	s_wait_alu 0xf1ff
	v_cndmask_b32_e64 v26, v26, v27, s4
	s_or_b32 s4, s6, s5
	s_wait_alu 0xfffe
	s_delay_alu instid0(VALU_DEP_1) | instskip(SKIP_2) | instid1(VALU_DEP_1)
	v_cndmask_b32_e64 v26, v26, v30, s4
	v_cmp_o_f32_e64 s4, v29, v28
	s_wait_alu 0xf1ff
	v_cndmask_b32_e64 v28, 0x7fc00000, v26, s4
	s_delay_alu instid0(VALU_DEP_1) | instskip(NEXT) | instid1(VALU_DEP_1)
	v_bfe_u32 v26, v28, 16, 1
	v_add3_u32 v26, v28, v26, 0x7fff
	s_delay_alu instid0(VALU_DEP_1)
	v_lshrrev_b32_e32 v29, 16, v26
	v_add_co_u32 v26, s4, v3, s8
	s_wait_alu 0xf1ff
	v_add_co_ci_u32_e64 v27, null, s9, v4, s4
	v_cmp_o_f32_e64 s4, v28, v28
	s_wait_alu 0xf1ff
	s_delay_alu instid0(VALU_DEP_1)
	v_cndmask_b32_e64 v28, 0x7fc0, v29, s4
	global_store_b16 v[26:27], v28, off
	s_or_b32 exec_lo, exec_lo, s27
	s_and_saveexec_b32 s27, s3
	s_cbranch_execz .LBB82_13
.LBB82_17:                              ;   in Loop: Header=BB82_4 Depth=1
	v_cndmask_b32_e64 v27, v25, 1.0, s7
	s_delay_alu instid0(VALU_DEP_1) | instskip(SKIP_2) | instid1(VALU_DEP_2)
	v_cmp_neq_f32_e64 s3, 0, v27
	v_cmp_neq_f32_e64 s28, v27, |v27|
	s_wait_alu 0xf1ff
	v_cndmask_b32_e64 v28, 1.0, s24, s3
	s_delay_alu instid0(VALU_DEP_1) | instskip(SKIP_2) | instid1(VALU_DEP_3)
	v_frexp_mant_f32_e64 v25, |v28|
	v_cmp_lt_f32_e64 s29, |v28|, 1.0
	v_cmp_eq_f32_e64 s6, 0, v28
	v_cmp_gt_f32_e64 s3, 0x3f2aaaab, v25
	s_xor_b32 s28, s28, s29
	v_cndmask_b32_e64 v26, 1.0, 2.0, s3
	s_delay_alu instid0(VALU_DEP_1) | instskip(NEXT) | instid1(VALU_DEP_1)
	v_mul_f32_e32 v25, v25, v26
	v_add_f32_e32 v26, 1.0, v25
	v_add_f32_e32 v30, -1.0, v25
	s_delay_alu instid0(VALU_DEP_2) | instskip(NEXT) | instid1(VALU_DEP_1)
	v_add_f32_e32 v32, -1.0, v26
	v_sub_f32_e32 v25, v25, v32
	v_rcp_f32_e32 v29, v26
	s_delay_alu instid0(TRANS32_DEP_1) | instskip(NEXT) | instid1(VALU_DEP_1)
	v_mul_f32_e32 v31, v30, v29
	v_mul_f32_e32 v33, v26, v31
	s_delay_alu instid0(VALU_DEP_1) | instskip(NEXT) | instid1(VALU_DEP_1)
	v_fma_f32 v26, v31, v26, -v33
	v_fmac_f32_e32 v26, v31, v25
	s_delay_alu instid0(VALU_DEP_1) | instskip(NEXT) | instid1(VALU_DEP_1)
	v_add_f32_e32 v25, v33, v26
	v_sub_f32_e32 v32, v30, v25
	s_delay_alu instid0(VALU_DEP_1) | instskip(NEXT) | instid1(VALU_DEP_1)
	v_dual_sub_f32 v33, v25, v33 :: v_dual_sub_f32 v30, v30, v32
	v_dual_sub_f32 v26, v33, v26 :: v_dual_sub_f32 v25, v30, v25
	s_delay_alu instid0(VALU_DEP_1) | instskip(NEXT) | instid1(VALU_DEP_1)
	v_add_f32_e32 v25, v26, v25
	v_add_f32_e32 v25, v32, v25
	s_delay_alu instid0(VALU_DEP_1) | instskip(NEXT) | instid1(VALU_DEP_1)
	v_mul_f32_e32 v25, v29, v25
	v_add_f32_e32 v29, v31, v25
	s_delay_alu instid0(VALU_DEP_1) | instskip(NEXT) | instid1(VALU_DEP_1)
	v_sub_f32_e32 v26, v29, v31
	v_sub_f32_e32 v31, v25, v26
	s_delay_alu instid0(VALU_DEP_1) | instskip(NEXT) | instid1(VALU_DEP_1)
	v_dual_mul_f32 v30, v29, v29 :: v_dual_add_f32 v25, v31, v31
	v_fma_f32 v32, v29, v29, -v30
	s_delay_alu instid0(VALU_DEP_1) | instskip(SKIP_1) | instid1(VALU_DEP_2)
	v_fmac_f32_e32 v32, v29, v25
	v_cvt_f64_f32_e64 v[25:26], |v28|
	v_add_f32_e32 v33, v30, v32
	s_delay_alu instid0(VALU_DEP_1) | instskip(SKIP_1) | instid1(VALU_DEP_2)
	v_fmaak_f32 v34, s26, v33, 0x3e91f4c4
	v_sub_f32_e32 v30, v33, v30
	v_fmaak_f32 v34, v33, v34, 0x3ecccdef
	s_delay_alu instid0(VALU_DEP_2) | instskip(NEXT) | instid1(VALU_DEP_2)
	v_sub_f32_e32 v30, v32, v30
	v_mul_f32_e32 v35, v33, v34
	s_delay_alu instid0(VALU_DEP_1) | instskip(NEXT) | instid1(VALU_DEP_1)
	v_fma_f32 v32, v33, v34, -v35
	v_dual_fmac_f32 v32, v30, v34 :: v_dual_mul_f32 v37, v29, v33
	s_delay_alu instid0(VALU_DEP_1) | instskip(SKIP_1) | instid1(VALU_DEP_2)
	v_add_f32_e32 v34, v35, v32
	v_frexp_exp_i32_f64_e32 v25, v[25:26]
	v_sub_f32_e32 v35, v34, v35
	s_delay_alu instid0(VALU_DEP_1) | instskip(SKIP_1) | instid1(VALU_DEP_1)
	v_sub_f32_e32 v26, v32, v35
	v_fma_f32 v35, v33, v29, -v37
	v_dual_add_f32 v36, 0x3f2aaaaa, v34 :: v_dual_fmac_f32 v35, v33, v31
	s_delay_alu instid0(VALU_DEP_1) | instskip(SKIP_1) | instid1(VALU_DEP_3)
	v_add_f32_e32 v32, 0xbf2aaaaa, v36
	v_ldexp_f32 v31, v31, 1
	v_dual_fmac_f32 v35, v30, v29 :: v_dual_add_f32 v26, 0x31739010, v26
	s_delay_alu instid0(VALU_DEP_3) | instskip(NEXT) | instid1(VALU_DEP_1)
	v_sub_f32_e32 v32, v34, v32
	v_add_f32_e32 v26, v26, v32
	s_delay_alu instid0(VALU_DEP_1) | instskip(NEXT) | instid1(VALU_DEP_1)
	v_add_f32_e32 v30, v36, v26
	v_sub_f32_e32 v33, v36, v30
	v_subrev_co_ci_u32_e64 v25, null, 0, v25, s3
	s_delay_alu instid0(VALU_DEP_2) | instskip(NEXT) | instid1(VALU_DEP_2)
	v_add_f32_e32 v26, v26, v33
	v_cvt_f32_i32_e32 v25, v25
	v_add_f32_e32 v32, v37, v35
	s_delay_alu instid0(VALU_DEP_1) | instskip(SKIP_1) | instid1(VALU_DEP_2)
	v_mul_f32_e32 v34, v32, v30
	v_sub_f32_e32 v36, v32, v37
	v_fma_f32 v33, v32, v30, -v34
	s_delay_alu instid0(VALU_DEP_2) | instskip(NEXT) | instid1(VALU_DEP_2)
	v_sub_f32_e32 v35, v35, v36
	v_fmac_f32_e32 v33, v32, v26
	v_ldexp_f32 v26, v29, 1
	s_delay_alu instid0(VALU_DEP_2) | instskip(NEXT) | instid1(VALU_DEP_1)
	v_fmac_f32_e32 v33, v35, v30
	v_add_f32_e32 v29, v34, v33
	s_delay_alu instid0(VALU_DEP_1) | instskip(SKIP_2) | instid1(VALU_DEP_3)
	v_add_f32_e32 v30, v26, v29
	v_sub_f32_e32 v32, v29, v34
	v_mul_f32_e32 v34, 0x3f317218, v25
	v_sub_f32_e32 v26, v30, v26
	s_delay_alu instid0(VALU_DEP_3) | instskip(NEXT) | instid1(VALU_DEP_3)
	v_sub_f32_e32 v32, v33, v32
	v_fma_f32 v33, 0x3f317218, v25, -v34
	s_delay_alu instid0(VALU_DEP_2) | instskip(NEXT) | instid1(VALU_DEP_2)
	v_dual_sub_f32 v26, v29, v26 :: v_dual_add_f32 v29, v31, v32
	v_fmac_f32_e32 v33, 0xb102e308, v25
	s_delay_alu instid0(VALU_DEP_2) | instskip(NEXT) | instid1(VALU_DEP_1)
	v_add_f32_e32 v25, v29, v26
	v_add_f32_e32 v29, v30, v25
	s_delay_alu instid0(VALU_DEP_1) | instskip(NEXT) | instid1(VALU_DEP_1)
	v_sub_f32_e32 v30, v29, v30
	v_dual_sub_f32 v25, v25, v30 :: v_dual_add_f32 v26, v34, v33
	s_delay_alu instid0(VALU_DEP_1) | instskip(NEXT) | instid1(VALU_DEP_1)
	v_sub_f32_e32 v34, v26, v34
	v_sub_f32_e32 v33, v33, v34
	v_add_f32_e32 v31, v26, v29
	s_delay_alu instid0(VALU_DEP_2) | instskip(NEXT) | instid1(VALU_DEP_2)
	v_add_f32_e32 v30, v33, v25
	v_sub_f32_e32 v32, v31, v26
	s_delay_alu instid0(VALU_DEP_1) | instskip(NEXT) | instid1(VALU_DEP_1)
	v_sub_f32_e32 v35, v31, v32
	v_dual_sub_f32 v29, v29, v32 :: v_dual_sub_f32 v26, v26, v35
	s_delay_alu instid0(VALU_DEP_1) | instskip(NEXT) | instid1(VALU_DEP_1)
	v_dual_add_f32 v26, v29, v26 :: v_dual_sub_f32 v29, v30, v33
	v_add_f32_e32 v26, v30, v26
	s_delay_alu instid0(VALU_DEP_2) | instskip(NEXT) | instid1(VALU_DEP_2)
	v_sub_f32_e32 v30, v30, v29
	v_dual_sub_f32 v25, v25, v29 :: v_dual_add_f32 v32, v31, v26
	s_delay_alu instid0(VALU_DEP_1) | instskip(NEXT) | instid1(VALU_DEP_1)
	v_dual_sub_f32 v29, v33, v30 :: v_dual_sub_f32 v30, v32, v31
	v_dual_add_f32 v25, v25, v29 :: v_dual_sub_f32 v26, v26, v30
	s_delay_alu instid0(VALU_DEP_1) | instskip(NEXT) | instid1(VALU_DEP_1)
	v_add_f32_e32 v25, v25, v26
	v_add_f32_e32 v26, v32, v25
	s_delay_alu instid0(VALU_DEP_1) | instskip(NEXT) | instid1(VALU_DEP_1)
	v_dual_sub_f32 v29, v26, v32 :: v_dual_mul_f32 v30, v27, v26
	v_sub_f32_e32 v25, v25, v29
	s_delay_alu instid0(VALU_DEP_2) | instskip(SKIP_1) | instid1(VALU_DEP_2)
	v_fma_f32 v26, v27, v26, -v30
	v_cmp_class_f32_e64 s3, v30, 0x204
	v_fmac_f32_e32 v26, v27, v25
	s_delay_alu instid0(VALU_DEP_1) | instskip(SKIP_1) | instid1(VALU_DEP_1)
	v_add_f32_e32 v25, v30, v26
	s_wait_alu 0xf1ff
	v_cndmask_b32_e64 v29, v25, v30, s3
	s_delay_alu instid0(VALU_DEP_1) | instskip(SKIP_1) | instid1(VALU_DEP_1)
	v_cmp_eq_f32_e64 s3, 0x42b17218, v29
	s_wait_alu 0xf1ff
	v_cndmask_b32_e64 v31, 0, 0x37000000, s3
	v_cmp_neq_f32_e64 s3, 0x7f800000, |v29|
	s_delay_alu instid0(VALU_DEP_2) | instskip(SKIP_2) | instid1(VALU_DEP_3)
	v_sub_f32_e32 v32, v29, v31
	v_sub_f32_e32 v25, v25, v30
	v_trunc_f32_e32 v29, v27
	v_mul_f32_e32 v33, 0x3fb8aa3b, v32
	s_delay_alu instid0(VALU_DEP_3) | instskip(NEXT) | instid1(VALU_DEP_2)
	v_sub_f32_e32 v25, v26, v25
	v_fma_f32 v34, 0x3fb8aa3b, v32, -v33
	v_rndne_f32_e32 v35, v33
	s_wait_alu 0xf1ff
	s_delay_alu instid0(VALU_DEP_3) | instskip(SKIP_1) | instid1(VALU_DEP_3)
	v_cndmask_b32_e64 v25, 0, v25, s3
	v_cmp_ngt_f32_e64 s3, 0xc2ce8ed0, v32
	v_dual_fmac_f32 v34, 0x32a5705f, v32 :: v_dual_sub_f32 v33, v33, v35
	v_cvt_i32_f32_e32 v30, v35
	s_delay_alu instid0(VALU_DEP_4) | instskip(NEXT) | instid1(VALU_DEP_3)
	v_add_f32_e32 v25, v31, v25
	v_add_f32_e32 v33, v33, v34
	s_delay_alu instid0(VALU_DEP_1) | instskip(NEXT) | instid1(TRANS32_DEP_1)
	v_exp_f32_e32 v33, v33
	v_ldexp_f32 v26, v33, v30
	v_mul_f32_e32 v30, 0.5, v27
	s_wait_alu 0xf1ff
	s_delay_alu instid0(VALU_DEP_2) | instskip(SKIP_1) | instid1(VALU_DEP_3)
	v_cndmask_b32_e64 v26, 0, v26, s3
	v_cmp_nlt_f32_e64 s3, 0x42b17218, v32
	v_trunc_f32_e32 v33, v30
	s_wait_alu 0xf1ff
	s_delay_alu instid0(VALU_DEP_2) | instskip(SKIP_1) | instid1(VALU_DEP_3)
	v_cndmask_b32_e64 v26, 0x7f800000, v26, s3
	v_cmp_eq_f32_e64 s3, v29, v27
	v_cmp_neq_f32_e64 s4, v33, v30
	s_delay_alu instid0(VALU_DEP_3)
	v_fma_f32 v25, v26, v25, v26
	v_cmp_class_f32_e64 s5, v26, 0x204
	s_and_b32 s4, s3, s4
	s_wait_alu 0xfffe
	v_cndmask_b32_e64 v29, 1.0, v28, s4
	v_cndmask_b32_e64 v31, 0, v28, s4
	v_cndmask_b32_e64 v25, v25, v26, s5
	v_cndmask_b32_e64 v26, 0x7f800000, 0, s28
	v_cmp_gt_f32_e64 s5, 0, v27
	v_cmp_class_f32_e64 s4, v28, 0x204
	s_delay_alu instid0(VALU_DEP_4) | instskip(SKIP_3) | instid1(VALU_DEP_2)
	v_bfi_b32 v25, 0x7fffffff, v25, v29
	s_xor_b32 s5, s5, s6
	s_wait_alu 0xfffe
	v_cndmask_b32_e64 v29, 0x7f800000, 0, s5
	v_cndmask_b32_e64 v30, 0x7fc00000, v25, s3
	v_cmp_neq_f32_e64 s3, |v28|, 1.0
	s_delay_alu instid0(VALU_DEP_3) | instskip(SKIP_1) | instid1(VALU_DEP_2)
	v_bfi_b32 v29, 0x7fffffff, v29, v31
	s_wait_alu 0xf1ff
	v_cndmask_b32_e64 v26, 1.0, v26, s3
	v_cmp_gt_f32_e64 s3, 0, v28
	s_wait_alu 0xf1ff
	s_delay_alu instid0(VALU_DEP_1) | instskip(SKIP_2) | instid1(VALU_DEP_1)
	v_cndmask_b32_e64 v25, v25, v30, s3
	v_cmp_class_f32_e64 s3, v27, 0x204
	s_wait_alu 0xf1ff
	v_cndmask_b32_e64 v25, v25, v26, s3
	s_or_b32 s3, s6, s4
	s_wait_alu 0xfffe
	s_delay_alu instid0(VALU_DEP_1) | instskip(SKIP_2) | instid1(VALU_DEP_1)
	v_cndmask_b32_e64 v25, v25, v29, s3
	v_cmp_o_f32_e64 s3, v28, v27
	s_wait_alu 0xf1ff
	v_cndmask_b32_e64 v25, 0x7fc00000, v25, s3
	s_delay_alu instid0(VALU_DEP_1) | instskip(SKIP_1) | instid1(VALU_DEP_2)
	v_bfe_u32 v26, v25, 16, 1
	v_cmp_o_f32_e64 s3, v25, v25
	v_add3_u32 v26, v25, v26, 0x7fff
	s_delay_alu instid0(VALU_DEP_1) | instskip(SKIP_1) | instid1(VALU_DEP_1)
	v_lshrrev_b32_e32 v26, 16, v26
	s_wait_alu 0xf1ff
	v_cndmask_b32_e64 v27, 0x7fc0, v26, s3
	v_add_co_u32 v25, s3, v21, s8
	s_wait_alu 0xf1ff
	v_add_co_ci_u32_e64 v26, null, s9, v22, s3
	global_store_b16 v[25:26], v27, off
	s_or_b32 exec_lo, exec_lo, s27
	s_and_saveexec_b32 s6, s2
	s_cbranch_execz .LBB82_14
.LBB82_18:                              ;   in Loop: Header=BB82_4 Depth=1
	v_cndmask_b32_e64 v26, v24, 1.0, s7
	s_delay_alu instid0(VALU_DEP_1) | instskip(SKIP_2) | instid1(VALU_DEP_2)
	v_cmp_neq_f32_e64 s2, 0, v26
	v_cmp_neq_f32_e64 s27, v26, |v26|
	s_wait_alu 0xf1ff
	v_cndmask_b32_e64 v27, 1.0, s24, s2
	s_delay_alu instid0(VALU_DEP_1) | instskip(SKIP_2) | instid1(VALU_DEP_3)
	v_frexp_mant_f32_e64 v24, |v27|
	v_cmp_lt_f32_e64 s28, |v27|, 1.0
	v_cmp_eq_f32_e64 s5, 0, v27
	v_cmp_gt_f32_e64 s2, 0x3f2aaaab, v24
	s_xor_b32 s27, s27, s28
	v_cndmask_b32_e64 v25, 1.0, 2.0, s2
	s_delay_alu instid0(VALU_DEP_1) | instskip(NEXT) | instid1(VALU_DEP_1)
	v_mul_f32_e32 v24, v24, v25
	v_add_f32_e32 v25, 1.0, v24
	v_add_f32_e32 v29, -1.0, v24
	s_delay_alu instid0(VALU_DEP_2) | instskip(NEXT) | instid1(VALU_DEP_1)
	v_add_f32_e32 v31, -1.0, v25
	v_sub_f32_e32 v24, v24, v31
	v_rcp_f32_e32 v28, v25
	s_delay_alu instid0(TRANS32_DEP_1) | instskip(NEXT) | instid1(VALU_DEP_1)
	v_mul_f32_e32 v30, v29, v28
	v_mul_f32_e32 v32, v25, v30
	s_delay_alu instid0(VALU_DEP_1) | instskip(NEXT) | instid1(VALU_DEP_1)
	v_fma_f32 v25, v30, v25, -v32
	v_fmac_f32_e32 v25, v30, v24
	s_delay_alu instid0(VALU_DEP_1) | instskip(NEXT) | instid1(VALU_DEP_1)
	v_add_f32_e32 v24, v32, v25
	v_sub_f32_e32 v31, v29, v24
	s_delay_alu instid0(VALU_DEP_1) | instskip(NEXT) | instid1(VALU_DEP_1)
	v_dual_sub_f32 v32, v24, v32 :: v_dual_sub_f32 v29, v29, v31
	v_dual_sub_f32 v25, v32, v25 :: v_dual_sub_f32 v24, v29, v24
	s_delay_alu instid0(VALU_DEP_1) | instskip(NEXT) | instid1(VALU_DEP_1)
	v_add_f32_e32 v24, v25, v24
	v_add_f32_e32 v24, v31, v24
	s_delay_alu instid0(VALU_DEP_1) | instskip(NEXT) | instid1(VALU_DEP_1)
	v_mul_f32_e32 v24, v28, v24
	v_add_f32_e32 v28, v30, v24
	s_delay_alu instid0(VALU_DEP_1) | instskip(NEXT) | instid1(VALU_DEP_1)
	v_sub_f32_e32 v25, v28, v30
	v_sub_f32_e32 v30, v24, v25
	s_delay_alu instid0(VALU_DEP_1) | instskip(NEXT) | instid1(VALU_DEP_1)
	v_dual_mul_f32 v29, v28, v28 :: v_dual_add_f32 v24, v30, v30
	v_fma_f32 v31, v28, v28, -v29
	s_delay_alu instid0(VALU_DEP_1) | instskip(SKIP_1) | instid1(VALU_DEP_2)
	v_fmac_f32_e32 v31, v28, v24
	v_cvt_f64_f32_e64 v[24:25], |v27|
	v_add_f32_e32 v32, v29, v31
	s_delay_alu instid0(VALU_DEP_1) | instskip(SKIP_1) | instid1(VALU_DEP_2)
	v_fmaak_f32 v33, s26, v32, 0x3e91f4c4
	v_sub_f32_e32 v29, v32, v29
	v_fmaak_f32 v33, v32, v33, 0x3ecccdef
	s_delay_alu instid0(VALU_DEP_2) | instskip(NEXT) | instid1(VALU_DEP_2)
	v_sub_f32_e32 v29, v31, v29
	v_mul_f32_e32 v34, v32, v33
	s_delay_alu instid0(VALU_DEP_1) | instskip(NEXT) | instid1(VALU_DEP_1)
	v_fma_f32 v31, v32, v33, -v34
	v_dual_fmac_f32 v31, v29, v33 :: v_dual_mul_f32 v36, v28, v32
	s_delay_alu instid0(VALU_DEP_1) | instskip(SKIP_1) | instid1(VALU_DEP_2)
	v_add_f32_e32 v33, v34, v31
	v_frexp_exp_i32_f64_e32 v24, v[24:25]
	v_sub_f32_e32 v34, v33, v34
	s_delay_alu instid0(VALU_DEP_1) | instskip(SKIP_1) | instid1(VALU_DEP_1)
	v_sub_f32_e32 v25, v31, v34
	v_fma_f32 v34, v32, v28, -v36
	v_dual_add_f32 v35, 0x3f2aaaaa, v33 :: v_dual_fmac_f32 v34, v32, v30
	s_delay_alu instid0(VALU_DEP_1) | instskip(SKIP_1) | instid1(VALU_DEP_3)
	v_add_f32_e32 v31, 0xbf2aaaaa, v35
	v_ldexp_f32 v30, v30, 1
	v_dual_fmac_f32 v34, v29, v28 :: v_dual_add_f32 v25, 0x31739010, v25
	s_delay_alu instid0(VALU_DEP_3) | instskip(NEXT) | instid1(VALU_DEP_1)
	v_sub_f32_e32 v31, v33, v31
	v_add_f32_e32 v25, v25, v31
	s_delay_alu instid0(VALU_DEP_1) | instskip(NEXT) | instid1(VALU_DEP_1)
	v_add_f32_e32 v29, v35, v25
	v_sub_f32_e32 v32, v35, v29
	v_subrev_co_ci_u32_e64 v24, null, 0, v24, s2
	s_delay_alu instid0(VALU_DEP_2) | instskip(NEXT) | instid1(VALU_DEP_2)
	v_add_f32_e32 v25, v25, v32
	v_cvt_f32_i32_e32 v24, v24
	v_add_f32_e32 v31, v36, v34
	s_delay_alu instid0(VALU_DEP_1) | instskip(SKIP_1) | instid1(VALU_DEP_2)
	v_mul_f32_e32 v33, v31, v29
	v_sub_f32_e32 v35, v31, v36
	v_fma_f32 v32, v31, v29, -v33
	s_delay_alu instid0(VALU_DEP_2) | instskip(NEXT) | instid1(VALU_DEP_2)
	v_sub_f32_e32 v34, v34, v35
	v_fmac_f32_e32 v32, v31, v25
	v_ldexp_f32 v25, v28, 1
	s_delay_alu instid0(VALU_DEP_2) | instskip(NEXT) | instid1(VALU_DEP_1)
	v_fmac_f32_e32 v32, v34, v29
	v_add_f32_e32 v28, v33, v32
	s_delay_alu instid0(VALU_DEP_1) | instskip(SKIP_2) | instid1(VALU_DEP_3)
	v_add_f32_e32 v29, v25, v28
	v_sub_f32_e32 v31, v28, v33
	v_mul_f32_e32 v33, 0x3f317218, v24
	v_sub_f32_e32 v25, v29, v25
	s_delay_alu instid0(VALU_DEP_3) | instskip(NEXT) | instid1(VALU_DEP_3)
	v_sub_f32_e32 v31, v32, v31
	v_fma_f32 v32, 0x3f317218, v24, -v33
	s_delay_alu instid0(VALU_DEP_2) | instskip(NEXT) | instid1(VALU_DEP_2)
	v_dual_sub_f32 v25, v28, v25 :: v_dual_add_f32 v28, v30, v31
	v_fmac_f32_e32 v32, 0xb102e308, v24
	s_delay_alu instid0(VALU_DEP_2) | instskip(NEXT) | instid1(VALU_DEP_1)
	v_add_f32_e32 v24, v28, v25
	v_add_f32_e32 v28, v29, v24
	s_delay_alu instid0(VALU_DEP_1) | instskip(NEXT) | instid1(VALU_DEP_1)
	v_sub_f32_e32 v29, v28, v29
	v_dual_sub_f32 v24, v24, v29 :: v_dual_add_f32 v25, v33, v32
	s_delay_alu instid0(VALU_DEP_1) | instskip(NEXT) | instid1(VALU_DEP_1)
	v_sub_f32_e32 v33, v25, v33
	v_sub_f32_e32 v32, v32, v33
	v_add_f32_e32 v30, v25, v28
	s_delay_alu instid0(VALU_DEP_2) | instskip(NEXT) | instid1(VALU_DEP_2)
	v_add_f32_e32 v29, v32, v24
	v_sub_f32_e32 v31, v30, v25
	s_delay_alu instid0(VALU_DEP_1) | instskip(NEXT) | instid1(VALU_DEP_1)
	v_sub_f32_e32 v34, v30, v31
	v_dual_sub_f32 v28, v28, v31 :: v_dual_sub_f32 v25, v25, v34
	s_delay_alu instid0(VALU_DEP_1) | instskip(NEXT) | instid1(VALU_DEP_1)
	v_dual_add_f32 v25, v28, v25 :: v_dual_sub_f32 v28, v29, v32
	v_add_f32_e32 v25, v29, v25
	s_delay_alu instid0(VALU_DEP_2) | instskip(NEXT) | instid1(VALU_DEP_2)
	v_sub_f32_e32 v29, v29, v28
	v_dual_sub_f32 v24, v24, v28 :: v_dual_add_f32 v31, v30, v25
	s_delay_alu instid0(VALU_DEP_1) | instskip(NEXT) | instid1(VALU_DEP_1)
	v_dual_sub_f32 v28, v32, v29 :: v_dual_sub_f32 v29, v31, v30
	v_dual_add_f32 v24, v24, v28 :: v_dual_sub_f32 v25, v25, v29
	s_delay_alu instid0(VALU_DEP_1) | instskip(NEXT) | instid1(VALU_DEP_1)
	v_add_f32_e32 v24, v24, v25
	v_add_f32_e32 v25, v31, v24
	s_delay_alu instid0(VALU_DEP_1) | instskip(NEXT) | instid1(VALU_DEP_1)
	v_dual_sub_f32 v28, v25, v31 :: v_dual_mul_f32 v29, v26, v25
	v_sub_f32_e32 v24, v24, v28
	s_delay_alu instid0(VALU_DEP_2) | instskip(SKIP_1) | instid1(VALU_DEP_2)
	v_fma_f32 v25, v26, v25, -v29
	v_cmp_class_f32_e64 s2, v29, 0x204
	v_fmac_f32_e32 v25, v26, v24
	s_delay_alu instid0(VALU_DEP_1) | instskip(SKIP_1) | instid1(VALU_DEP_1)
	v_add_f32_e32 v24, v29, v25
	s_wait_alu 0xf1ff
	v_cndmask_b32_e64 v28, v24, v29, s2
	s_delay_alu instid0(VALU_DEP_1) | instskip(SKIP_1) | instid1(VALU_DEP_1)
	v_cmp_eq_f32_e64 s2, 0x42b17218, v28
	s_wait_alu 0xf1ff
	v_cndmask_b32_e64 v30, 0, 0x37000000, s2
	v_cmp_neq_f32_e64 s2, 0x7f800000, |v28|
	s_delay_alu instid0(VALU_DEP_2) | instskip(SKIP_2) | instid1(VALU_DEP_3)
	v_sub_f32_e32 v31, v28, v30
	v_sub_f32_e32 v24, v24, v29
	v_trunc_f32_e32 v28, v26
	v_mul_f32_e32 v32, 0x3fb8aa3b, v31
	s_delay_alu instid0(VALU_DEP_3) | instskip(NEXT) | instid1(VALU_DEP_2)
	v_sub_f32_e32 v24, v25, v24
	v_fma_f32 v33, 0x3fb8aa3b, v31, -v32
	v_rndne_f32_e32 v34, v32
	s_wait_alu 0xf1ff
	s_delay_alu instid0(VALU_DEP_3) | instskip(SKIP_1) | instid1(VALU_DEP_3)
	v_cndmask_b32_e64 v24, 0, v24, s2
	v_cmp_ngt_f32_e64 s2, 0xc2ce8ed0, v31
	v_dual_fmac_f32 v33, 0x32a5705f, v31 :: v_dual_sub_f32 v32, v32, v34
	v_cvt_i32_f32_e32 v29, v34
	s_delay_alu instid0(VALU_DEP_4) | instskip(NEXT) | instid1(VALU_DEP_3)
	v_add_f32_e32 v24, v30, v24
	v_add_f32_e32 v32, v32, v33
	s_delay_alu instid0(VALU_DEP_1) | instskip(NEXT) | instid1(TRANS32_DEP_1)
	v_exp_f32_e32 v32, v32
	v_ldexp_f32 v25, v32, v29
	v_mul_f32_e32 v29, 0.5, v26
	s_wait_alu 0xf1ff
	s_delay_alu instid0(VALU_DEP_2) | instskip(SKIP_1) | instid1(VALU_DEP_3)
	v_cndmask_b32_e64 v25, 0, v25, s2
	v_cmp_nlt_f32_e64 s2, 0x42b17218, v31
	v_trunc_f32_e32 v32, v29
	s_wait_alu 0xf1ff
	s_delay_alu instid0(VALU_DEP_2) | instskip(SKIP_1) | instid1(VALU_DEP_3)
	v_cndmask_b32_e64 v25, 0x7f800000, v25, s2
	v_cmp_eq_f32_e64 s2, v28, v26
	v_cmp_neq_f32_e64 s3, v32, v29
	s_delay_alu instid0(VALU_DEP_3)
	v_fma_f32 v24, v25, v24, v25
	v_cmp_class_f32_e64 s4, v25, 0x204
	s_and_b32 s3, s2, s3
	s_wait_alu 0xfffe
	v_cndmask_b32_e64 v28, 1.0, v27, s3
	v_cndmask_b32_e64 v30, 0, v27, s3
	v_cndmask_b32_e64 v24, v24, v25, s4
	;; [unrolled: 1-line block ×3, first 2 shown]
	v_cmp_gt_f32_e64 s4, 0, v26
	v_cmp_class_f32_e64 s3, v27, 0x204
	s_delay_alu instid0(VALU_DEP_4) | instskip(SKIP_3) | instid1(VALU_DEP_2)
	v_bfi_b32 v24, 0x7fffffff, v24, v28
	s_xor_b32 s4, s4, s5
	s_wait_alu 0xfffe
	v_cndmask_b32_e64 v28, 0x7f800000, 0, s4
	v_cndmask_b32_e64 v29, 0x7fc00000, v24, s2
	v_cmp_neq_f32_e64 s2, |v27|, 1.0
	s_delay_alu instid0(VALU_DEP_3) | instskip(SKIP_1) | instid1(VALU_DEP_2)
	v_bfi_b32 v28, 0x7fffffff, v28, v30
	s_wait_alu 0xf1ff
	v_cndmask_b32_e64 v25, 1.0, v25, s2
	v_cmp_gt_f32_e64 s2, 0, v27
	s_wait_alu 0xf1ff
	s_delay_alu instid0(VALU_DEP_1) | instskip(SKIP_2) | instid1(VALU_DEP_1)
	v_cndmask_b32_e64 v24, v24, v29, s2
	v_cmp_class_f32_e64 s2, v26, 0x204
	s_wait_alu 0xf1ff
	v_cndmask_b32_e64 v24, v24, v25, s2
	s_or_b32 s2, s5, s3
	s_wait_alu 0xfffe
	s_delay_alu instid0(VALU_DEP_1) | instskip(SKIP_2) | instid1(VALU_DEP_1)
	v_cndmask_b32_e64 v24, v24, v28, s2
	v_cmp_o_f32_e64 s2, v27, v26
	s_wait_alu 0xf1ff
	v_cndmask_b32_e64 v24, 0x7fc00000, v24, s2
	s_delay_alu instid0(VALU_DEP_1) | instskip(SKIP_1) | instid1(VALU_DEP_2)
	v_bfe_u32 v25, v24, 16, 1
	v_cmp_o_f32_e64 s2, v24, v24
	v_add3_u32 v25, v24, v25, 0x7fff
	s_delay_alu instid0(VALU_DEP_1) | instskip(SKIP_1) | instid1(VALU_DEP_1)
	v_lshrrev_b32_e32 v25, 16, v25
	s_wait_alu 0xf1ff
	v_cndmask_b32_e64 v26, 0x7fc0, v25, s2
	v_add_co_u32 v24, s2, v14, s8
	s_wait_alu 0xf1ff
	v_add_co_ci_u32_e64 v25, null, s9, v15, s2
	global_store_b16 v[24:25], v26, off
	s_or_b32 exec_lo, exec_lo, s6
	s_and_saveexec_b32 s5, vcc_lo
	s_cbranch_execz .LBB82_3
.LBB82_19:                              ;   in Loop: Header=BB82_4 Depth=1
	v_cndmask_b32_e64 v25, v23, 1.0, s7
	s_delay_alu instid0(VALU_DEP_1) | instskip(SKIP_3) | instid1(VALU_DEP_1)
	v_cmp_neq_f32_e32 vcc_lo, 0, v25
	v_cmp_neq_f32_e64 s6, v25, |v25|
	s_wait_alu 0xfffd
	v_cndmask_b32_e64 v26, 1.0, s24, vcc_lo
	v_frexp_mant_f32_e64 v23, |v26|
	v_cmp_lt_f32_e64 s27, |v26|, 1.0
	v_cmp_eq_f32_e64 s4, 0, v26
	s_delay_alu instid0(VALU_DEP_3) | instskip(SKIP_3) | instid1(VALU_DEP_1)
	v_cmp_gt_f32_e32 vcc_lo, 0x3f2aaaab, v23
	s_xor_b32 s6, s6, s27
	s_wait_alu 0xfffd
	v_cndmask_b32_e64 v24, 1.0, 2.0, vcc_lo
	v_mul_f32_e32 v23, v23, v24
	s_delay_alu instid0(VALU_DEP_1) | instskip(SKIP_1) | instid1(VALU_DEP_2)
	v_add_f32_e32 v24, 1.0, v23
	v_add_f32_e32 v28, -1.0, v23
	v_add_f32_e32 v30, -1.0, v24
	s_delay_alu instid0(VALU_DEP_1) | instskip(SKIP_1) | instid1(TRANS32_DEP_1)
	v_sub_f32_e32 v23, v23, v30
	v_rcp_f32_e32 v27, v24
	v_mul_f32_e32 v29, v28, v27
	s_delay_alu instid0(VALU_DEP_1) | instskip(NEXT) | instid1(VALU_DEP_1)
	v_mul_f32_e32 v31, v24, v29
	v_fma_f32 v24, v29, v24, -v31
	s_delay_alu instid0(VALU_DEP_1) | instskip(NEXT) | instid1(VALU_DEP_1)
	v_fmac_f32_e32 v24, v29, v23
	v_add_f32_e32 v23, v31, v24
	s_delay_alu instid0(VALU_DEP_1) | instskip(NEXT) | instid1(VALU_DEP_1)
	v_sub_f32_e32 v30, v28, v23
	v_dual_sub_f32 v31, v23, v31 :: v_dual_sub_f32 v28, v28, v30
	s_delay_alu instid0(VALU_DEP_1) | instskip(NEXT) | instid1(VALU_DEP_1)
	v_dual_sub_f32 v24, v31, v24 :: v_dual_sub_f32 v23, v28, v23
	v_add_f32_e32 v23, v24, v23
	s_delay_alu instid0(VALU_DEP_1) | instskip(NEXT) | instid1(VALU_DEP_1)
	v_add_f32_e32 v23, v30, v23
	v_mul_f32_e32 v23, v27, v23
	s_delay_alu instid0(VALU_DEP_1) | instskip(NEXT) | instid1(VALU_DEP_1)
	v_add_f32_e32 v27, v29, v23
	v_sub_f32_e32 v24, v27, v29
	s_delay_alu instid0(VALU_DEP_1) | instskip(NEXT) | instid1(VALU_DEP_1)
	v_sub_f32_e32 v29, v23, v24
	v_dual_mul_f32 v28, v27, v27 :: v_dual_add_f32 v23, v29, v29
	s_delay_alu instid0(VALU_DEP_1) | instskip(NEXT) | instid1(VALU_DEP_1)
	v_fma_f32 v30, v27, v27, -v28
	v_fmac_f32_e32 v30, v27, v23
	v_cvt_f64_f32_e64 v[23:24], |v26|
	s_delay_alu instid0(VALU_DEP_2) | instskip(NEXT) | instid1(VALU_DEP_1)
	v_add_f32_e32 v31, v28, v30
	v_fmaak_f32 v32, s26, v31, 0x3e91f4c4
	v_sub_f32_e32 v28, v31, v28
	s_delay_alu instid0(VALU_DEP_2) | instskip(NEXT) | instid1(VALU_DEP_2)
	v_fmaak_f32 v32, v31, v32, 0x3ecccdef
	v_sub_f32_e32 v28, v30, v28
	s_delay_alu instid0(VALU_DEP_2) | instskip(NEXT) | instid1(VALU_DEP_1)
	v_mul_f32_e32 v33, v31, v32
	v_fma_f32 v30, v31, v32, -v33
	s_delay_alu instid0(VALU_DEP_1) | instskip(NEXT) | instid1(VALU_DEP_1)
	v_dual_fmac_f32 v30, v28, v32 :: v_dual_mul_f32 v35, v27, v31
	v_add_f32_e32 v32, v33, v30
	v_frexp_exp_i32_f64_e32 v23, v[23:24]
	s_delay_alu instid0(VALU_DEP_2) | instskip(NEXT) | instid1(VALU_DEP_1)
	v_sub_f32_e32 v33, v32, v33
	v_sub_f32_e32 v24, v30, v33
	v_fma_f32 v33, v31, v27, -v35
	s_delay_alu instid0(VALU_DEP_1) | instskip(NEXT) | instid1(VALU_DEP_1)
	v_dual_add_f32 v34, 0x3f2aaaaa, v32 :: v_dual_fmac_f32 v33, v31, v29
	v_add_f32_e32 v30, 0xbf2aaaaa, v34
	v_ldexp_f32 v29, v29, 1
	s_delay_alu instid0(VALU_DEP_3) | instskip(NEXT) | instid1(VALU_DEP_3)
	v_dual_fmac_f32 v33, v28, v27 :: v_dual_add_f32 v24, 0x31739010, v24
	v_sub_f32_e32 v30, v32, v30
	s_delay_alu instid0(VALU_DEP_1) | instskip(NEXT) | instid1(VALU_DEP_1)
	v_add_f32_e32 v24, v24, v30
	v_add_f32_e32 v28, v34, v24
	s_delay_alu instid0(VALU_DEP_1) | instskip(SKIP_1) | instid1(VALU_DEP_2)
	v_sub_f32_e32 v31, v34, v28
	v_subrev_co_ci_u32_e64 v23, null, 0, v23, vcc_lo
	v_add_f32_e32 v24, v24, v31
	s_delay_alu instid0(VALU_DEP_2) | instskip(SKIP_1) | instid1(VALU_DEP_1)
	v_cvt_f32_i32_e32 v23, v23
	v_add_f32_e32 v30, v35, v33
	v_mul_f32_e32 v32, v30, v28
	v_sub_f32_e32 v34, v30, v35
	s_delay_alu instid0(VALU_DEP_2) | instskip(NEXT) | instid1(VALU_DEP_2)
	v_fma_f32 v31, v30, v28, -v32
	v_sub_f32_e32 v33, v33, v34
	s_delay_alu instid0(VALU_DEP_2) | instskip(SKIP_1) | instid1(VALU_DEP_2)
	v_fmac_f32_e32 v31, v30, v24
	v_ldexp_f32 v24, v27, 1
	v_fmac_f32_e32 v31, v33, v28
	s_delay_alu instid0(VALU_DEP_1) | instskip(NEXT) | instid1(VALU_DEP_1)
	v_add_f32_e32 v27, v32, v31
	v_add_f32_e32 v28, v24, v27
	v_sub_f32_e32 v30, v27, v32
	v_mul_f32_e32 v32, 0x3f317218, v23
	s_delay_alu instid0(VALU_DEP_3) | instskip(NEXT) | instid1(VALU_DEP_3)
	v_sub_f32_e32 v24, v28, v24
	v_sub_f32_e32 v30, v31, v30
	s_delay_alu instid0(VALU_DEP_3) | instskip(NEXT) | instid1(VALU_DEP_2)
	v_fma_f32 v31, 0x3f317218, v23, -v32
	v_dual_sub_f32 v24, v27, v24 :: v_dual_add_f32 v27, v29, v30
	s_delay_alu instid0(VALU_DEP_2) | instskip(NEXT) | instid1(VALU_DEP_2)
	v_fmac_f32_e32 v31, 0xb102e308, v23
	v_add_f32_e32 v23, v27, v24
	s_delay_alu instid0(VALU_DEP_1) | instskip(NEXT) | instid1(VALU_DEP_1)
	v_add_f32_e32 v27, v28, v23
	v_sub_f32_e32 v28, v27, v28
	s_delay_alu instid0(VALU_DEP_1) | instskip(NEXT) | instid1(VALU_DEP_1)
	v_dual_sub_f32 v23, v23, v28 :: v_dual_add_f32 v24, v32, v31
	v_sub_f32_e32 v32, v24, v32
	s_delay_alu instid0(VALU_DEP_1) | instskip(SKIP_1) | instid1(VALU_DEP_2)
	v_sub_f32_e32 v31, v31, v32
	v_add_f32_e32 v29, v24, v27
	v_add_f32_e32 v28, v31, v23
	s_delay_alu instid0(VALU_DEP_2) | instskip(NEXT) | instid1(VALU_DEP_1)
	v_sub_f32_e32 v30, v29, v24
	v_sub_f32_e32 v33, v29, v30
	s_delay_alu instid0(VALU_DEP_1) | instskip(NEXT) | instid1(VALU_DEP_1)
	v_dual_sub_f32 v27, v27, v30 :: v_dual_sub_f32 v24, v24, v33
	v_dual_add_f32 v24, v27, v24 :: v_dual_sub_f32 v27, v28, v31
	s_delay_alu instid0(VALU_DEP_1) | instskip(NEXT) | instid1(VALU_DEP_2)
	v_add_f32_e32 v24, v28, v24
	v_sub_f32_e32 v28, v28, v27
	s_delay_alu instid0(VALU_DEP_2) | instskip(NEXT) | instid1(VALU_DEP_1)
	v_dual_sub_f32 v23, v23, v27 :: v_dual_add_f32 v30, v29, v24
	v_dual_sub_f32 v27, v31, v28 :: v_dual_sub_f32 v28, v30, v29
	s_delay_alu instid0(VALU_DEP_1) | instskip(NEXT) | instid1(VALU_DEP_1)
	v_dual_add_f32 v23, v23, v27 :: v_dual_sub_f32 v24, v24, v28
	v_add_f32_e32 v23, v23, v24
	s_delay_alu instid0(VALU_DEP_1) | instskip(NEXT) | instid1(VALU_DEP_1)
	v_add_f32_e32 v24, v30, v23
	v_dual_sub_f32 v27, v24, v30 :: v_dual_mul_f32 v28, v25, v24
	s_delay_alu instid0(VALU_DEP_1) | instskip(NEXT) | instid1(VALU_DEP_2)
	v_sub_f32_e32 v23, v23, v27
	v_fma_f32 v24, v25, v24, -v28
	v_cmp_class_f32_e64 vcc_lo, v28, 0x204
	s_delay_alu instid0(VALU_DEP_2) | instskip(NEXT) | instid1(VALU_DEP_1)
	v_fmac_f32_e32 v24, v25, v23
	v_add_f32_e32 v23, v28, v24
	s_wait_alu 0xfffd
	s_delay_alu instid0(VALU_DEP_1) | instskip(NEXT) | instid1(VALU_DEP_1)
	v_cndmask_b32_e32 v27, v23, v28, vcc_lo
	v_cmp_eq_f32_e32 vcc_lo, 0x42b17218, v27
	s_wait_alu 0xfffd
	v_cndmask_b32_e64 v29, 0, 0x37000000, vcc_lo
	v_cmp_neq_f32_e64 vcc_lo, 0x7f800000, |v27|
	s_delay_alu instid0(VALU_DEP_2) | instskip(SKIP_2) | instid1(VALU_DEP_3)
	v_sub_f32_e32 v30, v27, v29
	v_sub_f32_e32 v23, v23, v28
	v_trunc_f32_e32 v27, v25
	v_mul_f32_e32 v31, 0x3fb8aa3b, v30
	s_delay_alu instid0(VALU_DEP_3) | instskip(NEXT) | instid1(VALU_DEP_2)
	v_sub_f32_e32 v23, v24, v23
	v_fma_f32 v32, 0x3fb8aa3b, v30, -v31
	v_rndne_f32_e32 v33, v31
	s_wait_alu 0xfffd
	s_delay_alu instid0(VALU_DEP_3) | instskip(SKIP_1) | instid1(VALU_DEP_3)
	v_cndmask_b32_e32 v23, 0, v23, vcc_lo
	v_cmp_ngt_f32_e32 vcc_lo, 0xc2ce8ed0, v30
	v_dual_fmac_f32 v32, 0x32a5705f, v30 :: v_dual_sub_f32 v31, v31, v33
	v_cvt_i32_f32_e32 v28, v33
	s_delay_alu instid0(VALU_DEP_4) | instskip(NEXT) | instid1(VALU_DEP_3)
	v_add_f32_e32 v23, v29, v23
	v_add_f32_e32 v31, v31, v32
	s_delay_alu instid0(VALU_DEP_1) | instskip(NEXT) | instid1(TRANS32_DEP_1)
	v_exp_f32_e32 v31, v31
	v_ldexp_f32 v24, v31, v28
	v_mul_f32_e32 v28, 0.5, v25
	s_wait_alu 0xfffd
	s_delay_alu instid0(VALU_DEP_2) | instskip(SKIP_1) | instid1(VALU_DEP_3)
	v_cndmask_b32_e32 v24, 0, v24, vcc_lo
	v_cmp_nlt_f32_e32 vcc_lo, 0x42b17218, v30
	v_trunc_f32_e32 v31, v28
	s_wait_alu 0xfffd
	s_delay_alu instid0(VALU_DEP_3) | instskip(SKIP_1) | instid1(VALU_DEP_3)
	v_cndmask_b32_e32 v24, 0x7f800000, v24, vcc_lo
	v_cmp_eq_f32_e32 vcc_lo, v27, v25
	v_cmp_neq_f32_e64 s2, v31, v28
	s_delay_alu instid0(VALU_DEP_3)
	v_fma_f32 v23, v24, v23, v24
	v_cmp_class_f32_e64 s3, v24, 0x204
	s_and_b32 s2, vcc_lo, s2
	s_wait_alu 0xfffe
	v_cndmask_b32_e64 v27, 1.0, v26, s2
	v_cndmask_b32_e64 v29, 0, v26, s2
	v_cndmask_b32_e64 v23, v23, v24, s3
	;; [unrolled: 1-line block ×3, first 2 shown]
	v_cmp_gt_f32_e64 s3, 0, v25
	v_cmp_class_f32_e64 s2, v26, 0x204
	s_delay_alu instid0(VALU_DEP_4) | instskip(SKIP_3) | instid1(VALU_DEP_2)
	v_bfi_b32 v23, 0x7fffffff, v23, v27
	s_xor_b32 s3, s3, s4
	s_wait_alu 0xfffe
	v_cndmask_b32_e64 v27, 0x7f800000, 0, s3
	v_cndmask_b32_e32 v28, 0x7fc00000, v23, vcc_lo
	v_cmp_neq_f32_e64 vcc_lo, |v26|, 1.0
	s_delay_alu instid0(VALU_DEP_3)
	v_bfi_b32 v27, 0x7fffffff, v27, v29
	s_wait_alu 0xfffd
	v_cndmask_b32_e32 v24, 1.0, v24, vcc_lo
	v_cmp_gt_f32_e32 vcc_lo, 0, v26
	s_wait_alu 0xfffd
	v_cndmask_b32_e32 v23, v23, v28, vcc_lo
	v_cmp_class_f32_e64 vcc_lo, v25, 0x204
	s_wait_alu 0xfffd
	s_delay_alu instid0(VALU_DEP_2) | instskip(SKIP_2) | instid1(VALU_DEP_1)
	v_cndmask_b32_e32 v23, v23, v24, vcc_lo
	s_or_b32 vcc_lo, s4, s2
	s_wait_alu 0xfffe
	v_cndmask_b32_e32 v23, v23, v27, vcc_lo
	v_cmp_o_f32_e32 vcc_lo, v26, v25
	s_wait_alu 0xfffd
	s_delay_alu instid0(VALU_DEP_2) | instskip(NEXT) | instid1(VALU_DEP_1)
	v_cndmask_b32_e32 v23, 0x7fc00000, v23, vcc_lo
	v_bfe_u32 v24, v23, 16, 1
	v_cmp_o_f32_e32 vcc_lo, v23, v23
	s_delay_alu instid0(VALU_DEP_2) | instskip(NEXT) | instid1(VALU_DEP_1)
	v_add3_u32 v24, v23, v24, 0x7fff
	v_lshrrev_b32_e32 v24, 16, v24
	s_wait_alu 0xfffd
	s_delay_alu instid0(VALU_DEP_1)
	v_cndmask_b32_e32 v25, 0x7fc0, v24, vcc_lo
	v_add_co_u32 v23, vcc_lo, v7, s8
	s_wait_alu 0xfffd
	v_add_co_ci_u32_e64 v24, null, s9, v8, vcc_lo
	global_store_b16 v[23:24], v25, off
	s_branch .LBB82_3
.LBB82_20:
	s_mov_b32 s2, 0
.LBB82_21:
	s_wait_alu 0xfffe
	s_and_not1_b32 vcc_lo, exec_lo, s2
	s_wait_alu 0xfffe
	s_cbranch_vccnz .LBB82_25
; %bb.22:
	v_cmp_gt_i64_e64 s2, 0x10000, s[10:11]
	v_dual_mov_b32 v2, 0 :: v_dual_lshlrev_b32 v1, 2, v0
	s_mov_b32 s25, 0
	s_and_b32 s2, s2, exec_lo
	s_cselect_b32 s23, s11, 0
	s_cselect_b32 s22, s10, 0x10000
	s_mov_b32 s2, exec_lo
	s_wait_alu 0xfffe
	v_cmpx_gt_i64_e64 s[22:23], v[1:2]
	s_cbranch_execz .LBB82_25
; %bb.23:
	s_load_b32 s0, s[0:1], 0xc5c
	v_lshlrev_b32_e32 v3, 3, v0
	s_cmp_eq_f32 s24, 1.0
	v_mov_b32_e32 v1, v2
	s_mov_b32 s29, 0x3e76c4e1
	s_delay_alu instid0(VALU_DEP_2) | instskip(NEXT) | instid1(VALU_DEP_1)
	v_add_co_u32 v8, s1, s8, v3
	v_add_co_ci_u32_e64 v9, null, s9, 0, s1
	s_cselect_b32 s26, -1, 0
	s_wait_kmcnt 0x0
	s_and_b32 s27, s0, 0xffff
	s_wait_alu 0xfffe
	s_lshl_b32 s28, s27, 3
.LBB82_24:                              ; =>This Inner Loop Header: Depth=1
	v_add_co_u32 v2, vcc_lo, s18, v8
	s_wait_alu 0xfffd
	v_add_co_ci_u32_e64 v3, null, s19, v9, vcc_lo
	v_add_co_u32 v0, vcc_lo, v0, s27
	s_wait_alu 0xfffd
	v_add_co_ci_u32_e64 v1, null, 0, v1, vcc_lo
	global_load_b64 v[2:3], v[2:3], off
	v_add_co_u32 v4, vcc_lo, s20, v8
	s_wait_alu 0xfffd
	v_add_co_ci_u32_e64 v5, null, s21, v9, vcc_lo
	v_lshlrev_b64_e32 v[6:7], 2, v[0:1]
	s_wait_loadcnt 0x0
	v_alignbit_b32 v12, v3, v2, 16
	v_and_b32_e32 v3, 0xffff0000, v3
	s_delay_alu instid0(VALU_DEP_2) | instskip(NEXT) | instid1(VALU_DEP_2)
	v_and_b32_e32 v12, 0xffff0000, v12
	v_cndmask_b32_e64 v3, v3, 1.0, s26
	v_and_b32_e32 v11, 0xffff0000, v2
	s_delay_alu instid0(VALU_DEP_3) | instskip(SKIP_1) | instid1(VALU_DEP_4)
	v_cndmask_b32_e64 v12, v12, 1.0, s26
	v_lshlrev_b32_e32 v10, 16, v2
	v_mul_f32_e32 v20, 0.5, v3
	s_delay_alu instid0(VALU_DEP_4)
	v_cndmask_b32_e64 v11, v11, 1.0, s26
	v_trunc_f32_e32 v19, v3
	v_mul_f32_e32 v25, 0.5, v12
	v_cndmask_b32_e64 v2, v10, 1.0, s26
	v_cmp_neq_f32_e64 s2, 0, v12
	v_trunc_f32_e32 v17, v11
	v_cmp_neq_f32_e64 s14, v11, |v11|
	v_cmp_gt_f32_e64 s6, 0, v11
	v_cmp_neq_f32_e32 vcc_lo, 0, v2
	v_mul_f32_e32 v16, 0.5, v2
	v_cmp_neq_f32_e64 s11, v2, |v2|
	v_trunc_f32_e32 v15, v2
	v_cmp_gt_f32_e64 s5, 0, v2
	s_wait_alu 0xfffd
	v_cndmask_b32_e64 v10, 1.0, s24, vcc_lo
	v_cmp_neq_f32_e32 vcc_lo, 0, v11
	v_trunc_f32_e32 v22, v16
	v_cmp_eq_f32_e64 s3, v17, v11
	v_cmp_eq_f32_e64 s1, v15, v2
	v_cmp_lt_f32_e64 s12, |v10|, 1.0
	s_wait_alu 0xfffd
	v_cndmask_b32_e64 v13, 1.0, s24, vcc_lo
	v_frexp_mant_f32_e64 v21, |v10|
	v_cmp_neq_f32_e64 s10, v22, v16
	v_cmp_neq_f32_e32 vcc_lo, 0, v3
	s_xor_b32 s11, s11, s12
	v_frexp_mant_f32_e64 v23, |v13|
	v_cmp_gt_f32_e64 s9, 0x3f2aaaab, v21
	v_cmp_lt_f32_e64 s15, |v13|, 1.0
	s_wait_alu 0xfffd
	v_cndmask_b32_e64 v14, 1.0, s24, vcc_lo
	v_cmp_eq_f32_e32 vcc_lo, 0, v10
	v_cmp_gt_f32_e64 s12, 0x3f2aaaab, v23
	s_wait_alu 0xf1ff
	v_cndmask_b32_e64 v27, 1.0, 2.0, s9
	v_cmp_eq_f32_e64 s0, 0, v13
	v_cndmask_b32_e64 v15, 1.0, s24, s2
	v_frexp_mant_f32_e64 v26, |v14|
	v_cndmask_b32_e64 v22, 1.0, 2.0, s12
	s_xor_b32 s5, s5, vcc_lo
	v_cmp_eq_f32_e64 s4, v19, v3
	s_wait_alu 0xfffe
	v_cndmask_b32_e64 v36, 0x7f800000, 0, s5
	s_xor_b32 s5, s14, s15
	v_dual_mul_f32 v41, v23, v22 :: v_dual_mul_f32 v40, v21, v27
	v_trunc_f32_e32 v19, v20
	v_trunc_f32_e32 v24, v12
	v_cndmask_b32_e64 v16, 0x7f800000, 0, s11
	s_delay_alu instid0(VALU_DEP_4)
	v_dual_add_f32 v47, -1.0, v41 :: v_dual_mul_f32 v18, 0.5, v11
	v_add_f32_e32 v45, -1.0, v40
	v_cmp_neq_f32_e64 s11, |v10|, 1.0
	v_frexp_mant_f32_e64 v38, |v15|
	v_cmp_gt_f32_e64 s15, 0x3f2aaaab, v26
	v_trunc_f32_e32 v17, v18
	v_cmp_gt_f32_e64 s7, 0, v3
	v_cmp_gt_f32_e64 s8, 0, v12
	v_cmp_eq_f32_e64 s2, 0, v14
	v_cvt_f64_f32_e64 v[28:29], |v10|
	v_cmp_neq_f32_e64 s13, v17, v18
	s_wait_alu 0xfffe
	v_cndmask_b32_e64 v17, 0x7f800000, 0, s5
	s_xor_b32 s5, s6, s0
	v_cvt_f64_f32_e64 v[30:31], |v13|
	s_wait_alu 0xfffe
	v_cndmask_b32_e64 v37, 0x7f800000, 0, s5
	v_cmp_eq_f32_e64 s5, 0, v15
	v_cvt_f64_f32_e64 v[32:33], |v14|
	v_cmp_neq_f32_e64 s17, v3, |v3|
	v_cmp_neq_f32_e64 s35, v12, |v12|
	v_cmp_lt_f32_e64 s36, |v14|, 1.0
	v_cmp_neq_f32_e64 s14, |v13|, 1.0
	v_trunc_f32_e32 v18, v25
	v_cmp_lt_f32_e64 s37, |v15|, 1.0
	v_cmp_neq_f32_e64 s16, v19, v20
	v_cmp_eq_f32_e64 s6, v24, v12
	v_cndmask_b32_e64 v24, 1.0, 2.0, s15
	v_cndmask_b32_e64 v16, 1.0, v16, s11
	v_cmp_gt_f32_e64 s11, 0x3f2aaaab, v38
	s_xor_b32 s7, s7, s2
	s_xor_b32 s8, s8, s5
	;; [unrolled: 1-line block ×3, first 2 shown]
	s_wait_alu 0xfffe
	v_cndmask_b32_e64 v39, 0x7f800000, 0, s7
	s_and_b32 s7, s1, s10
	s_and_b32 s10, s3, s13
	v_cndmask_b32_e64 v17, 1.0, v17, s14
	v_cmp_neq_f32_e64 s13, v18, v25
	s_xor_b32 s14, s35, s37
	v_cndmask_b32_e64 v25, 0x7f800000, 0, s8
	s_and_b32 s8, s4, s16
	v_cndmask_b32_e64 v19, 0x7f800000, 0, s17
	v_cmp_neq_f32_e64 s17, |v14|, 1.0
	v_cndmask_b32_e64 v21, 1.0, 2.0, s11
	s_wait_alu 0xfffe
	v_cndmask_b32_e64 v23, 0x7f800000, 0, s14
	v_cmp_neq_f32_e64 s14, |v15|, 1.0
	v_cndmask_b32_e64 v43, 0, v13, s10
	v_cndmask_b32_e64 v44, 0, v14, s8
	v_add_f32_e32 v46, 1.0, v40
	v_mul_f32_e32 v42, v26, v24
	v_cndmask_b32_e64 v24, 0, v10, s7
	v_cvt_f64_f32_e64 v[34:35], |v15|
	s_wait_alu 0xf1ff
	v_cndmask_b32_e64 v18, 1.0, v19, s17
	v_mul_f32_e32 v38, v38, v21
	v_add_f32_e32 v48, 1.0, v41
	v_cndmask_b32_e64 v19, 1.0, v23, s14
	v_bfi_b32 v23, 0x7fffffff, v36, v24
	v_bfi_b32 v24, 0x7fffffff, v37, v43
	;; [unrolled: 1-line block ×3, first 2 shown]
	v_add_f32_e32 v37, -1.0, v46
	v_add_f32_e32 v49, -1.0, v42
	v_rcp_f32_e32 v39, v46
	v_cndmask_b32_e64 v20, 1.0, v10, s7
	s_and_b32 s7, s6, s13
	v_add_f32_e32 v51, -1.0, v38
	s_wait_alu 0xfffe
	v_cndmask_b32_e64 v36, 0, v15, s7
	v_dual_add_f32 v43, -1.0, v48 :: v_dual_add_f32 v50, 1.0, v42
	v_rcp_f32_e32 v44, v48
	v_add_f32_e32 v52, 1.0, v38
	s_delay_alu instid0(VALU_DEP_3) | instskip(NEXT) | instid1(VALU_DEP_3)
	v_bfi_b32 v25, 0x7fffffff, v25, v36
	v_dual_sub_f32 v36, v40, v37 :: v_dual_sub_f32 v37, v41, v43
	v_rcp_f32_e32 v54, v50
	v_mul_f32_e32 v43, v45, v39
	v_add_f32_e32 v41, -1.0, v52
	v_add_f32_e32 v53, -1.0, v50
	v_rcp_f32_e32 v40, v52
	v_frexp_exp_i32_f64_e32 v28, v[28:29]
	v_frexp_exp_i32_f64_e32 v29, v[30:31]
	v_sub_f32_e32 v38, v38, v41
	v_dual_sub_f32 v42, v42, v53 :: v_dual_mul_f32 v53, v47, v44
	s_delay_alu instid0(TRANS32_DEP_2) | instskip(SKIP_3) | instid1(TRANS32_DEP_1)
	v_mul_f32_e32 v55, v49, v54
	v_frexp_exp_i32_f64_e32 v30, v[32:33]
	v_cmp_class_f32_e64 s30, v10, 0x204
	v_cndmask_b32_e64 v26, 1.0, v14, s8
	v_dual_mul_f32 v56, v48, v53 :: v_dual_mul_f32 v57, v51, v40
	v_mul_f32_e32 v58, v50, v55
	v_frexp_exp_i32_f64_e32 v34, v[34:35]
	s_or_b32 vcc_lo, vcc_lo, s30
	s_delay_alu instid0(VALU_DEP_3)
	v_fma_f32 v32, v53, v48, -v56
	v_mul_f32_e32 v41, v46, v43
	v_cndmask_b32_e64 v27, 1.0, v15, s7
	v_cndmask_b32_e64 v22, 1.0, v13, s10
	v_cmp_class_f32_e64 s31, v13, 0x204
	v_fmac_f32_e32 v32, v53, v37
	v_fma_f32 v31, v43, v46, -v41
	v_fma_f32 v46, v55, v50, -v58
	v_mul_f32_e32 v33, v52, v57
	v_cmp_class_f32_e64 s33, v14, 0x204
	v_add_f32_e32 v37, v56, v32
	v_cmp_class_f32_e64 s34, v15, 0x204
	v_fmac_f32_e32 v46, v55, v42
	v_fmac_f32_e32 v31, v43, v36
	v_fma_f32 v35, v57, v52, -v33
	v_sub_f32_e32 v50, v47, v37
	v_sub_f32_e32 v48, v37, v56
	s_or_b32 s0, s0, s31
	s_or_b32 s2, s2, s33
	v_fmac_f32_e32 v35, v57, v38
	v_add_f32_e32 v38, v58, v46
	v_add_f32_e32 v36, v41, v31
	v_subrev_co_ci_u32_e64 v28, null, 0, v28, s9
	s_delay_alu instid0(VALU_DEP_2) | instskip(NEXT) | instid1(VALU_DEP_4)
	v_dual_sub_f32 v41, v36, v41 :: v_dual_sub_f32 v42, v45, v36
	v_sub_f32_e32 v56, v38, v58
	v_subrev_co_ci_u32_e64 v29, null, 0, v29, s12
	s_delay_alu instid0(VALU_DEP_3) | instskip(SKIP_4) | instid1(VALU_DEP_3)
	v_sub_f32_e32 v31, v41, v31
	v_sub_f32_e32 v41, v47, v50
	v_dual_sub_f32 v45, v45, v42 :: v_dual_sub_f32 v32, v48, v32
	v_sub_f32_e32 v46, v56, v46
	v_subrev_co_ci_u32_e64 v30, null, 0, v30, s15
	v_sub_f32_e32 v36, v45, v36
	v_add_f32_e32 v52, v33, v35
	v_sub_f32_e32 v37, v41, v37
	v_cvt_f32_i32_e32 v28, v28
	v_cvt_f32_i32_e32 v29, v29
	v_dual_add_f32 v31, v31, v36 :: v_dual_sub_f32 v58, v49, v38
	v_sub_f32_e32 v33, v52, v33
	v_sub_f32_e32 v47, v51, v52
	v_subrev_co_ci_u32_e64 v34, null, 0, v34, s11
	s_delay_alu instid0(VALU_DEP_4) | instskip(NEXT) | instid1(VALU_DEP_4)
	v_sub_f32_e32 v48, v49, v58
	v_sub_f32_e32 v33, v33, v35
	s_delay_alu instid0(VALU_DEP_4) | instskip(SKIP_1) | instid1(VALU_DEP_4)
	v_dual_sub_f32 v41, v51, v47 :: v_dual_add_f32 v32, v32, v37
	v_cvt_f32_i32_e32 v30, v30
	v_sub_f32_e32 v38, v48, v38
	v_cvt_f32_i32_e32 v34, v34
	s_delay_alu instid0(VALU_DEP_4) | instskip(SKIP_2) | instid1(VALU_DEP_3)
	v_sub_f32_e32 v35, v41, v52
	v_add_f32_e32 v32, v50, v32
	v_add_f32_e32 v31, v42, v31
	v_dual_add_f32 v36, v46, v38 :: v_dual_add_f32 v33, v33, v35
	s_delay_alu instid0(VALU_DEP_2) | instskip(NEXT) | instid1(VALU_DEP_1)
	v_dual_mul_f32 v32, v44, v32 :: v_dual_mul_f32 v31, v39, v31
	v_dual_add_f32 v35, v58, v36 :: v_dual_add_f32 v36, v43, v31
	s_delay_alu instid0(VALU_DEP_3) | instskip(NEXT) | instid1(VALU_DEP_2)
	v_add_f32_e32 v33, v47, v33
	v_dual_mul_f32 v35, v54, v35 :: v_dual_mul_f32 v54, 0x3f317218, v34
	s_delay_alu instid0(VALU_DEP_3) | instskip(NEXT) | instid1(VALU_DEP_3)
	v_sub_f32_e32 v42, v36, v43
	v_mul_f32_e32 v33, v40, v33
	v_dual_mul_f32 v40, 0x3f317218, v29 :: v_dual_add_f32 v37, v53, v32
	s_delay_alu instid0(VALU_DEP_4) | instskip(SKIP_2) | instid1(VALU_DEP_4)
	v_dual_add_f32 v38, v55, v35 :: v_dual_mul_f32 v39, 0x3f317218, v28
	v_mul_f32_e32 v43, v36, v36
	v_ldexp_f32 v44, v36, 1
	v_mul_f32_e32 v46, v37, v37
	s_delay_alu instid0(VALU_DEP_4) | instskip(SKIP_4) | instid1(VALU_DEP_4)
	v_mul_f32_e32 v50, v38, v38
	v_dual_mul_f32 v41, 0x3f317218, v30 :: v_dual_add_f32 v48, v57, v33
	v_fma_f32 v52, 0x3f317218, v28, -v39
	v_sub_f32_e32 v45, v37, v53
	v_fma_f32 v53, 0x3f317218, v29, -v40
	v_dual_sub_f32 v31, v31, v42 :: v_dual_sub_f32 v56, v48, v57
	s_delay_alu instid0(VALU_DEP_4) | instskip(NEXT) | instid1(VALU_DEP_4)
	v_dual_fmac_f32 v52, 0xb102e308, v28 :: v_dual_sub_f32 v49, v38, v55
	v_sub_f32_e32 v32, v32, v45
	v_fma_f32 v55, 0x3f317218, v30, -v41
	v_fmac_f32_e32 v53, 0xb102e308, v29
	v_fma_f32 v28, 0x3f317218, v34, -v54
	v_mul_f32_e32 v57, v48, v48
	v_add_f32_e32 v63, v39, v52
	s_delay_alu instid0(VALU_DEP_4) | instskip(SKIP_3) | instid1(VALU_DEP_4)
	v_dual_fmac_f32 v55, 0xb102e308, v30 :: v_dual_add_f32 v64, v40, v53
	v_sub_f32_e32 v35, v35, v49
	v_fma_f32 v49, v38, v38, -v50
	v_fmac_f32_e32 v28, 0xb102e308, v34
	v_add_f32_e32 v34, v41, v55
	v_fma_f32 v45, v37, v37, -v46
	v_add_f32_e32 v61, v35, v35
	v_dual_sub_f32 v39, v63, v39 :: v_dual_sub_f32 v40, v64, v40
	v_fma_f32 v42, v36, v36, -v43
	v_ldexp_f32 v60, v32, 1
	s_delay_alu instid0(VALU_DEP_4) | instskip(SKIP_4) | instid1(VALU_DEP_4)
	v_fmac_f32_e32 v49, v38, v61
	v_add_f32_e32 v61, v54, v28
	v_add_f32_e32 v59, v32, v32
	v_dual_sub_f32 v39, v52, v39 :: v_dual_sub_f32 v40, v53, v40
	v_ldexp_f32 v30, v31, 1
	v_sub_f32_e32 v52, v61, v54
	s_delay_alu instid0(VALU_DEP_4)
	v_fmac_f32_e32 v45, v37, v59
	v_add_f32_e32 v29, v31, v31
	v_ldexp_f32 v47, v37, 1
	v_ldexp_f32 v62, v35, 1
	v_sub_f32_e32 v28, v28, v52
	v_dual_add_f32 v66, v46, v45 :: v_dual_sub_f32 v33, v33, v56
	v_fmac_f32_e32 v42, v36, v29
	v_fma_f32 v56, v48, v48, -v57
	v_ldexp_f32 v51, v38, 1
	s_delay_alu instid0(VALU_DEP_4) | instskip(SKIP_2) | instid1(VALU_DEP_3)
	v_dual_sub_f32 v46, v66, v46 :: v_dual_add_f32 v29, v33, v33
	v_ldexp_f32 v59, v33, 1
	v_ldexp_f32 v58, v48, 1
	v_dual_sub_f32 v45, v45, v46 :: v_dual_fmac_f32 v56, v48, v29
	v_add_f32_e32 v29, v50, v49
	s_delay_alu instid0(VALU_DEP_2) | instskip(NEXT) | instid1(VALU_DEP_2)
	v_dual_add_f32 v65, v43, v42 :: v_dual_add_f32 v68, v57, v56
	v_sub_f32_e32 v50, v29, v50
	v_mul_f32_e32 v70, v38, v29
	s_delay_alu instid0(VALU_DEP_3) | instskip(SKIP_1) | instid1(VALU_DEP_4)
	v_dual_mul_f32 v54, v36, v65 :: v_dual_mul_f32 v67, v37, v66
	v_sub_f32_e32 v43, v65, v43
	v_sub_f32_e32 v49, v49, v50
	s_delay_alu instid0(VALU_DEP_4) | instskip(SKIP_2) | instid1(VALU_DEP_3)
	v_fma_f32 v50, v29, v38, -v70
	v_sub_f32_e32 v41, v34, v41
	v_fma_f32 v46, v66, v37, -v67
	v_dual_fmaak_f32 v53, s29, v65, 0x3e91f4c4 :: v_dual_fmac_f32 v50, v29, v35
	s_delay_alu instid0(VALU_DEP_2) | instskip(NEXT) | instid1(VALU_DEP_2)
	v_dual_sub_f32 v41, v55, v41 :: v_dual_fmac_f32 v46, v66, v32
	v_fmaak_f32 v52, v65, v53, 0x3ecccdef
	s_delay_alu instid0(VALU_DEP_3) | instskip(NEXT) | instid1(VALU_DEP_3)
	v_dual_fmac_f32 v50, v49, v38 :: v_dual_sub_f32 v57, v68, v57
	v_dual_fmaak_f32 v55, s29, v66, 0x3e91f4c4 :: v_dual_fmac_f32 v46, v45, v37
	s_delay_alu instid0(VALU_DEP_1) | instskip(NEXT) | instid1(VALU_DEP_1)
	v_dual_sub_f32 v56, v56, v57 :: v_dual_fmaak_f32 v53, v66, v55, 0x3ecccdef
	v_mul_f32_e32 v32, v66, v53
	v_sub_f32_e32 v42, v42, v43
	v_fma_f32 v43, v65, v36, -v54
	s_delay_alu instid0(VALU_DEP_3) | instskip(NEXT) | instid1(VALU_DEP_2)
	v_fma_f32 v37, v66, v53, -v32
	v_fmac_f32_e32 v43, v65, v31
	v_mul_f32_e32 v31, v65, v52
	s_delay_alu instid0(VALU_DEP_2) | instskip(NEXT) | instid1(VALU_DEP_2)
	v_fmac_f32_e32 v43, v42, v36
	v_fma_f32 v36, v65, v52, -v31
	s_delay_alu instid0(VALU_DEP_2) | instskip(NEXT) | instid1(VALU_DEP_1)
	v_dual_fmaak_f32 v69, s29, v29, 0x3e91f4c4 :: v_dual_add_f32 v38, v54, v43
	v_dual_fmac_f32 v36, v42, v52 :: v_dual_fmaak_f32 v69, v29, v69, 0x3ecccdef
	v_dual_fmaak_f32 v55, s29, v68, 0x3e91f4c4 :: v_dual_add_f32 v42, v67, v46
	s_delay_alu instid0(VALU_DEP_2) | instskip(SKIP_1) | instid1(VALU_DEP_2)
	v_dual_add_f32 v52, v31, v36 :: v_dual_mul_f32 v35, v29, v69
	v_fmac_f32_e32 v37, v45, v53
	v_fma_f32 v29, v29, v69, -v35
	s_delay_alu instid0(VALU_DEP_1) | instskip(SKIP_1) | instid1(VALU_DEP_4)
	v_fmac_f32_e32 v29, v49, v69
	v_mul_f32_e32 v71, v48, v68
	v_dual_sub_f32 v49, v38, v54 :: v_dual_add_f32 v54, v32, v37
	s_delay_alu instid0(VALU_DEP_2) | instskip(NEXT) | instid1(VALU_DEP_2)
	v_fma_f32 v57, v68, v48, -v71
	v_dual_sub_f32 v32, v54, v32 :: v_dual_fmaak_f32 v55, v68, v55, 0x3ecccdef
	s_delay_alu instid0(VALU_DEP_1) | instskip(NEXT) | instid1(VALU_DEP_1)
	v_dual_sub_f32 v32, v37, v32 :: v_dual_fmac_f32 v57, v68, v33
	v_dual_mul_f32 v33, v68, v55 :: v_dual_add_f32 v32, 0x31739010, v32
	s_delay_alu instid0(VALU_DEP_2) | instskip(NEXT) | instid1(VALU_DEP_2)
	v_fmac_f32_e32 v57, v56, v48
	v_fma_f32 v45, v68, v55, -v33
	s_delay_alu instid0(VALU_DEP_1) | instskip(NEXT) | instid1(VALU_DEP_1)
	v_dual_add_f32 v48, v70, v50 :: v_dual_fmac_f32 v45, v56, v55
	v_dual_sub_f32 v55, v48, v70 :: v_dual_add_f32 v56, v35, v29
	s_delay_alu instid0(VALU_DEP_1) | instskip(SKIP_1) | instid1(VALU_DEP_1)
	v_dual_sub_f32 v50, v50, v55 :: v_dual_add_f32 v55, 0x3f2aaaaa, v56
	v_sub_f32_e32 v53, v42, v67
	v_dual_sub_f32 v31, v52, v31 :: v_dual_sub_f32 v46, v46, v53
	v_add_f32_e32 v53, 0x3f2aaaaa, v54
	s_delay_alu instid0(VALU_DEP_2) | instskip(NEXT) | instid1(VALU_DEP_2)
	v_sub_f32_e32 v31, v36, v31
	v_add_f32_e32 v37, 0xbf2aaaaa, v53
	s_delay_alu instid0(VALU_DEP_2) | instskip(NEXT) | instid1(VALU_DEP_2)
	v_add_f32_e32 v31, 0x31739010, v31
	v_sub_f32_e32 v37, v54, v37
	s_delay_alu instid0(VALU_DEP_1) | instskip(SKIP_1) | instid1(VALU_DEP_2)
	v_add_f32_e32 v32, v32, v37
	v_add_f32_e32 v65, v71, v57
	;; [unrolled: 1-line block ×3, first 2 shown]
	s_delay_alu instid0(VALU_DEP_2) | instskip(SKIP_1) | instid1(VALU_DEP_1)
	v_dual_sub_f32 v66, v65, v71 :: v_dual_sub_f32 v43, v43, v49
	v_add_f32_e32 v49, 0x3f2aaaaa, v52
	v_dual_sub_f32 v57, v57, v66 :: v_dual_add_f32 v36, 0xbf2aaaaa, v49
	s_delay_alu instid0(VALU_DEP_1) | instskip(SKIP_3) | instid1(VALU_DEP_4)
	v_sub_f32_e32 v36, v52, v36
	v_sub_f32_e32 v52, v53, v37
	v_add_f32_e32 v67, v33, v45
	v_mul_f32_e32 v53, v42, v37
	v_add_f32_e32 v31, v31, v36
	s_delay_alu instid0(VALU_DEP_4) | instskip(NEXT) | instid1(VALU_DEP_4)
	v_add_f32_e32 v32, v32, v52
	v_dual_add_f32 v66, 0x3f2aaaaa, v67 :: v_dual_sub_f32 v33, v67, v33
	s_delay_alu instid0(VALU_DEP_4) | instskip(NEXT) | instid1(VALU_DEP_2)
	v_fma_f32 v52, v42, v37, -v53
	v_sub_f32_e32 v33, v45, v33
	s_delay_alu instid0(VALU_DEP_2) | instskip(NEXT) | instid1(VALU_DEP_2)
	v_dual_add_f32 v45, 0xbf2aaaaa, v66 :: v_dual_fmac_f32 v52, v42, v32
	v_add_f32_e32 v33, 0x31739010, v33
	s_delay_alu instid0(VALU_DEP_2) | instskip(NEXT) | instid1(VALU_DEP_1)
	v_sub_f32_e32 v36, v67, v45
	v_dual_fmac_f32 v52, v46, v37 :: v_dual_add_f32 v33, v33, v36
	s_delay_alu instid0(VALU_DEP_1) | instskip(NEXT) | instid1(VALU_DEP_1)
	v_add_f32_e32 v54, v66, v33
	v_mul_f32_e32 v67, v65, v54
	v_dual_sub_f32 v35, v56, v35 :: v_dual_sub_f32 v66, v66, v54
	s_delay_alu instid0(VALU_DEP_2) | instskip(NEXT) | instid1(VALU_DEP_2)
	v_fma_f32 v32, v65, v54, -v67
	v_sub_f32_e32 v29, v29, v35
	v_add_f32_e32 v35, 0xbf2aaaaa, v55
	s_delay_alu instid0(VALU_DEP_2) | instskip(NEXT) | instid1(VALU_DEP_2)
	v_add_f32_e32 v29, 0x31739010, v29
	v_sub_f32_e32 v35, v56, v35
	s_delay_alu instid0(VALU_DEP_1) | instskip(SKIP_1) | instid1(VALU_DEP_1)
	v_add_f32_e32 v29, v29, v35
	v_add_f32_e32 v35, v49, v31
	v_sub_f32_e32 v45, v49, v35
	v_mul_f32_e32 v49, v38, v35
	s_delay_alu instid0(VALU_DEP_2) | instskip(NEXT) | instid1(VALU_DEP_2)
	v_add_f32_e32 v31, v31, v45
	v_fma_f32 v45, v38, v35, -v49
	s_delay_alu instid0(VALU_DEP_1) | instskip(SKIP_1) | instid1(VALU_DEP_2)
	v_fmac_f32_e32 v45, v38, v31
	v_add_f32_e32 v31, v33, v66
	v_fmac_f32_e32 v45, v43, v35
	s_delay_alu instid0(VALU_DEP_2) | instskip(SKIP_1) | instid1(VALU_DEP_2)
	v_fmac_f32_e32 v32, v65, v31
	v_add_f32_e32 v31, v53, v52
	v_fmac_f32_e32 v32, v57, v54
	v_add_f32_e32 v36, v55, v29
	s_delay_alu instid0(VALU_DEP_3) | instskip(SKIP_1) | instid1(VALU_DEP_4)
	v_sub_f32_e32 v37, v31, v53
	v_add_f32_e32 v38, v47, v31
	v_add_f32_e32 v42, v67, v32
	s_delay_alu instid0(VALU_DEP_4) | instskip(SKIP_2) | instid1(VALU_DEP_3)
	v_sub_f32_e32 v55, v55, v36
	v_mul_f32_e32 v56, v48, v36
	v_sub_f32_e32 v37, v52, v37
	v_add_f32_e32 v29, v29, v55
	s_delay_alu instid0(VALU_DEP_3) | instskip(NEXT) | instid1(VALU_DEP_1)
	v_fma_f32 v55, v48, v36, -v56
	v_fmac_f32_e32 v55, v48, v29
	v_dual_add_f32 v29, v49, v45 :: v_dual_add_f32 v48, v58, v42
	s_delay_alu instid0(VALU_DEP_2) | instskip(NEXT) | instid1(VALU_DEP_2)
	v_fmac_f32_e32 v55, v50, v36
	v_sub_f32_e32 v35, v29, v49
	s_delay_alu instid0(VALU_DEP_1) | instskip(NEXT) | instid1(VALU_DEP_1)
	v_dual_add_f32 v36, v44, v29 :: v_dual_sub_f32 v35, v45, v35
	v_dual_sub_f32 v44, v36, v44 :: v_dual_sub_f32 v45, v38, v47
	v_sub_f32_e32 v47, v42, v67
	s_delay_alu instid0(VALU_DEP_2) | instskip(NEXT) | instid1(VALU_DEP_3)
	v_dual_add_f32 v30, v30, v35 :: v_dual_sub_f32 v29, v29, v44
	v_sub_f32_e32 v31, v31, v45
	v_add_f32_e32 v35, v60, v37
	s_delay_alu instid0(VALU_DEP_4) | instskip(SKIP_1) | instid1(VALU_DEP_3)
	v_sub_f32_e32 v32, v32, v47
	v_sub_f32_e32 v37, v48, v58
	v_dual_add_f32 v29, v30, v29 :: v_dual_add_f32 v30, v35, v31
	s_delay_alu instid0(VALU_DEP_2) | instskip(NEXT) | instid1(VALU_DEP_2)
	v_dual_add_f32 v32, v59, v32 :: v_dual_sub_f32 v31, v42, v37
	v_add_f32_e32 v35, v36, v29
	s_delay_alu instid0(VALU_DEP_3) | instskip(NEXT) | instid1(VALU_DEP_3)
	v_add_f32_e32 v37, v38, v30
	v_add_f32_e32 v31, v32, v31
	s_delay_alu instid0(VALU_DEP_3) | instskip(SKIP_1) | instid1(VALU_DEP_4)
	v_add_f32_e32 v42, v63, v35
	v_sub_f32_e32 v36, v35, v36
	v_sub_f32_e32 v38, v37, v38
	s_delay_alu instid0(VALU_DEP_2) | instskip(NEXT) | instid1(VALU_DEP_4)
	v_dual_add_f32 v44, v48, v31 :: v_dual_sub_f32 v29, v29, v36
	v_sub_f32_e32 v36, v42, v63
	s_delay_alu instid0(VALU_DEP_2) | instskip(SKIP_1) | instid1(VALU_DEP_3)
	v_dual_sub_f32 v30, v30, v38 :: v_dual_sub_f32 v47, v44, v48
	v_add_f32_e32 v48, v61, v44
	v_sub_f32_e32 v35, v35, v36
	s_delay_alu instid0(VALU_DEP_3) | instskip(NEXT) | instid1(VALU_DEP_3)
	v_sub_f32_e32 v31, v31, v47
	v_sub_f32_e32 v47, v48, v61
	s_delay_alu instid0(VALU_DEP_1) | instskip(SKIP_1) | instid1(VALU_DEP_4)
	v_sub_f32_e32 v54, v48, v47
	v_sub_f32_e32 v44, v44, v47
	v_add_f32_e32 v47, v28, v31
	v_add_f32_e32 v33, v56, v55
	s_delay_alu instid0(VALU_DEP_1) | instskip(NEXT) | instid1(VALU_DEP_1)
	v_dual_sub_f32 v43, v33, v56 :: v_dual_add_f32 v46, v51, v33
	v_sub_f32_e32 v43, v55, v43
	s_delay_alu instid0(VALU_DEP_2) | instskip(NEXT) | instid1(VALU_DEP_2)
	v_sub_f32_e32 v49, v46, v51
	v_add_f32_e32 v43, v62, v43
	s_delay_alu instid0(VALU_DEP_2) | instskip(SKIP_1) | instid1(VALU_DEP_2)
	v_sub_f32_e32 v33, v33, v49
	v_dual_sub_f32 v49, v42, v36 :: v_dual_add_f32 v36, v39, v29
	v_add_f32_e32 v33, v43, v33
	s_delay_alu instid0(VALU_DEP_2) | instskip(NEXT) | instid1(VALU_DEP_2)
	v_dual_sub_f32 v49, v63, v49 :: v_dual_sub_f32 v52, v36, v39
	v_add_f32_e32 v32, v46, v33
	s_delay_alu instid0(VALU_DEP_2) | instskip(NEXT) | instid1(VALU_DEP_3)
	v_add_f32_e32 v35, v35, v49
	v_sub_f32_e32 v49, v36, v52
	v_sub_f32_e32 v29, v29, v52
	;; [unrolled: 1-line block ×3, first 2 shown]
	v_dual_sub_f32 v45, v32, v46 :: v_dual_add_f32 v46, v34, v32
	s_delay_alu instid0(VALU_DEP_4) | instskip(SKIP_1) | instid1(VALU_DEP_3)
	v_sub_f32_e32 v39, v39, v49
	v_add_f32_e32 v35, v36, v35
	v_sub_f32_e32 v33, v33, v45
	s_delay_alu instid0(VALU_DEP_4) | instskip(NEXT) | instid1(VALU_DEP_4)
	v_sub_f32_e32 v45, v46, v34
	v_add_f32_e32 v29, v29, v39
	s_delay_alu instid0(VALU_DEP_4) | instskip(NEXT) | instid1(VALU_DEP_3)
	v_add_f32_e32 v39, v42, v35
	v_sub_f32_e32 v51, v46, v45
	v_sub_f32_e32 v32, v32, v45
	s_delay_alu instid0(VALU_DEP_2) | instskip(NEXT) | instid1(VALU_DEP_1)
	v_dual_add_f32 v45, v41, v33 :: v_dual_sub_f32 v34, v34, v51
	v_dual_sub_f32 v51, v45, v41 :: v_dual_add_f32 v32, v32, v34
	s_delay_alu instid0(VALU_DEP_1) | instskip(SKIP_1) | instid1(VALU_DEP_3)
	v_sub_f32_e32 v34, v45, v51
	v_sub_f32_e32 v33, v33, v51
	v_add_f32_e32 v32, v45, v32
	s_delay_alu instid0(VALU_DEP_3) | instskip(NEXT) | instid1(VALU_DEP_1)
	v_sub_f32_e32 v34, v41, v34
	v_dual_add_f32 v33, v33, v34 :: v_dual_add_f32 v34, v46, v32
	v_add_f32_e32 v43, v64, v37
	s_delay_alu instid0(VALU_DEP_1) | instskip(NEXT) | instid1(VALU_DEP_1)
	v_sub_f32_e32 v38, v43, v64
	v_sub_f32_e32 v50, v43, v38
	;; [unrolled: 1-line block ×3, first 2 shown]
	v_add_f32_e32 v38, v40, v30
	s_delay_alu instid0(VALU_DEP_1) | instskip(NEXT) | instid1(VALU_DEP_1)
	v_dual_sub_f32 v50, v64, v50 :: v_dual_sub_f32 v53, v38, v40
	v_dual_add_f32 v37, v37, v50 :: v_dual_sub_f32 v50, v38, v53
	v_dual_sub_f32 v30, v30, v53 :: v_dual_sub_f32 v53, v47, v28
	s_delay_alu instid0(VALU_DEP_2) | instskip(NEXT) | instid1(VALU_DEP_3)
	v_dual_add_f32 v37, v38, v37 :: v_dual_add_f32 v38, v44, v52
	v_sub_f32_e32 v36, v40, v50
	s_delay_alu instid0(VALU_DEP_3) | instskip(SKIP_1) | instid1(VALU_DEP_4)
	v_sub_f32_e32 v40, v47, v53
	v_sub_f32_e32 v31, v31, v53
	v_add_f32_e32 v38, v47, v38
	s_delay_alu instid0(VALU_DEP_4) | instskip(NEXT) | instid1(VALU_DEP_4)
	v_add_f32_e32 v30, v30, v36
	v_sub_f32_e32 v28, v28, v40
	v_sub_f32_e32 v40, v39, v42
	;; [unrolled: 1-line block ×3, first 2 shown]
	s_delay_alu instid0(VALU_DEP_3) | instskip(NEXT) | instid1(VALU_DEP_2)
	v_dual_add_f32 v28, v31, v28 :: v_dual_add_f32 v31, v48, v38
	v_dual_sub_f32 v35, v35, v40 :: v_dual_sub_f32 v32, v32, v42
	s_delay_alu instid0(VALU_DEP_1) | instskip(NEXT) | instid1(VALU_DEP_2)
	v_dual_sub_f32 v40, v31, v48 :: v_dual_add_f32 v29, v29, v35
	v_add_f32_e32 v32, v33, v32
	s_delay_alu instid0(VALU_DEP_2) | instskip(NEXT) | instid1(VALU_DEP_1)
	v_sub_f32_e32 v35, v38, v40
	v_dual_add_f32 v33, v39, v29 :: v_dual_add_f32 v28, v28, v35
	s_delay_alu instid0(VALU_DEP_1) | instskip(NEXT) | instid1(VALU_DEP_1)
	v_dual_add_f32 v35, v34, v32 :: v_dual_sub_f32 v38, v33, v39
	v_dual_mul_f32 v39, v2, v33 :: v_dual_sub_f32 v34, v35, v34
	v_add_f32_e32 v36, v43, v37
	s_delay_alu instid0(VALU_DEP_3) | instskip(NEXT) | instid1(VALU_DEP_3)
	v_dual_mul_f32 v42, v3, v35 :: v_dual_sub_f32 v29, v29, v38
	v_fma_f32 v33, v2, v33, -v39
	s_delay_alu instid0(VALU_DEP_4) | instskip(NEXT) | instid1(VALU_DEP_4)
	v_sub_f32_e32 v32, v32, v34
	v_sub_f32_e32 v41, v36, v43
	s_delay_alu instid0(VALU_DEP_4)
	v_fma_f32 v34, v3, v35, -v42
	v_cmp_class_f32_e64 s7, v39, 0x204
	v_fmac_f32_e32 v33, v2, v29
	v_cmp_class_f32_e64 s9, v42, 0x204
	v_sub_f32_e32 v37, v37, v41
	v_add_f32_e32 v41, v31, v28
	v_fmac_f32_e32 v34, v3, v32
	s_delay_alu instid0(VALU_DEP_2) | instskip(NEXT) | instid1(VALU_DEP_1)
	v_dual_add_f32 v30, v30, v37 :: v_dual_sub_f32 v31, v41, v31
	v_add_f32_e32 v37, v36, v30
	s_delay_alu instid0(VALU_DEP_2) | instskip(NEXT) | instid1(VALU_DEP_2)
	v_sub_f32_e32 v28, v28, v31
	v_sub_f32_e32 v36, v37, v36
	v_mul_f32_e32 v40, v11, v37
	s_delay_alu instid0(VALU_DEP_2) | instskip(NEXT) | instid1(VALU_DEP_2)
	v_sub_f32_e32 v30, v30, v36
	v_fma_f32 v36, v11, v37, -v40
	v_mul_f32_e32 v37, v12, v41
	v_cmp_class_f32_e64 s8, v40, 0x204
	s_delay_alu instid0(VALU_DEP_3) | instskip(NEXT) | instid1(VALU_DEP_3)
	v_fmac_f32_e32 v36, v11, v30
	v_fma_f32 v29, v12, v41, -v37
	s_delay_alu instid0(VALU_DEP_2) | instskip(NEXT) | instid1(VALU_DEP_2)
	v_dual_add_f32 v30, v39, v33 :: v_dual_add_f32 v31, v40, v36
	v_dual_fmac_f32 v29, v12, v28 :: v_dual_add_f32 v28, v42, v34
	s_delay_alu instid0(VALU_DEP_2)
	v_sub_f32_e32 v32, v30, v39
	s_wait_alu 0xf1ff
	v_cndmask_b32_e64 v30, v30, v39, s7
	v_sub_f32_e32 v35, v31, v40
	v_cndmask_b32_e64 v31, v31, v40, s8
	v_sub_f32_e32 v39, v28, v42
	v_cndmask_b32_e64 v28, v28, v42, s9
	v_add_f32_e32 v38, v37, v29
	v_cmp_class_f32_e64 s7, v37, 0x204
	v_cmp_eq_f32_e64 s9, 0x42b17218, v31
	v_dual_sub_f32 v35, v36, v35 :: v_dual_sub_f32 v32, v33, v32
	v_cmp_eq_f32_e64 s8, 0x42b17218, v30
	v_sub_f32_e32 v40, v38, v37
	s_wait_alu 0xf1ff
	v_cndmask_b32_e64 v36, 0, 0x37000000, s9
	v_cmp_eq_f32_e64 s9, 0x42b17218, v28
	v_cndmask_b32_e64 v37, v38, v37, s7
	v_cndmask_b32_e64 v33, 0, 0x37000000, s8
	v_cmp_neq_f32_e64 s8, 0x7f800000, |v31|
	v_sub_f32_e32 v34, v34, v39
	s_wait_alu 0xf1ff
	v_cndmask_b32_e64 v38, 0, 0x37000000, s9
	v_cmp_neq_f32_e64 s9, 0x7f800000, |v30|
	v_cmp_neq_f32_e64 s7, 0x7f800000, |v28|
	v_sub_f32_e32 v30, v30, v33
	v_cndmask_b32_e64 v35, 0, v35, s8
	v_sub_f32_e32 v31, v31, v36
	s_wait_alu 0xf1ff
	v_cndmask_b32_e64 v32, 0, v32, s9
	v_cmp_eq_f32_e64 s9, 0x42b17218, v37
	v_sub_f32_e32 v29, v29, v40
	v_cmp_neq_f32_e64 s8, 0x7f800000, |v37|
	v_cndmask_b32_e64 v34, 0, v34, s7
	v_sub_f32_e32 v28, v28, v38
	s_wait_alu 0xf1ff
	v_cndmask_b32_e64 v39, 0, 0x37000000, s9
	v_dual_add_f32 v32, v33, v32 :: v_dual_mul_f32 v33, 0x3fb8aa3b, v30
	v_add_f32_e32 v35, v36, v35
	v_mul_f32_e32 v36, 0x3fb8aa3b, v31
	v_cndmask_b32_e64 v29, 0, v29, s8
	v_dual_sub_f32 v37, v37, v39 :: v_dual_add_f32 v34, v38, v34
	v_mul_f32_e32 v38, 0x3fb8aa3b, v28
	v_fma_f32 v40, 0x3fb8aa3b, v30, -v33
	v_rndne_f32_e32 v41, v33
	v_fma_f32 v42, 0x3fb8aa3b, v31, -v36
	v_rndne_f32_e32 v43, v36
	v_add_f32_e32 v29, v39, v29
	v_mul_f32_e32 v39, 0x3fb8aa3b, v37
	v_fma_f32 v44, 0x3fb8aa3b, v28, -v38
	v_rndne_f32_e32 v45, v38
	v_dual_fmac_f32 v40, 0x32a5705f, v30 :: v_dual_sub_f32 v33, v33, v41
	v_fmac_f32_e32 v42, 0x32a5705f, v31
	v_sub_f32_e32 v36, v36, v43
	v_fma_f32 v46, 0x3fb8aa3b, v37, -v39
	v_rndne_f32_e32 v47, v39
	v_fmac_f32_e32 v44, 0x32a5705f, v28
	v_dual_sub_f32 v38, v38, v45 :: v_dual_add_f32 v33, v33, v40
	v_add_f32_e32 v36, v36, v42
	s_delay_alu instid0(VALU_DEP_4) | instskip(NEXT) | instid1(VALU_DEP_3)
	v_dual_fmac_f32 v46, 0x32a5705f, v37 :: v_dual_sub_f32 v39, v39, v47
	v_add_f32_e32 v38, v38, v44
	s_delay_alu instid0(VALU_DEP_4) | instskip(NEXT) | instid1(VALU_DEP_3)
	v_exp_f32_e32 v33, v33
	v_exp_f32_e32 v36, v36
	v_cvt_i32_f32_e32 v41, v41
	v_add_f32_e32 v39, v39, v46
	v_exp_f32_e32 v38, v38
	v_cvt_i32_f32_e32 v43, v43
	v_cvt_i32_f32_e32 v45, v45
	;; [unrolled: 1-line block ×3, first 2 shown]
	v_exp_f32_e32 v39, v39
	v_cmp_ngt_f32_e64 s7, 0xc2ce8ed0, v31
	v_ldexp_f32 v33, v33, v41
	v_ldexp_f32 v36, v36, v43
	v_cmp_ngt_f32_e64 s8, 0xc2ce8ed0, v28
	v_cmp_ngt_f32_e64 s9, 0xc2ce8ed0, v30
	v_ldexp_f32 v38, v38, v45
	v_cmp_nlt_f32_e64 s10, 0x42b17218, v30
	s_wait_alu 0xf1ff
	v_cndmask_b32_e64 v36, 0, v36, s7
	v_cmp_nlt_f32_e64 s7, 0x42b17218, v31
	v_cndmask_b32_e64 v33, 0, v33, s9
	v_ldexp_f32 v31, v39, v40
	v_cmp_ngt_f32_e64 s9, 0xc2ce8ed0, v37
	v_cndmask_b32_e64 v38, 0, v38, s8
	v_cmp_nlt_f32_e64 s8, 0x42b17218, v28
	v_cndmask_b32_e64 v28, 0x7f800000, v33, s10
	s_wait_alu 0xf1ff
	v_cndmask_b32_e64 v30, 0x7f800000, v36, s7
	v_cndmask_b32_e64 v31, 0, v31, s9
	v_cmp_nlt_f32_e64 s7, 0x42b17218, v37
	v_cndmask_b32_e64 v33, 0x7f800000, v38, s8
	v_fma_f32 v32, v28, v32, v28
	v_fma_f32 v35, v30, v35, v30
	v_cmp_class_f32_e64 s8, v30, 0x204
	s_wait_alu 0xf1ff
	v_cndmask_b32_e64 v31, 0x7f800000, v31, s7
	v_fma_f32 v34, v33, v34, v33
	v_cmp_class_f32_e64 s7, v33, 0x204
	v_cmp_class_f32_e64 s9, v28, 0x204
	v_cndmask_b32_e64 v30, v35, v30, s8
	v_fma_f32 v29, v31, v29, v31
	v_cmp_class_f32_e64 s8, v31, 0x204
	s_wait_alu 0xf1ff
	v_cndmask_b32_e64 v28, v32, v28, s9
	v_cndmask_b32_e64 v32, v34, v33, s7
	v_bfi_b32 v22, 0x7fffffff, v30, v22
	s_delay_alu instid0(VALU_DEP_3) | instskip(SKIP_1) | instid1(VALU_DEP_4)
	v_bfi_b32 v20, 0x7fffffff, v28, v20
	v_cndmask_b32_e64 v28, v29, v31, s8
	v_bfi_b32 v26, 0x7fffffff, v32, v26
	s_delay_alu instid0(VALU_DEP_4)
	v_cndmask_b32_e64 v30, 0x7fc00000, v22, s3
	v_cmp_gt_f32_e64 s3, 0, v14
	v_cndmask_b32_e64 v29, 0x7fc00000, v20, s1
	v_cmp_gt_f32_e64 s1, 0, v13
	v_bfi_b32 v27, 0x7fffffff, v28, v27
	v_cndmask_b32_e64 v28, 0x7fc00000, v26, s4
	v_cmp_gt_f32_e64 s4, 0, v10
	s_wait_alu 0xf1ff
	v_cndmask_b32_e64 v22, v22, v30, s1
	v_cmp_class_f32_e64 s1, v11, 0x204
	v_cndmask_b32_e64 v26, v26, v28, s3
	v_cndmask_b32_e64 v20, v20, v29, s4
	;; [unrolled: 1-line block ×3, first 2 shown]
	v_cmp_gt_f32_e64 s4, 0, v15
	v_cmp_class_f32_e64 s3, v3, 0x204
	v_cmp_class_f32_e64 s6, v2, 0x204
	s_wait_alu 0xf1ff
	v_cndmask_b32_e64 v17, v22, v17, s1
	v_cmp_class_f32_e64 s1, v12, 0x204
	v_cndmask_b32_e64 v18, v26, v18, s3
	v_cndmask_b32_e64 v16, v20, v16, s6
	v_cndmask_b32_e64 v20, v27, v29, s4
	s_wait_alu 0xfffe
	v_cndmask_b32_e64 v17, v17, v24, s0
	s_or_b32 s0, s5, s34
	v_cndmask_b32_e32 v16, v16, v23, vcc_lo
	v_cmp_o_f32_e32 vcc_lo, v13, v11
	v_cndmask_b32_e64 v11, v20, v19, s1
	v_cndmask_b32_e64 v13, v18, v21, s2
	v_cmp_o_f32_e64 s1, v14, v3
	v_cmp_o_f32_e64 s2, v10, v2
	s_wait_alu 0xfffd
	v_cndmask_b32_e32 v3, 0x7fc00000, v17, vcc_lo
	s_wait_alu 0xfffe
	v_cndmask_b32_e64 v10, v11, v25, s0
	v_cmp_o_f32_e32 vcc_lo, v15, v12
	s_wait_alu 0xf1ff
	v_cndmask_b32_e64 v11, 0x7fc00000, v13, s1
	v_cndmask_b32_e64 v2, 0x7fc00000, v16, s2
	v_bfe_u32 v13, v3, 16, 1
	v_cmp_o_f32_e64 s0, v3, v3
	s_wait_alu 0xfffd
	v_cndmask_b32_e32 v10, 0x7fc00000, v10, vcc_lo
	v_bfe_u32 v14, v11, 16, 1
	v_bfe_u32 v12, v2, 16, 1
	v_add3_u32 v13, v3, v13, 0x7fff
	v_cmp_o_f32_e32 vcc_lo, v11, v11
	v_bfe_u32 v15, v10, 16, 1
	v_add3_u32 v14, v11, v14, 0x7fff
	v_add3_u32 v12, v2, v12, 0x7fff
	v_and_b32_e32 v13, 0xffff0000, v13
	v_cmp_o_f32_e64 s1, v2, v2
	v_add3_u32 v15, v10, v15, 0x7fff
	v_and_b32_e32 v14, 0xffff0000, v14
	v_lshrrev_b32_e32 v12, 16, v12
	s_wait_alu 0xf1ff
	v_cndmask_b32_e64 v3, 0x7fc00000, v13, s0
	v_cmp_le_i64_e64 s0, s[22:23], v[6:7]
	v_lshrrev_b32_e32 v2, 16, v15
	v_cndmask_b32_e64 v11, 0x7fc0, v12, s1
	s_wait_alu 0xfffd
	v_cndmask_b32_e32 v12, 0x7fc00000, v14, vcc_lo
	v_cmp_o_f32_e32 vcc_lo, v10, v10
	s_or_b32 s25, s0, s25
	v_or_b32_e32 v10, v11, v3
	s_wait_alu 0xfffd
	v_cndmask_b32_e32 v2, 0x7fc0, v2, vcc_lo
	v_add_co_u32 v8, vcc_lo, v8, s28
	s_wait_alu 0xfffd
	v_add_co_ci_u32_e64 v9, null, 0, v9, vcc_lo
	s_delay_alu instid0(VALU_DEP_3)
	v_or3_b32 v3, 0, v2, v12
	v_or3_b32 v2, v10, 0, 0
	global_store_b64 v[4:5], v[2:3], off
	s_wait_alu 0xfffe
	s_and_not1_b32 exec_lo, exec_lo, s25
	s_cbranch_execnz .LBB82_24
.LBB82_25:
	s_endpgm
	.section	.rodata,"a",@progbits
	.p2align	6, 0x0
	.amdhsa_kernel _ZN2at6native12_GLOBAL__N_125multi_tensor_apply_kernelINS1_18TensorListMetadataILi2EEENS1_21BinaryOpScalarFunctorIN3c108BFloat16ELi2ELi1ELi1EEEJNS1_21reverse_power_functorIfEEfEEEvT_T0_DpT1_
		.amdhsa_group_segment_fixed_size 0
		.amdhsa_private_segment_fixed_size 0
		.amdhsa_kernarg_size 3408
		.amdhsa_user_sgpr_count 2
		.amdhsa_user_sgpr_dispatch_ptr 0
		.amdhsa_user_sgpr_queue_ptr 0
		.amdhsa_user_sgpr_kernarg_segment_ptr 1
		.amdhsa_user_sgpr_dispatch_id 0
		.amdhsa_user_sgpr_private_segment_size 0
		.amdhsa_wavefront_size32 1
		.amdhsa_uses_dynamic_stack 0
		.amdhsa_enable_private_segment 0
		.amdhsa_system_sgpr_workgroup_id_x 1
		.amdhsa_system_sgpr_workgroup_id_y 0
		.amdhsa_system_sgpr_workgroup_id_z 0
		.amdhsa_system_sgpr_workgroup_info 0
		.amdhsa_system_vgpr_workitem_id 0
		.amdhsa_next_free_vgpr 72
		.amdhsa_next_free_sgpr 38
		.amdhsa_reserve_vcc 1
		.amdhsa_float_round_mode_32 0
		.amdhsa_float_round_mode_16_64 0
		.amdhsa_float_denorm_mode_32 3
		.amdhsa_float_denorm_mode_16_64 3
		.amdhsa_fp16_overflow 0
		.amdhsa_workgroup_processor_mode 1
		.amdhsa_memory_ordered 1
		.amdhsa_forward_progress 1
		.amdhsa_inst_pref_size 90
		.amdhsa_round_robin_scheduling 0
		.amdhsa_exception_fp_ieee_invalid_op 0
		.amdhsa_exception_fp_denorm_src 0
		.amdhsa_exception_fp_ieee_div_zero 0
		.amdhsa_exception_fp_ieee_overflow 0
		.amdhsa_exception_fp_ieee_underflow 0
		.amdhsa_exception_fp_ieee_inexact 0
		.amdhsa_exception_int_div_zero 0
	.end_amdhsa_kernel
	.section	.text._ZN2at6native12_GLOBAL__N_125multi_tensor_apply_kernelINS1_18TensorListMetadataILi2EEENS1_21BinaryOpScalarFunctorIN3c108BFloat16ELi2ELi1ELi1EEEJNS1_21reverse_power_functorIfEEfEEEvT_T0_DpT1_,"axG",@progbits,_ZN2at6native12_GLOBAL__N_125multi_tensor_apply_kernelINS1_18TensorListMetadataILi2EEENS1_21BinaryOpScalarFunctorIN3c108BFloat16ELi2ELi1ELi1EEEJNS1_21reverse_power_functorIfEEfEEEvT_T0_DpT1_,comdat
.Lfunc_end82:
	.size	_ZN2at6native12_GLOBAL__N_125multi_tensor_apply_kernelINS1_18TensorListMetadataILi2EEENS1_21BinaryOpScalarFunctorIN3c108BFloat16ELi2ELi1ELi1EEEJNS1_21reverse_power_functorIfEEfEEEvT_T0_DpT1_, .Lfunc_end82-_ZN2at6native12_GLOBAL__N_125multi_tensor_apply_kernelINS1_18TensorListMetadataILi2EEENS1_21BinaryOpScalarFunctorIN3c108BFloat16ELi2ELi1ELi1EEEJNS1_21reverse_power_functorIfEEfEEEvT_T0_DpT1_
                                        ; -- End function
	.set _ZN2at6native12_GLOBAL__N_125multi_tensor_apply_kernelINS1_18TensorListMetadataILi2EEENS1_21BinaryOpScalarFunctorIN3c108BFloat16ELi2ELi1ELi1EEEJNS1_21reverse_power_functorIfEEfEEEvT_T0_DpT1_.num_vgpr, 72
	.set _ZN2at6native12_GLOBAL__N_125multi_tensor_apply_kernelINS1_18TensorListMetadataILi2EEENS1_21BinaryOpScalarFunctorIN3c108BFloat16ELi2ELi1ELi1EEEJNS1_21reverse_power_functorIfEEfEEEvT_T0_DpT1_.num_agpr, 0
	.set _ZN2at6native12_GLOBAL__N_125multi_tensor_apply_kernelINS1_18TensorListMetadataILi2EEENS1_21BinaryOpScalarFunctorIN3c108BFloat16ELi2ELi1ELi1EEEJNS1_21reverse_power_functorIfEEfEEEvT_T0_DpT1_.numbered_sgpr, 38
	.set _ZN2at6native12_GLOBAL__N_125multi_tensor_apply_kernelINS1_18TensorListMetadataILi2EEENS1_21BinaryOpScalarFunctorIN3c108BFloat16ELi2ELi1ELi1EEEJNS1_21reverse_power_functorIfEEfEEEvT_T0_DpT1_.num_named_barrier, 0
	.set _ZN2at6native12_GLOBAL__N_125multi_tensor_apply_kernelINS1_18TensorListMetadataILi2EEENS1_21BinaryOpScalarFunctorIN3c108BFloat16ELi2ELi1ELi1EEEJNS1_21reverse_power_functorIfEEfEEEvT_T0_DpT1_.private_seg_size, 0
	.set _ZN2at6native12_GLOBAL__N_125multi_tensor_apply_kernelINS1_18TensorListMetadataILi2EEENS1_21BinaryOpScalarFunctorIN3c108BFloat16ELi2ELi1ELi1EEEJNS1_21reverse_power_functorIfEEfEEEvT_T0_DpT1_.uses_vcc, 1
	.set _ZN2at6native12_GLOBAL__N_125multi_tensor_apply_kernelINS1_18TensorListMetadataILi2EEENS1_21BinaryOpScalarFunctorIN3c108BFloat16ELi2ELi1ELi1EEEJNS1_21reverse_power_functorIfEEfEEEvT_T0_DpT1_.uses_flat_scratch, 0
	.set _ZN2at6native12_GLOBAL__N_125multi_tensor_apply_kernelINS1_18TensorListMetadataILi2EEENS1_21BinaryOpScalarFunctorIN3c108BFloat16ELi2ELi1ELi1EEEJNS1_21reverse_power_functorIfEEfEEEvT_T0_DpT1_.has_dyn_sized_stack, 0
	.set _ZN2at6native12_GLOBAL__N_125multi_tensor_apply_kernelINS1_18TensorListMetadataILi2EEENS1_21BinaryOpScalarFunctorIN3c108BFloat16ELi2ELi1ELi1EEEJNS1_21reverse_power_functorIfEEfEEEvT_T0_DpT1_.has_recursion, 0
	.set _ZN2at6native12_GLOBAL__N_125multi_tensor_apply_kernelINS1_18TensorListMetadataILi2EEENS1_21BinaryOpScalarFunctorIN3c108BFloat16ELi2ELi1ELi1EEEJNS1_21reverse_power_functorIfEEfEEEvT_T0_DpT1_.has_indirect_call, 0
	.section	.AMDGPU.csdata,"",@progbits
; Kernel info:
; codeLenInByte = 11504
; TotalNumSgprs: 40
; NumVgprs: 72
; ScratchSize: 0
; MemoryBound: 0
; FloatMode: 240
; IeeeMode: 1
; LDSByteSize: 0 bytes/workgroup (compile time only)
; SGPRBlocks: 0
; VGPRBlocks: 8
; NumSGPRsForWavesPerEU: 40
; NumVGPRsForWavesPerEU: 72
; Occupancy: 16
; WaveLimiterHint : 0
; COMPUTE_PGM_RSRC2:SCRATCH_EN: 0
; COMPUTE_PGM_RSRC2:USER_SGPR: 2
; COMPUTE_PGM_RSRC2:TRAP_HANDLER: 0
; COMPUTE_PGM_RSRC2:TGID_X_EN: 1
; COMPUTE_PGM_RSRC2:TGID_Y_EN: 0
; COMPUTE_PGM_RSRC2:TGID_Z_EN: 0
; COMPUTE_PGM_RSRC2:TIDIG_COMP_CNT: 0
	.section	.text._ZN2at6native12_GLOBAL__N_125multi_tensor_apply_kernelINS1_18TensorListMetadataILi1EEENS1_21BinaryOpScalarFunctorIhLi1ELi1ELi0EEEJSt5minusIhEhEEEvT_T0_DpT1_,"axG",@progbits,_ZN2at6native12_GLOBAL__N_125multi_tensor_apply_kernelINS1_18TensorListMetadataILi1EEENS1_21BinaryOpScalarFunctorIhLi1ELi1ELi0EEEJSt5minusIhEhEEEvT_T0_DpT1_,comdat
	.globl	_ZN2at6native12_GLOBAL__N_125multi_tensor_apply_kernelINS1_18TensorListMetadataILi1EEENS1_21BinaryOpScalarFunctorIhLi1ELi1ELi0EEEJSt5minusIhEhEEEvT_T0_DpT1_ ; -- Begin function _ZN2at6native12_GLOBAL__N_125multi_tensor_apply_kernelINS1_18TensorListMetadataILi1EEENS1_21BinaryOpScalarFunctorIhLi1ELi1ELi0EEEJSt5minusIhEhEEEvT_T0_DpT1_
	.p2align	8
	.type	_ZN2at6native12_GLOBAL__N_125multi_tensor_apply_kernelINS1_18TensorListMetadataILi1EEENS1_21BinaryOpScalarFunctorIhLi1ELi1ELi0EEEJSt5minusIhEhEEEvT_T0_DpT1_,@function
_ZN2at6native12_GLOBAL__N_125multi_tensor_apply_kernelINS1_18TensorListMetadataILi1EEENS1_21BinaryOpScalarFunctorIhLi1ELi1ELi0EEEJSt5minusIhEhEEEvT_T0_DpT1_: ; @_ZN2at6native12_GLOBAL__N_125multi_tensor_apply_kernelINS1_18TensorListMetadataILi1EEENS1_21BinaryOpScalarFunctorIhLi1ELi1ELi0EEEJSt5minusIhEhEEEvT_T0_DpT1_
; %bb.0:
	s_load_u8 s6, s[0:1], ttmp9 offset:0x6e0
	s_mov_b32 s2, ttmp9
	s_mov_b32 s3, 0
	s_delay_alu instid0(SALU_CYCLE_1) | instskip(SKIP_1) | instid1(SALU_CYCLE_1)
	s_mul_u64 s[4:5], s[2:3], 3
	s_add_nc_u64 s[2:3], s[0:1], s[2:3]
	s_add_nc_u64 s[2:3], s[2:3], s[4:5]
	s_load_b32 s2, s[2:3], 0x820
	s_wait_kmcnt 0x0
	s_lshl_b32 s3, s6, 3
	s_clause 0x2
	s_load_b64 s[4:5], s[0:1], s3 offset:0x370
	s_load_b64 s[6:7], s[0:1], s3 offset:0x0
	s_load_b32 s20, s[0:1], 0xd28
	s_ashr_i32 s3, s2, 31
	s_wait_kmcnt 0x0
	s_or_b32 s8, s4, s6
	s_delay_alu instid0(SALU_CYCLE_1)
	s_and_b32 s10, s8, 3
	s_lshl_b64 s[8:9], s[2:3], 16
	s_cmp_eq_u32 s10, 0
	s_sub_nc_u64 s[10:11], s[4:5], s[8:9]
	s_cbranch_scc1 .LBB83_21
; %bb.1:
	v_cmp_lt_i64_e64 s2, s[10:11], 1
	s_and_b32 vcc_lo, exec_lo, s2
	s_cbranch_vccnz .LBB83_20
; %bb.2:
	s_load_b32 s2, s[0:1], 0xd3c
	v_cmp_gt_i64_e64 s4, 0x10000, s[10:11]
	s_mov_b32 s3, 0
	v_cmp_gt_u64_e64 s14, 0x10000, s[10:11]
	s_mov_b32 s19, s3
	v_add_co_u32 v11, s5, s8, v0
	s_and_b32 s4, s4, exec_lo
	s_cselect_b32 s13, s11, 0
	s_cselect_b32 s12, s10, 0x10000
	v_add_co_ci_u32_e64 v12, null, s9, 0, s5
	s_mov_b32 s5, s3
	v_add_co_u32 v1, vcc_lo, s6, v11
	s_delay_alu instid0(VALU_DEP_1)
	v_add_co_ci_u32_e64 v2, null, s7, v12, vcc_lo
	s_wait_kmcnt 0x0
	s_and_b32 s2, s2, 0xffff
	s_and_b32 s4, s14, exec_lo
	s_mul_i32 s18, s2, 3
	s_cselect_b32 s15, s11, 0
	s_add_nc_u64 s[22:23], s[8:9], s[18:19]
	s_cselect_b32 s14, s10, 0x10000
	s_add_nc_u64 s[22:23], s[6:7], s[22:23]
	s_lshl_b32 s4, s2, 1
	v_add_co_u32 v3, s17, s22, v0
	s_delay_alu instid0(VALU_DEP_1)
	v_add_co_ci_u32_e64 v4, null, s23, 0, s17
	s_wait_alu 0xfffe
	s_add_nc_u64 s[22:23], s[8:9], s[4:5]
	v_add_co_u32 v5, s5, s18, v0
	s_wait_alu 0xfffe
	s_add_nc_u64 s[18:19], s[6:7], s[22:23]
	v_add_co_ci_u32_e64 v6, null, 0, 0, s5
	s_wait_alu 0xfffe
	v_add_co_u32 v7, s5, s18, v0
	v_add_co_u32 v9, s4, s4, v0
	s_wait_alu 0xf1ff
	v_add_co_ci_u32_e64 v8, null, s19, 0, s5
	v_add_co_ci_u32_e64 v10, null, 0, 0, s4
	s_add_nc_u64 s[4:5], s[6:7], s[2:3]
	s_lshl_b32 s16, s2, 2
	s_wait_alu 0xfffe
	v_add_co_u32 v11, vcc_lo, s4, v11
	v_add_co_u32 v13, s2, v0, s2
	s_wait_alu 0xfffd
	v_add_co_ci_u32_e64 v12, null, s5, v12, vcc_lo
	s_wait_alu 0xf1ff
	v_add_co_ci_u32_e64 v14, null, 0, 0, s2
	s_mov_b32 s17, s3
	s_mov_b64 s[18:19], 0
	s_lshr_b32 s21, s20, 16
	s_branch .LBB83_4
.LBB83_3:                               ;   in Loop: Header=BB83_4 Depth=1
	s_wait_alu 0xfffe
	s_or_b32 exec_lo, exec_lo, s2
	s_add_nc_u64 s[18:19], s[18:19], s[16:17]
	s_wait_alu 0xfffe
	v_cmp_lt_i64_e64 s2, s[18:19], s[12:13]
	s_and_b32 vcc_lo, exec_lo, s2
	s_wait_alu 0xfffe
	s_cbranch_vccz .LBB83_20
.LBB83_4:                               ; =>This Inner Loop Header: Depth=1
	s_wait_loadcnt 0x0
	s_wait_alu 0xfffe
	v_add_co_u32 v15, s2, v0, s18
	s_wait_alu 0xf1ff
	v_add_co_ci_u32_e64 v16, null, 0, s19, s2
	s_delay_alu instid0(VALU_DEP_1)
	v_cmp_gt_u64_e32 vcc_lo, s[14:15], v[15:16]
	v_mov_b32_e32 v16, 0
	s_and_saveexec_b32 s3, vcc_lo
	s_cbranch_execz .LBB83_6
; %bb.5:                                ;   in Loop: Header=BB83_4 Depth=1
	v_add_co_u32 v15, s2, v1, s18
	s_wait_alu 0xf1ff
	v_add_co_ci_u32_e64 v16, null, s19, v2, s2
	global_load_u8 v16, v[15:16], off
.LBB83_6:                               ;   in Loop: Header=BB83_4 Depth=1
	s_wait_alu 0xfffe
	s_or_b32 exec_lo, exec_lo, s3
	v_add_co_u32 v17, s2, v13, s18
	s_wait_alu 0xf1ff
	v_add_co_ci_u32_e64 v18, null, s19, v14, s2
	v_mov_b32_e32 v15, 0
	s_delay_alu instid0(VALU_DEP_2)
	v_cmp_gt_u64_e64 s2, s[14:15], v[17:18]
	v_mov_b32_e32 v17, 0
	s_and_saveexec_b32 s4, s2
	s_cbranch_execz .LBB83_8
; %bb.7:                                ;   in Loop: Header=BB83_4 Depth=1
	v_add_co_u32 v17, s3, v11, s18
	s_wait_alu 0xf1ff
	v_add_co_ci_u32_e64 v18, null, s19, v12, s3
	global_load_u8 v17, v[17:18], off
.LBB83_8:                               ;   in Loop: Header=BB83_4 Depth=1
	s_wait_alu 0xfffe
	s_or_b32 exec_lo, exec_lo, s4
	v_add_co_u32 v18, s3, v9, s18
	s_wait_alu 0xf1ff
	v_add_co_ci_u32_e64 v19, null, s19, v10, s3
	s_delay_alu instid0(VALU_DEP_1)
	v_cmp_gt_u64_e64 s3, s[14:15], v[18:19]
	s_and_saveexec_b32 s5, s3
	s_cbranch_execz .LBB83_10
; %bb.9:                                ;   in Loop: Header=BB83_4 Depth=1
	v_add_co_u32 v18, s4, v7, s18
	s_wait_alu 0xf1ff
	v_add_co_ci_u32_e64 v19, null, s19, v8, s4
	global_load_u8 v15, v[18:19], off
.LBB83_10:                              ;   in Loop: Header=BB83_4 Depth=1
	s_wait_alu 0xfffe
	s_or_b32 exec_lo, exec_lo, s5
	v_add_co_u32 v18, s4, v5, s18
	s_wait_alu 0xf1ff
	v_add_co_ci_u32_e64 v19, null, s19, v6, s4
	s_delay_alu instid0(VALU_DEP_1)
	v_cmp_gt_u64_e64 s4, s[14:15], v[18:19]
	v_mov_b32_e32 v18, 0
	s_and_saveexec_b32 s22, s4
	s_cbranch_execnz .LBB83_15
; %bb.11:                               ;   in Loop: Header=BB83_4 Depth=1
	s_wait_alu 0xfffe
	s_or_b32 exec_lo, exec_lo, s22
	s_and_saveexec_b32 s5, vcc_lo
	s_cbranch_execnz .LBB83_16
.LBB83_12:                              ;   in Loop: Header=BB83_4 Depth=1
	s_wait_alu 0xfffe
	s_or_b32 exec_lo, exec_lo, s5
	s_and_saveexec_b32 s5, s2
	s_cbranch_execnz .LBB83_17
.LBB83_13:                              ;   in Loop: Header=BB83_4 Depth=1
	s_wait_alu 0xfffe
	s_or_b32 exec_lo, exec_lo, s5
	s_and_saveexec_b32 s2, s3
	s_cbranch_execnz .LBB83_18
.LBB83_14:                              ;   in Loop: Header=BB83_4 Depth=1
	s_wait_alu 0xfffe
	s_or_b32 exec_lo, exec_lo, s2
	s_and_saveexec_b32 s2, s4
	s_cbranch_execz .LBB83_3
	s_branch .LBB83_19
.LBB83_15:                              ;   in Loop: Header=BB83_4 Depth=1
	v_add_co_u32 v18, s5, v3, s18
	s_wait_alu 0xf1ff
	v_add_co_ci_u32_e64 v19, null, s19, v4, s5
	global_load_u8 v18, v[18:19], off
	s_wait_alu 0xfffe
	s_or_b32 exec_lo, exec_lo, s22
	s_and_saveexec_b32 s5, vcc_lo
	s_cbranch_execz .LBB83_12
.LBB83_16:                              ;   in Loop: Header=BB83_4 Depth=1
	v_add_co_u32 v19, vcc_lo, v1, s18
	s_wait_loadcnt 0x0
	v_sub_nc_u16 v16, v16, s21
	s_wait_alu 0xfffd
	v_add_co_ci_u32_e64 v20, null, s19, v2, vcc_lo
	global_store_b8 v[19:20], v16, off
	s_wait_alu 0xfffe
	s_or_b32 exec_lo, exec_lo, s5
	s_and_saveexec_b32 s5, s2
	s_cbranch_execz .LBB83_13
.LBB83_17:                              ;   in Loop: Header=BB83_4 Depth=1
	s_wait_loadcnt 0x0
	v_add_co_u32 v16, vcc_lo, v11, s18
	v_sub_nc_u16 v19, v17, s21
	s_wait_alu 0xfffd
	v_add_co_ci_u32_e64 v17, null, s19, v12, vcc_lo
	global_store_b8 v[16:17], v19, off
	s_wait_alu 0xfffe
	s_or_b32 exec_lo, exec_lo, s5
	s_and_saveexec_b32 s2, s3
	s_cbranch_execz .LBB83_14
.LBB83_18:                              ;   in Loop: Header=BB83_4 Depth=1
	s_wait_loadcnt 0x0
	v_sub_nc_u16 v17, v15, s21
	v_add_co_u32 v15, vcc_lo, v7, s18
	s_wait_alu 0xfffd
	v_add_co_ci_u32_e64 v16, null, s19, v8, vcc_lo
	global_store_b8 v[15:16], v17, off
	s_wait_alu 0xfffe
	s_or_b32 exec_lo, exec_lo, s2
	s_and_saveexec_b32 s2, s4
	s_cbranch_execz .LBB83_3
.LBB83_19:                              ;   in Loop: Header=BB83_4 Depth=1
	s_wait_loadcnt 0x0
	v_add_co_u32 v15, vcc_lo, v3, s18
	v_sub_nc_u16 v17, v18, s21
	s_wait_alu 0xfffd
	v_add_co_ci_u32_e64 v16, null, s19, v4, vcc_lo
	global_store_b8 v[15:16], v17, off
	s_branch .LBB83_3
.LBB83_20:
	s_cbranch_execz .LBB83_22
	s_branch .LBB83_25
.LBB83_21:
.LBB83_22:
	v_cmp_gt_i64_e64 s2, 0x10000, s[10:11]
	v_dual_mov_b32 v3, 0 :: v_dual_lshlrev_b32 v2, 2, v0
	s_mov_b32 s4, 0
	s_mov_b32 s5, exec_lo
	s_and_b32 s2, s2, exec_lo
	s_cselect_b32 s3, s11, 0
	s_cselect_b32 s2, s10, 0x10000
	s_wait_alu 0xfffe
	v_cmpx_gt_i64_e64 s[2:3], v[2:3]
	s_cbranch_execz .LBB83_25
; %bb.23:
	s_load_b32 s5, s[0:1], 0xd3c
	s_add_nc_u64 s[0:1], s[6:7], s[8:9]
	v_mov_b32_e32 v1, v3
	v_add_co_u32 v2, s0, s0, v2
	s_wait_alu 0xf1ff
	v_add_co_ci_u32_e64 v3, null, s1, 0, s0
	s_lshr_b32 s6, s20, 16
	s_wait_kmcnt 0x0
	s_and_b32 s1, s5, 0xffff
	s_wait_alu 0xfffe
	s_lshl_b32 s5, s1, 2
.LBB83_24:                              ; =>This Inner Loop Header: Depth=1
	global_load_b32 v4, v[2:3], off
	v_add_co_u32 v0, vcc_lo, v0, s1
	s_wait_alu 0xfffd
	v_add_co_ci_u32_e64 v1, null, 0, v1, vcc_lo
	s_wait_loadcnt 0x0
	v_lshrrev_b32_e32 v5, 24, v4
	v_lshrrev_b32_e32 v6, 16, v4
	;; [unrolled: 1-line block ×3, first 2 shown]
	v_sub_nc_u16 v4, v4, s6
	s_delay_alu instid0(VALU_DEP_4) | instskip(NEXT) | instid1(VALU_DEP_4)
	v_sub_nc_u16 v5, v5, s6
	v_sub_nc_u16 v6, v6, s6
	s_delay_alu instid0(VALU_DEP_4) | instskip(NEXT) | instid1(VALU_DEP_4)
	v_sub_nc_u16 v7, v7, s6
	v_and_b32_e32 v4, 0xff, v4
	s_delay_alu instid0(VALU_DEP_4) | instskip(NEXT) | instid1(VALU_DEP_4)
	v_lshlrev_b16 v5, 8, v5
	v_and_b32_e32 v6, 0xff, v6
	s_delay_alu instid0(VALU_DEP_4) | instskip(NEXT) | instid1(VALU_DEP_2)
	v_lshlrev_b16 v7, 8, v7
	v_or_b32_e32 v5, v6, v5
	s_delay_alu instid0(VALU_DEP_2) | instskip(NEXT) | instid1(VALU_DEP_2)
	v_or_b32_e32 v4, v4, v7
	v_lshlrev_b32_e32 v6, 16, v5
	s_delay_alu instid0(VALU_DEP_2) | instskip(SKIP_1) | instid1(VALU_DEP_2)
	v_and_b32_e32 v7, 0xffff, v4
	v_lshlrev_b64_e32 v[4:5], 2, v[0:1]
	v_or_b32_e32 v6, v7, v6
	s_delay_alu instid0(VALU_DEP_2)
	v_cmp_le_i64_e32 vcc_lo, s[2:3], v[4:5]
	global_store_b32 v[2:3], v6, off
	s_wait_alu 0xfffe
	v_add_co_u32 v2, s0, v2, s5
	s_wait_alu 0xf1ff
	v_add_co_ci_u32_e64 v3, null, 0, v3, s0
	s_or_b32 s4, vcc_lo, s4
	s_wait_alu 0xfffe
	s_and_not1_b32 exec_lo, exec_lo, s4
	s_cbranch_execnz .LBB83_24
.LBB83_25:
	s_endpgm
	.section	.rodata,"a",@progbits
	.p2align	6, 0x0
	.amdhsa_kernel _ZN2at6native12_GLOBAL__N_125multi_tensor_apply_kernelINS1_18TensorListMetadataILi1EEENS1_21BinaryOpScalarFunctorIhLi1ELi1ELi0EEEJSt5minusIhEhEEEvT_T0_DpT1_
		.amdhsa_group_segment_fixed_size 0
		.amdhsa_private_segment_fixed_size 0
		.amdhsa_kernarg_size 3632
		.amdhsa_user_sgpr_count 2
		.amdhsa_user_sgpr_dispatch_ptr 0
		.amdhsa_user_sgpr_queue_ptr 0
		.amdhsa_user_sgpr_kernarg_segment_ptr 1
		.amdhsa_user_sgpr_dispatch_id 0
		.amdhsa_user_sgpr_private_segment_size 0
		.amdhsa_wavefront_size32 1
		.amdhsa_uses_dynamic_stack 0
		.amdhsa_enable_private_segment 0
		.amdhsa_system_sgpr_workgroup_id_x 1
		.amdhsa_system_sgpr_workgroup_id_y 0
		.amdhsa_system_sgpr_workgroup_id_z 0
		.amdhsa_system_sgpr_workgroup_info 0
		.amdhsa_system_vgpr_workitem_id 0
		.amdhsa_next_free_vgpr 21
		.amdhsa_next_free_sgpr 24
		.amdhsa_reserve_vcc 1
		.amdhsa_float_round_mode_32 0
		.amdhsa_float_round_mode_16_64 0
		.amdhsa_float_denorm_mode_32 3
		.amdhsa_float_denorm_mode_16_64 3
		.amdhsa_fp16_overflow 0
		.amdhsa_workgroup_processor_mode 1
		.amdhsa_memory_ordered 1
		.amdhsa_forward_progress 1
		.amdhsa_inst_pref_size 12
		.amdhsa_round_robin_scheduling 0
		.amdhsa_exception_fp_ieee_invalid_op 0
		.amdhsa_exception_fp_denorm_src 0
		.amdhsa_exception_fp_ieee_div_zero 0
		.amdhsa_exception_fp_ieee_overflow 0
		.amdhsa_exception_fp_ieee_underflow 0
		.amdhsa_exception_fp_ieee_inexact 0
		.amdhsa_exception_int_div_zero 0
	.end_amdhsa_kernel
	.section	.text._ZN2at6native12_GLOBAL__N_125multi_tensor_apply_kernelINS1_18TensorListMetadataILi1EEENS1_21BinaryOpScalarFunctorIhLi1ELi1ELi0EEEJSt5minusIhEhEEEvT_T0_DpT1_,"axG",@progbits,_ZN2at6native12_GLOBAL__N_125multi_tensor_apply_kernelINS1_18TensorListMetadataILi1EEENS1_21BinaryOpScalarFunctorIhLi1ELi1ELi0EEEJSt5minusIhEhEEEvT_T0_DpT1_,comdat
.Lfunc_end83:
	.size	_ZN2at6native12_GLOBAL__N_125multi_tensor_apply_kernelINS1_18TensorListMetadataILi1EEENS1_21BinaryOpScalarFunctorIhLi1ELi1ELi0EEEJSt5minusIhEhEEEvT_T0_DpT1_, .Lfunc_end83-_ZN2at6native12_GLOBAL__N_125multi_tensor_apply_kernelINS1_18TensorListMetadataILi1EEENS1_21BinaryOpScalarFunctorIhLi1ELi1ELi0EEEJSt5minusIhEhEEEvT_T0_DpT1_
                                        ; -- End function
	.set _ZN2at6native12_GLOBAL__N_125multi_tensor_apply_kernelINS1_18TensorListMetadataILi1EEENS1_21BinaryOpScalarFunctorIhLi1ELi1ELi0EEEJSt5minusIhEhEEEvT_T0_DpT1_.num_vgpr, 21
	.set _ZN2at6native12_GLOBAL__N_125multi_tensor_apply_kernelINS1_18TensorListMetadataILi1EEENS1_21BinaryOpScalarFunctorIhLi1ELi1ELi0EEEJSt5minusIhEhEEEvT_T0_DpT1_.num_agpr, 0
	.set _ZN2at6native12_GLOBAL__N_125multi_tensor_apply_kernelINS1_18TensorListMetadataILi1EEENS1_21BinaryOpScalarFunctorIhLi1ELi1ELi0EEEJSt5minusIhEhEEEvT_T0_DpT1_.numbered_sgpr, 24
	.set _ZN2at6native12_GLOBAL__N_125multi_tensor_apply_kernelINS1_18TensorListMetadataILi1EEENS1_21BinaryOpScalarFunctorIhLi1ELi1ELi0EEEJSt5minusIhEhEEEvT_T0_DpT1_.num_named_barrier, 0
	.set _ZN2at6native12_GLOBAL__N_125multi_tensor_apply_kernelINS1_18TensorListMetadataILi1EEENS1_21BinaryOpScalarFunctorIhLi1ELi1ELi0EEEJSt5minusIhEhEEEvT_T0_DpT1_.private_seg_size, 0
	.set _ZN2at6native12_GLOBAL__N_125multi_tensor_apply_kernelINS1_18TensorListMetadataILi1EEENS1_21BinaryOpScalarFunctorIhLi1ELi1ELi0EEEJSt5minusIhEhEEEvT_T0_DpT1_.uses_vcc, 1
	.set _ZN2at6native12_GLOBAL__N_125multi_tensor_apply_kernelINS1_18TensorListMetadataILi1EEENS1_21BinaryOpScalarFunctorIhLi1ELi1ELi0EEEJSt5minusIhEhEEEvT_T0_DpT1_.uses_flat_scratch, 0
	.set _ZN2at6native12_GLOBAL__N_125multi_tensor_apply_kernelINS1_18TensorListMetadataILi1EEENS1_21BinaryOpScalarFunctorIhLi1ELi1ELi0EEEJSt5minusIhEhEEEvT_T0_DpT1_.has_dyn_sized_stack, 0
	.set _ZN2at6native12_GLOBAL__N_125multi_tensor_apply_kernelINS1_18TensorListMetadataILi1EEENS1_21BinaryOpScalarFunctorIhLi1ELi1ELi0EEEJSt5minusIhEhEEEvT_T0_DpT1_.has_recursion, 0
	.set _ZN2at6native12_GLOBAL__N_125multi_tensor_apply_kernelINS1_18TensorListMetadataILi1EEENS1_21BinaryOpScalarFunctorIhLi1ELi1ELi0EEEJSt5minusIhEhEEEvT_T0_DpT1_.has_indirect_call, 0
	.section	.AMDGPU.csdata,"",@progbits
; Kernel info:
; codeLenInByte = 1464
; TotalNumSgprs: 26
; NumVgprs: 21
; ScratchSize: 0
; MemoryBound: 0
; FloatMode: 240
; IeeeMode: 1
; LDSByteSize: 0 bytes/workgroup (compile time only)
; SGPRBlocks: 0
; VGPRBlocks: 2
; NumSGPRsForWavesPerEU: 26
; NumVGPRsForWavesPerEU: 21
; Occupancy: 16
; WaveLimiterHint : 0
; COMPUTE_PGM_RSRC2:SCRATCH_EN: 0
; COMPUTE_PGM_RSRC2:USER_SGPR: 2
; COMPUTE_PGM_RSRC2:TRAP_HANDLER: 0
; COMPUTE_PGM_RSRC2:TGID_X_EN: 1
; COMPUTE_PGM_RSRC2:TGID_Y_EN: 0
; COMPUTE_PGM_RSRC2:TGID_Z_EN: 0
; COMPUTE_PGM_RSRC2:TIDIG_COMP_CNT: 0
	.section	.text._ZN2at6native12_GLOBAL__N_125multi_tensor_apply_kernelINS1_18TensorListMetadataILi1EEENS1_21BinaryOpScalarFunctorIaLi1ELi1ELi0EEEJSt5minusIaEaEEEvT_T0_DpT1_,"axG",@progbits,_ZN2at6native12_GLOBAL__N_125multi_tensor_apply_kernelINS1_18TensorListMetadataILi1EEENS1_21BinaryOpScalarFunctorIaLi1ELi1ELi0EEEJSt5minusIaEaEEEvT_T0_DpT1_,comdat
	.globl	_ZN2at6native12_GLOBAL__N_125multi_tensor_apply_kernelINS1_18TensorListMetadataILi1EEENS1_21BinaryOpScalarFunctorIaLi1ELi1ELi0EEEJSt5minusIaEaEEEvT_T0_DpT1_ ; -- Begin function _ZN2at6native12_GLOBAL__N_125multi_tensor_apply_kernelINS1_18TensorListMetadataILi1EEENS1_21BinaryOpScalarFunctorIaLi1ELi1ELi0EEEJSt5minusIaEaEEEvT_T0_DpT1_
	.p2align	8
	.type	_ZN2at6native12_GLOBAL__N_125multi_tensor_apply_kernelINS1_18TensorListMetadataILi1EEENS1_21BinaryOpScalarFunctorIaLi1ELi1ELi0EEEJSt5minusIaEaEEEvT_T0_DpT1_,@function
_ZN2at6native12_GLOBAL__N_125multi_tensor_apply_kernelINS1_18TensorListMetadataILi1EEENS1_21BinaryOpScalarFunctorIaLi1ELi1ELi0EEEJSt5minusIaEaEEEvT_T0_DpT1_: ; @_ZN2at6native12_GLOBAL__N_125multi_tensor_apply_kernelINS1_18TensorListMetadataILi1EEENS1_21BinaryOpScalarFunctorIaLi1ELi1ELi0EEEJSt5minusIaEaEEEvT_T0_DpT1_
; %bb.0:
	s_load_u8 s6, s[0:1], ttmp9 offset:0x6e0
	s_mov_b32 s2, ttmp9
	s_mov_b32 s3, 0
	s_delay_alu instid0(SALU_CYCLE_1) | instskip(SKIP_1) | instid1(SALU_CYCLE_1)
	s_mul_u64 s[4:5], s[2:3], 3
	s_add_nc_u64 s[2:3], s[0:1], s[2:3]
	s_add_nc_u64 s[2:3], s[2:3], s[4:5]
	s_load_b32 s2, s[2:3], 0x820
	s_wait_kmcnt 0x0
	s_lshl_b32 s3, s6, 3
	s_clause 0x2
	s_load_b64 s[4:5], s[0:1], s3 offset:0x370
	s_load_b64 s[6:7], s[0:1], s3 offset:0x0
	s_load_b32 s20, s[0:1], 0xd28
	s_ashr_i32 s3, s2, 31
	s_wait_kmcnt 0x0
	s_or_b32 s8, s4, s6
	s_delay_alu instid0(SALU_CYCLE_1)
	s_and_b32 s10, s8, 3
	s_lshl_b64 s[8:9], s[2:3], 16
	s_cmp_eq_u32 s10, 0
	s_sub_nc_u64 s[10:11], s[4:5], s[8:9]
	s_cbranch_scc1 .LBB84_21
; %bb.1:
	v_cmp_lt_i64_e64 s2, s[10:11], 1
	s_and_b32 vcc_lo, exec_lo, s2
	s_cbranch_vccnz .LBB84_20
; %bb.2:
	s_load_b32 s2, s[0:1], 0xd3c
	v_cmp_gt_i64_e64 s4, 0x10000, s[10:11]
	s_mov_b32 s3, 0
	v_cmp_gt_u64_e64 s14, 0x10000, s[10:11]
	s_mov_b32 s19, s3
	v_add_co_u32 v11, s5, s8, v0
	s_and_b32 s4, s4, exec_lo
	s_cselect_b32 s13, s11, 0
	s_cselect_b32 s12, s10, 0x10000
	v_add_co_ci_u32_e64 v12, null, s9, 0, s5
	s_mov_b32 s5, s3
	v_add_co_u32 v1, vcc_lo, s6, v11
	s_delay_alu instid0(VALU_DEP_1)
	v_add_co_ci_u32_e64 v2, null, s7, v12, vcc_lo
	s_wait_kmcnt 0x0
	s_and_b32 s2, s2, 0xffff
	s_and_b32 s4, s14, exec_lo
	s_mul_i32 s18, s2, 3
	s_cselect_b32 s15, s11, 0
	s_add_nc_u64 s[22:23], s[8:9], s[18:19]
	s_cselect_b32 s14, s10, 0x10000
	s_add_nc_u64 s[22:23], s[6:7], s[22:23]
	s_lshl_b32 s4, s2, 1
	v_add_co_u32 v3, s17, s22, v0
	s_delay_alu instid0(VALU_DEP_1)
	v_add_co_ci_u32_e64 v4, null, s23, 0, s17
	s_wait_alu 0xfffe
	s_add_nc_u64 s[22:23], s[8:9], s[4:5]
	v_add_co_u32 v5, s5, s18, v0
	s_wait_alu 0xfffe
	s_add_nc_u64 s[18:19], s[6:7], s[22:23]
	v_add_co_ci_u32_e64 v6, null, 0, 0, s5
	s_wait_alu 0xfffe
	v_add_co_u32 v7, s5, s18, v0
	v_add_co_u32 v9, s4, s4, v0
	s_wait_alu 0xf1ff
	v_add_co_ci_u32_e64 v8, null, s19, 0, s5
	v_add_co_ci_u32_e64 v10, null, 0, 0, s4
	s_add_nc_u64 s[4:5], s[6:7], s[2:3]
	s_lshl_b32 s16, s2, 2
	s_wait_alu 0xfffe
	v_add_co_u32 v11, vcc_lo, s4, v11
	v_add_co_u32 v13, s2, v0, s2
	s_wait_alu 0xfffd
	v_add_co_ci_u32_e64 v12, null, s5, v12, vcc_lo
	s_wait_alu 0xf1ff
	v_add_co_ci_u32_e64 v14, null, 0, 0, s2
	s_mov_b32 s17, s3
	s_mov_b64 s[18:19], 0
	s_lshr_b32 s21, s20, 16
	s_branch .LBB84_4
.LBB84_3:                               ;   in Loop: Header=BB84_4 Depth=1
	s_wait_alu 0xfffe
	s_or_b32 exec_lo, exec_lo, s2
	s_add_nc_u64 s[18:19], s[18:19], s[16:17]
	s_wait_alu 0xfffe
	v_cmp_lt_i64_e64 s2, s[18:19], s[12:13]
	s_and_b32 vcc_lo, exec_lo, s2
	s_wait_alu 0xfffe
	s_cbranch_vccz .LBB84_20
.LBB84_4:                               ; =>This Inner Loop Header: Depth=1
	s_wait_loadcnt 0x0
	s_wait_alu 0xfffe
	v_add_co_u32 v15, s2, v0, s18
	s_wait_alu 0xf1ff
	v_add_co_ci_u32_e64 v16, null, 0, s19, s2
	s_delay_alu instid0(VALU_DEP_1)
	v_cmp_gt_u64_e32 vcc_lo, s[14:15], v[15:16]
	v_mov_b32_e32 v16, 0
	s_and_saveexec_b32 s3, vcc_lo
	s_cbranch_execz .LBB84_6
; %bb.5:                                ;   in Loop: Header=BB84_4 Depth=1
	v_add_co_u32 v15, s2, v1, s18
	s_wait_alu 0xf1ff
	v_add_co_ci_u32_e64 v16, null, s19, v2, s2
	global_load_u8 v16, v[15:16], off
.LBB84_6:                               ;   in Loop: Header=BB84_4 Depth=1
	s_wait_alu 0xfffe
	s_or_b32 exec_lo, exec_lo, s3
	v_add_co_u32 v17, s2, v13, s18
	s_wait_alu 0xf1ff
	v_add_co_ci_u32_e64 v18, null, s19, v14, s2
	v_mov_b32_e32 v15, 0
	s_delay_alu instid0(VALU_DEP_2)
	v_cmp_gt_u64_e64 s2, s[14:15], v[17:18]
	v_mov_b32_e32 v17, 0
	s_and_saveexec_b32 s4, s2
	s_cbranch_execz .LBB84_8
; %bb.7:                                ;   in Loop: Header=BB84_4 Depth=1
	v_add_co_u32 v17, s3, v11, s18
	s_wait_alu 0xf1ff
	v_add_co_ci_u32_e64 v18, null, s19, v12, s3
	global_load_u8 v17, v[17:18], off
.LBB84_8:                               ;   in Loop: Header=BB84_4 Depth=1
	s_wait_alu 0xfffe
	s_or_b32 exec_lo, exec_lo, s4
	v_add_co_u32 v18, s3, v9, s18
	s_wait_alu 0xf1ff
	v_add_co_ci_u32_e64 v19, null, s19, v10, s3
	s_delay_alu instid0(VALU_DEP_1)
	v_cmp_gt_u64_e64 s3, s[14:15], v[18:19]
	s_and_saveexec_b32 s5, s3
	s_cbranch_execz .LBB84_10
; %bb.9:                                ;   in Loop: Header=BB84_4 Depth=1
	v_add_co_u32 v18, s4, v7, s18
	s_wait_alu 0xf1ff
	v_add_co_ci_u32_e64 v19, null, s19, v8, s4
	global_load_u8 v15, v[18:19], off
.LBB84_10:                              ;   in Loop: Header=BB84_4 Depth=1
	s_wait_alu 0xfffe
	s_or_b32 exec_lo, exec_lo, s5
	v_add_co_u32 v18, s4, v5, s18
	s_wait_alu 0xf1ff
	v_add_co_ci_u32_e64 v19, null, s19, v6, s4
	s_delay_alu instid0(VALU_DEP_1)
	v_cmp_gt_u64_e64 s4, s[14:15], v[18:19]
	v_mov_b32_e32 v18, 0
	s_and_saveexec_b32 s22, s4
	s_cbranch_execnz .LBB84_15
; %bb.11:                               ;   in Loop: Header=BB84_4 Depth=1
	s_wait_alu 0xfffe
	s_or_b32 exec_lo, exec_lo, s22
	s_and_saveexec_b32 s5, vcc_lo
	s_cbranch_execnz .LBB84_16
.LBB84_12:                              ;   in Loop: Header=BB84_4 Depth=1
	s_wait_alu 0xfffe
	s_or_b32 exec_lo, exec_lo, s5
	s_and_saveexec_b32 s5, s2
	s_cbranch_execnz .LBB84_17
.LBB84_13:                              ;   in Loop: Header=BB84_4 Depth=1
	s_wait_alu 0xfffe
	s_or_b32 exec_lo, exec_lo, s5
	s_and_saveexec_b32 s2, s3
	s_cbranch_execnz .LBB84_18
.LBB84_14:                              ;   in Loop: Header=BB84_4 Depth=1
	s_wait_alu 0xfffe
	s_or_b32 exec_lo, exec_lo, s2
	s_and_saveexec_b32 s2, s4
	s_cbranch_execz .LBB84_3
	s_branch .LBB84_19
.LBB84_15:                              ;   in Loop: Header=BB84_4 Depth=1
	v_add_co_u32 v18, s5, v3, s18
	s_wait_alu 0xf1ff
	v_add_co_ci_u32_e64 v19, null, s19, v4, s5
	global_load_u8 v18, v[18:19], off
	s_wait_alu 0xfffe
	s_or_b32 exec_lo, exec_lo, s22
	s_and_saveexec_b32 s5, vcc_lo
	s_cbranch_execz .LBB84_12
.LBB84_16:                              ;   in Loop: Header=BB84_4 Depth=1
	v_add_co_u32 v19, vcc_lo, v1, s18
	s_wait_loadcnt 0x0
	v_sub_nc_u16 v16, v16, s21
	s_wait_alu 0xfffd
	v_add_co_ci_u32_e64 v20, null, s19, v2, vcc_lo
	global_store_b8 v[19:20], v16, off
	s_wait_alu 0xfffe
	s_or_b32 exec_lo, exec_lo, s5
	s_and_saveexec_b32 s5, s2
	s_cbranch_execz .LBB84_13
.LBB84_17:                              ;   in Loop: Header=BB84_4 Depth=1
	s_wait_loadcnt 0x0
	v_add_co_u32 v16, vcc_lo, v11, s18
	v_sub_nc_u16 v19, v17, s21
	s_wait_alu 0xfffd
	v_add_co_ci_u32_e64 v17, null, s19, v12, vcc_lo
	global_store_b8 v[16:17], v19, off
	s_wait_alu 0xfffe
	s_or_b32 exec_lo, exec_lo, s5
	s_and_saveexec_b32 s2, s3
	s_cbranch_execz .LBB84_14
.LBB84_18:                              ;   in Loop: Header=BB84_4 Depth=1
	s_wait_loadcnt 0x0
	v_sub_nc_u16 v17, v15, s21
	v_add_co_u32 v15, vcc_lo, v7, s18
	s_wait_alu 0xfffd
	v_add_co_ci_u32_e64 v16, null, s19, v8, vcc_lo
	global_store_b8 v[15:16], v17, off
	s_wait_alu 0xfffe
	s_or_b32 exec_lo, exec_lo, s2
	s_and_saveexec_b32 s2, s4
	s_cbranch_execz .LBB84_3
.LBB84_19:                              ;   in Loop: Header=BB84_4 Depth=1
	s_wait_loadcnt 0x0
	v_add_co_u32 v15, vcc_lo, v3, s18
	v_sub_nc_u16 v17, v18, s21
	s_wait_alu 0xfffd
	v_add_co_ci_u32_e64 v16, null, s19, v4, vcc_lo
	global_store_b8 v[15:16], v17, off
	s_branch .LBB84_3
.LBB84_20:
	s_cbranch_execz .LBB84_22
	s_branch .LBB84_25
.LBB84_21:
.LBB84_22:
	v_cmp_gt_i64_e64 s2, 0x10000, s[10:11]
	v_dual_mov_b32 v3, 0 :: v_dual_lshlrev_b32 v2, 2, v0
	s_mov_b32 s4, 0
	s_mov_b32 s5, exec_lo
	s_and_b32 s2, s2, exec_lo
	s_cselect_b32 s3, s11, 0
	s_cselect_b32 s2, s10, 0x10000
	s_wait_alu 0xfffe
	v_cmpx_gt_i64_e64 s[2:3], v[2:3]
	s_cbranch_execz .LBB84_25
; %bb.23:
	s_load_b32 s5, s[0:1], 0xd3c
	s_add_nc_u64 s[0:1], s[6:7], s[8:9]
	v_mov_b32_e32 v1, v3
	v_add_co_u32 v2, s0, s0, v2
	s_wait_alu 0xf1ff
	v_add_co_ci_u32_e64 v3, null, s1, 0, s0
	s_lshr_b32 s6, s20, 16
	s_wait_kmcnt 0x0
	s_and_b32 s1, s5, 0xffff
	s_wait_alu 0xfffe
	s_lshl_b32 s5, s1, 2
.LBB84_24:                              ; =>This Inner Loop Header: Depth=1
	global_load_b32 v4, v[2:3], off
	v_add_co_u32 v0, vcc_lo, v0, s1
	s_wait_alu 0xfffd
	v_add_co_ci_u32_e64 v1, null, 0, v1, vcc_lo
	s_wait_loadcnt 0x0
	v_lshrrev_b32_e32 v5, 24, v4
	v_lshrrev_b32_e32 v6, 16, v4
	;; [unrolled: 1-line block ×3, first 2 shown]
	v_sub_nc_u16 v4, v4, s6
	s_delay_alu instid0(VALU_DEP_4) | instskip(NEXT) | instid1(VALU_DEP_4)
	v_sub_nc_u16 v5, v5, s6
	v_sub_nc_u16 v6, v6, s6
	s_delay_alu instid0(VALU_DEP_4) | instskip(NEXT) | instid1(VALU_DEP_4)
	v_sub_nc_u16 v7, v7, s6
	v_and_b32_e32 v4, 0xff, v4
	s_delay_alu instid0(VALU_DEP_4) | instskip(NEXT) | instid1(VALU_DEP_4)
	v_lshlrev_b16 v5, 8, v5
	v_and_b32_e32 v6, 0xff, v6
	s_delay_alu instid0(VALU_DEP_4) | instskip(NEXT) | instid1(VALU_DEP_2)
	v_lshlrev_b16 v7, 8, v7
	v_or_b32_e32 v5, v6, v5
	s_delay_alu instid0(VALU_DEP_2) | instskip(NEXT) | instid1(VALU_DEP_2)
	v_or_b32_e32 v4, v4, v7
	v_lshlrev_b32_e32 v6, 16, v5
	s_delay_alu instid0(VALU_DEP_2) | instskip(SKIP_1) | instid1(VALU_DEP_2)
	v_and_b32_e32 v7, 0xffff, v4
	v_lshlrev_b64_e32 v[4:5], 2, v[0:1]
	v_or_b32_e32 v6, v7, v6
	s_delay_alu instid0(VALU_DEP_2)
	v_cmp_le_i64_e32 vcc_lo, s[2:3], v[4:5]
	global_store_b32 v[2:3], v6, off
	s_wait_alu 0xfffe
	v_add_co_u32 v2, s0, v2, s5
	s_wait_alu 0xf1ff
	v_add_co_ci_u32_e64 v3, null, 0, v3, s0
	s_or_b32 s4, vcc_lo, s4
	s_wait_alu 0xfffe
	s_and_not1_b32 exec_lo, exec_lo, s4
	s_cbranch_execnz .LBB84_24
.LBB84_25:
	s_endpgm
	.section	.rodata,"a",@progbits
	.p2align	6, 0x0
	.amdhsa_kernel _ZN2at6native12_GLOBAL__N_125multi_tensor_apply_kernelINS1_18TensorListMetadataILi1EEENS1_21BinaryOpScalarFunctorIaLi1ELi1ELi0EEEJSt5minusIaEaEEEvT_T0_DpT1_
		.amdhsa_group_segment_fixed_size 0
		.amdhsa_private_segment_fixed_size 0
		.amdhsa_kernarg_size 3632
		.amdhsa_user_sgpr_count 2
		.amdhsa_user_sgpr_dispatch_ptr 0
		.amdhsa_user_sgpr_queue_ptr 0
		.amdhsa_user_sgpr_kernarg_segment_ptr 1
		.amdhsa_user_sgpr_dispatch_id 0
		.amdhsa_user_sgpr_private_segment_size 0
		.amdhsa_wavefront_size32 1
		.amdhsa_uses_dynamic_stack 0
		.amdhsa_enable_private_segment 0
		.amdhsa_system_sgpr_workgroup_id_x 1
		.amdhsa_system_sgpr_workgroup_id_y 0
		.amdhsa_system_sgpr_workgroup_id_z 0
		.amdhsa_system_sgpr_workgroup_info 0
		.amdhsa_system_vgpr_workitem_id 0
		.amdhsa_next_free_vgpr 21
		.amdhsa_next_free_sgpr 24
		.amdhsa_reserve_vcc 1
		.amdhsa_float_round_mode_32 0
		.amdhsa_float_round_mode_16_64 0
		.amdhsa_float_denorm_mode_32 3
		.amdhsa_float_denorm_mode_16_64 3
		.amdhsa_fp16_overflow 0
		.amdhsa_workgroup_processor_mode 1
		.amdhsa_memory_ordered 1
		.amdhsa_forward_progress 1
		.amdhsa_inst_pref_size 12
		.amdhsa_round_robin_scheduling 0
		.amdhsa_exception_fp_ieee_invalid_op 0
		.amdhsa_exception_fp_denorm_src 0
		.amdhsa_exception_fp_ieee_div_zero 0
		.amdhsa_exception_fp_ieee_overflow 0
		.amdhsa_exception_fp_ieee_underflow 0
		.amdhsa_exception_fp_ieee_inexact 0
		.amdhsa_exception_int_div_zero 0
	.end_amdhsa_kernel
	.section	.text._ZN2at6native12_GLOBAL__N_125multi_tensor_apply_kernelINS1_18TensorListMetadataILi1EEENS1_21BinaryOpScalarFunctorIaLi1ELi1ELi0EEEJSt5minusIaEaEEEvT_T0_DpT1_,"axG",@progbits,_ZN2at6native12_GLOBAL__N_125multi_tensor_apply_kernelINS1_18TensorListMetadataILi1EEENS1_21BinaryOpScalarFunctorIaLi1ELi1ELi0EEEJSt5minusIaEaEEEvT_T0_DpT1_,comdat
.Lfunc_end84:
	.size	_ZN2at6native12_GLOBAL__N_125multi_tensor_apply_kernelINS1_18TensorListMetadataILi1EEENS1_21BinaryOpScalarFunctorIaLi1ELi1ELi0EEEJSt5minusIaEaEEEvT_T0_DpT1_, .Lfunc_end84-_ZN2at6native12_GLOBAL__N_125multi_tensor_apply_kernelINS1_18TensorListMetadataILi1EEENS1_21BinaryOpScalarFunctorIaLi1ELi1ELi0EEEJSt5minusIaEaEEEvT_T0_DpT1_
                                        ; -- End function
	.set _ZN2at6native12_GLOBAL__N_125multi_tensor_apply_kernelINS1_18TensorListMetadataILi1EEENS1_21BinaryOpScalarFunctorIaLi1ELi1ELi0EEEJSt5minusIaEaEEEvT_T0_DpT1_.num_vgpr, 21
	.set _ZN2at6native12_GLOBAL__N_125multi_tensor_apply_kernelINS1_18TensorListMetadataILi1EEENS1_21BinaryOpScalarFunctorIaLi1ELi1ELi0EEEJSt5minusIaEaEEEvT_T0_DpT1_.num_agpr, 0
	.set _ZN2at6native12_GLOBAL__N_125multi_tensor_apply_kernelINS1_18TensorListMetadataILi1EEENS1_21BinaryOpScalarFunctorIaLi1ELi1ELi0EEEJSt5minusIaEaEEEvT_T0_DpT1_.numbered_sgpr, 24
	.set _ZN2at6native12_GLOBAL__N_125multi_tensor_apply_kernelINS1_18TensorListMetadataILi1EEENS1_21BinaryOpScalarFunctorIaLi1ELi1ELi0EEEJSt5minusIaEaEEEvT_T0_DpT1_.num_named_barrier, 0
	.set _ZN2at6native12_GLOBAL__N_125multi_tensor_apply_kernelINS1_18TensorListMetadataILi1EEENS1_21BinaryOpScalarFunctorIaLi1ELi1ELi0EEEJSt5minusIaEaEEEvT_T0_DpT1_.private_seg_size, 0
	.set _ZN2at6native12_GLOBAL__N_125multi_tensor_apply_kernelINS1_18TensorListMetadataILi1EEENS1_21BinaryOpScalarFunctorIaLi1ELi1ELi0EEEJSt5minusIaEaEEEvT_T0_DpT1_.uses_vcc, 1
	.set _ZN2at6native12_GLOBAL__N_125multi_tensor_apply_kernelINS1_18TensorListMetadataILi1EEENS1_21BinaryOpScalarFunctorIaLi1ELi1ELi0EEEJSt5minusIaEaEEEvT_T0_DpT1_.uses_flat_scratch, 0
	.set _ZN2at6native12_GLOBAL__N_125multi_tensor_apply_kernelINS1_18TensorListMetadataILi1EEENS1_21BinaryOpScalarFunctorIaLi1ELi1ELi0EEEJSt5minusIaEaEEEvT_T0_DpT1_.has_dyn_sized_stack, 0
	.set _ZN2at6native12_GLOBAL__N_125multi_tensor_apply_kernelINS1_18TensorListMetadataILi1EEENS1_21BinaryOpScalarFunctorIaLi1ELi1ELi0EEEJSt5minusIaEaEEEvT_T0_DpT1_.has_recursion, 0
	.set _ZN2at6native12_GLOBAL__N_125multi_tensor_apply_kernelINS1_18TensorListMetadataILi1EEENS1_21BinaryOpScalarFunctorIaLi1ELi1ELi0EEEJSt5minusIaEaEEEvT_T0_DpT1_.has_indirect_call, 0
	.section	.AMDGPU.csdata,"",@progbits
; Kernel info:
; codeLenInByte = 1464
; TotalNumSgprs: 26
; NumVgprs: 21
; ScratchSize: 0
; MemoryBound: 0
; FloatMode: 240
; IeeeMode: 1
; LDSByteSize: 0 bytes/workgroup (compile time only)
; SGPRBlocks: 0
; VGPRBlocks: 2
; NumSGPRsForWavesPerEU: 26
; NumVGPRsForWavesPerEU: 21
; Occupancy: 16
; WaveLimiterHint : 0
; COMPUTE_PGM_RSRC2:SCRATCH_EN: 0
; COMPUTE_PGM_RSRC2:USER_SGPR: 2
; COMPUTE_PGM_RSRC2:TRAP_HANDLER: 0
; COMPUTE_PGM_RSRC2:TGID_X_EN: 1
; COMPUTE_PGM_RSRC2:TGID_Y_EN: 0
; COMPUTE_PGM_RSRC2:TGID_Z_EN: 0
; COMPUTE_PGM_RSRC2:TIDIG_COMP_CNT: 0
	.section	.text._ZN2at6native12_GLOBAL__N_125multi_tensor_apply_kernelINS1_18TensorListMetadataILi1EEENS1_21BinaryOpScalarFunctorIiLi1ELi1ELi0EEEJSt5minusIiEiEEEvT_T0_DpT1_,"axG",@progbits,_ZN2at6native12_GLOBAL__N_125multi_tensor_apply_kernelINS1_18TensorListMetadataILi1EEENS1_21BinaryOpScalarFunctorIiLi1ELi1ELi0EEEJSt5minusIiEiEEEvT_T0_DpT1_,comdat
	.globl	_ZN2at6native12_GLOBAL__N_125multi_tensor_apply_kernelINS1_18TensorListMetadataILi1EEENS1_21BinaryOpScalarFunctorIiLi1ELi1ELi0EEEJSt5minusIiEiEEEvT_T0_DpT1_ ; -- Begin function _ZN2at6native12_GLOBAL__N_125multi_tensor_apply_kernelINS1_18TensorListMetadataILi1EEENS1_21BinaryOpScalarFunctorIiLi1ELi1ELi0EEEJSt5minusIiEiEEEvT_T0_DpT1_
	.p2align	8
	.type	_ZN2at6native12_GLOBAL__N_125multi_tensor_apply_kernelINS1_18TensorListMetadataILi1EEENS1_21BinaryOpScalarFunctorIiLi1ELi1ELi0EEEJSt5minusIiEiEEEvT_T0_DpT1_,@function
_ZN2at6native12_GLOBAL__N_125multi_tensor_apply_kernelINS1_18TensorListMetadataILi1EEENS1_21BinaryOpScalarFunctorIiLi1ELi1ELi0EEEJSt5minusIiEiEEEvT_T0_DpT1_: ; @_ZN2at6native12_GLOBAL__N_125multi_tensor_apply_kernelINS1_18TensorListMetadataILi1EEENS1_21BinaryOpScalarFunctorIiLi1ELi1ELi0EEEJSt5minusIiEiEEEvT_T0_DpT1_
; %bb.0:
	s_load_u8 s8, s[0:1], ttmp9 offset:0x6e0
	s_mov_b32 s2, ttmp9
	s_mov_b32 s3, 0
	s_delay_alu instid0(SALU_CYCLE_1)
	s_mul_u64 s[4:5], s[2:3], 3
	s_add_nc_u64 s[6:7], s[0:1], s[2:3]
	s_mov_b32 s13, s3
	s_add_nc_u64 s[4:5], s[6:7], s[4:5]
	s_load_b32 s4, s[4:5], 0x820
	s_wait_kmcnt 0x0
	s_lshl_b32 s2, s8, 3
	s_clause 0x2
	s_load_b64 s[6:7], s[0:1], s2 offset:0x0
	s_load_b64 s[10:11], s[0:1], s2 offset:0x370
	s_load_b32 s22, s[0:1], 0xd2c
	s_ashr_i32 s5, s4, 31
	s_delay_alu instid0(SALU_CYCLE_1)
	s_lshl_b64 s[8:9], s[4:5], 18
	s_lshl_b64 s[4:5], s[4:5], 16
	s_wait_kmcnt 0x0
	s_and_b32 s2, s6, 15
	s_and_b32 s12, s10, 3
	s_sub_nc_u64 s[10:11], s[10:11], s[4:5]
	s_or_b64 s[2:3], s[2:3], s[12:13]
	s_delay_alu instid0(SALU_CYCLE_1)
	s_cmp_eq_u64 s[2:3], 0
	s_cbranch_scc1 .LBB85_21
; %bb.1:
	v_cmp_lt_i64_e64 s2, s[10:11], 1
	s_and_b32 vcc_lo, exec_lo, s2
	s_cbranch_vccnz .LBB85_20
; %bb.2:
	s_load_b32 s2, s[0:1], 0xd3c
	v_cmp_gt_i64_e64 s12, 0x10000, s[10:11]
	v_lshlrev_b32_e32 v1, 2, v0
	s_add_nc_u64 s[4:5], s[6:7], s[8:9]
	s_mov_b32 s3, 0
	v_cmp_gt_u64_e64 s16, 0x10000, s[10:11]
	s_mov_b32 s13, s3
	v_add_co_u32 v1, s14, s4, v1
	s_and_b32 s12, s12, exec_lo
	v_add_co_ci_u32_e64 v2, null, s5, 0, s14
	s_cselect_b32 s15, s11, 0
	s_cselect_b32 s14, s10, 0x10000
	s_wait_kmcnt 0x0
	s_and_b32 s2, s2, 0xffff
	s_and_b32 s12, s16, exec_lo
	s_mul_u64 s[18:19], s[2:3], 12
	v_add_co_u32 v5, s3, v0, s2
	s_cselect_b32 s17, s11, 0
	s_cselect_b32 s16, s10, 0x10000
	s_lshl_b32 s20, s2, 1
	v_lshlrev_b32_e32 v3, 2, v5
	s_mul_i32 s21, s2, 3
	v_add_co_ci_u32_e64 v8, null, 0, 0, s3
	v_add_co_u32 v9, s3, s20, v0
	v_add_co_u32 v6, s21, s21, v0
	s_wait_alu 0xf1ff
	v_add_co_ci_u32_e64 v10, null, 0, 0, s3
	v_add_co_u32 v3, s3, s4, v3
	v_add_co_ci_u32_e64 v7, null, 0, 0, s21
	s_wait_alu 0xf1ff
	v_add_co_ci_u32_e64 v4, null, s5, 0, s3
	s_lshl_b32 s12, s2, 2
	s_lshl_b32 s23, s2, 4
	;; [unrolled: 1-line block ×3, first 2 shown]
	s_mov_b64 s[20:21], 0
	s_branch .LBB85_4
.LBB85_3:                               ;   in Loop: Header=BB85_4 Depth=1
	s_wait_alu 0xfffe
	s_or_b32 exec_lo, exec_lo, s2
	s_add_nc_u64 s[20:21], s[20:21], s[12:13]
	v_add_co_u32 v1, vcc_lo, v1, s23
	s_wait_alu 0xfffe
	v_cmp_lt_i64_e64 s2, s[20:21], s[14:15]
	s_wait_alu 0xfffd
	v_add_co_ci_u32_e64 v2, null, 0, v2, vcc_lo
	v_add_co_u32 v3, vcc_lo, v3, s23
	s_wait_alu 0xfffd
	v_add_co_ci_u32_e64 v4, null, 0, v4, vcc_lo
	s_and_b32 vcc_lo, exec_lo, s2
	s_wait_alu 0xfffe
	s_cbranch_vccz .LBB85_20
.LBB85_4:                               ; =>This Inner Loop Header: Depth=1
	s_wait_loadcnt 0x0
	s_wait_alu 0xfffe
	v_add_co_u32 v11, s2, v0, s20
	s_wait_alu 0xf1ff
	v_add_co_ci_u32_e64 v12, null, 0, s21, s2
	s_delay_alu instid0(VALU_DEP_1)
	v_cmp_gt_u64_e32 vcc_lo, s[16:17], v[11:12]
	v_mov_b32_e32 v11, 0
	s_and_saveexec_b32 s2, vcc_lo
	s_cbranch_execz .LBB85_6
; %bb.5:                                ;   in Loop: Header=BB85_4 Depth=1
	global_load_b32 v11, v[1:2], off
.LBB85_6:                               ;   in Loop: Header=BB85_4 Depth=1
	s_wait_alu 0xfffe
	s_or_b32 exec_lo, exec_lo, s2
	v_add_co_u32 v12, s2, v5, s20
	s_wait_alu 0xf1ff
	v_add_co_ci_u32_e64 v13, null, s21, v8, s2
	s_delay_alu instid0(VALU_DEP_1)
	v_cmp_gt_u64_e64 s2, s[16:17], v[12:13]
	v_dual_mov_b32 v12, 0 :: v_dual_mov_b32 v13, 0
	s_and_saveexec_b32 s3, s2
	s_cbranch_execz .LBB85_8
; %bb.7:                                ;   in Loop: Header=BB85_4 Depth=1
	global_load_b32 v13, v[3:4], off
.LBB85_8:                               ;   in Loop: Header=BB85_4 Depth=1
	s_wait_alu 0xfffe
	s_or_b32 exec_lo, exec_lo, s3
	v_add_co_u32 v14, s3, v9, s20
	s_wait_alu 0xf1ff
	v_add_co_ci_u32_e64 v15, null, s21, v10, s3
	s_delay_alu instid0(VALU_DEP_1)
	v_cmp_gt_u64_e64 s3, s[16:17], v[14:15]
	s_and_saveexec_b32 s5, s3
	s_cbranch_execz .LBB85_10
; %bb.9:                                ;   in Loop: Header=BB85_4 Depth=1
	v_add_co_u32 v14, s4, v1, s24
	s_wait_alu 0xf1ff
	v_add_co_ci_u32_e64 v15, null, 0, v2, s4
	global_load_b32 v12, v[14:15], off
.LBB85_10:                              ;   in Loop: Header=BB85_4 Depth=1
	s_wait_alu 0xfffe
	s_or_b32 exec_lo, exec_lo, s5
	v_add_co_u32 v14, s4, v6, s20
	s_wait_alu 0xf1ff
	v_add_co_ci_u32_e64 v15, null, s21, v7, s4
	s_delay_alu instid0(VALU_DEP_1)
	v_cmp_gt_u64_e64 s4, s[16:17], v[14:15]
	v_mov_b32_e32 v14, 0
	s_and_saveexec_b32 s25, s4
	s_cbranch_execnz .LBB85_15
; %bb.11:                               ;   in Loop: Header=BB85_4 Depth=1
	s_wait_alu 0xfffe
	s_or_b32 exec_lo, exec_lo, s25
	s_and_saveexec_b32 s5, vcc_lo
	s_cbranch_execnz .LBB85_16
.LBB85_12:                              ;   in Loop: Header=BB85_4 Depth=1
	s_wait_alu 0xfffe
	s_or_b32 exec_lo, exec_lo, s5
	s_and_saveexec_b32 s5, s2
	s_cbranch_execnz .LBB85_17
.LBB85_13:                              ;   in Loop: Header=BB85_4 Depth=1
	s_wait_alu 0xfffe
	s_or_b32 exec_lo, exec_lo, s5
	s_and_saveexec_b32 s2, s3
	s_cbranch_execnz .LBB85_18
.LBB85_14:                              ;   in Loop: Header=BB85_4 Depth=1
	s_wait_alu 0xfffe
	s_or_b32 exec_lo, exec_lo, s2
	s_and_saveexec_b32 s2, s4
	s_cbranch_execz .LBB85_3
	s_branch .LBB85_19
.LBB85_15:                              ;   in Loop: Header=BB85_4 Depth=1
	v_add_co_u32 v14, s5, v1, s18
	s_wait_alu 0xf1ff
	v_add_co_ci_u32_e64 v15, null, s19, v2, s5
	global_load_b32 v14, v[14:15], off
	s_wait_alu 0xfffe
	s_or_b32 exec_lo, exec_lo, s25
	s_and_saveexec_b32 s5, vcc_lo
	s_cbranch_execz .LBB85_12
.LBB85_16:                              ;   in Loop: Header=BB85_4 Depth=1
	s_wait_loadcnt 0x0
	v_subrev_nc_u32_e32 v11, s22, v11
	global_store_b32 v[1:2], v11, off
	s_wait_alu 0xfffe
	s_or_b32 exec_lo, exec_lo, s5
	s_and_saveexec_b32 s5, s2
	s_cbranch_execz .LBB85_13
.LBB85_17:                              ;   in Loop: Header=BB85_4 Depth=1
	s_wait_loadcnt 0x0
	v_subrev_nc_u32_e32 v11, s22, v13
	global_store_b32 v[3:4], v11, off
	s_wait_alu 0xfffe
	s_or_b32 exec_lo, exec_lo, s5
	s_and_saveexec_b32 s2, s3
	s_cbranch_execz .LBB85_14
.LBB85_18:                              ;   in Loop: Header=BB85_4 Depth=1
	s_wait_loadcnt 0x0
	v_add_co_u32 v11, vcc_lo, v1, s24
	v_subrev_nc_u32_e32 v13, s22, v12
	s_wait_alu 0xfffd
	v_add_co_ci_u32_e64 v12, null, 0, v2, vcc_lo
	global_store_b32 v[11:12], v13, off
	s_wait_alu 0xfffe
	s_or_b32 exec_lo, exec_lo, s2
	s_and_saveexec_b32 s2, s4
	s_cbranch_execz .LBB85_3
.LBB85_19:                              ;   in Loop: Header=BB85_4 Depth=1
	s_wait_loadcnt 0x0
	v_add_co_u32 v11, vcc_lo, v1, s18
	v_subrev_nc_u32_e32 v13, s22, v14
	s_wait_alu 0xfffd
	v_add_co_ci_u32_e64 v12, null, s19, v2, vcc_lo
	global_store_b32 v[11:12], v13, off
	s_branch .LBB85_3
.LBB85_20:
	s_cbranch_execz .LBB85_22
	s_branch .LBB85_25
.LBB85_21:
.LBB85_22:
	v_cmp_gt_i64_e64 s2, 0x10000, s[10:11]
	v_dual_mov_b32 v2, 0 :: v_dual_lshlrev_b32 v1, 2, v0
	s_mov_b32 s4, 0
	s_mov_b32 s5, exec_lo
	s_and_b32 s2, s2, exec_lo
	s_cselect_b32 s3, s11, 0
	s_cselect_b32 s2, s10, 0x10000
	s_wait_alu 0xfffe
	v_cmpx_gt_i64_e64 s[2:3], v[1:2]
	s_cbranch_execz .LBB85_25
; %bb.23:
	s_load_b32 s5, s[0:1], 0xd3c
	v_lshlrev_b32_e32 v1, 4, v0
	s_add_nc_u64 s[0:1], s[6:7], s[8:9]
	s_delay_alu instid0(VALU_DEP_1) | instid1(SALU_CYCLE_1)
	v_add_co_u32 v3, s0, s0, v1
	s_wait_alu 0xf1ff
	v_add_co_ci_u32_e64 v4, null, s1, 0, s0
	v_mov_b32_e32 v1, v2
	s_delay_alu instid0(VALU_DEP_3) | instskip(SKIP_1) | instid1(VALU_DEP_3)
	v_add_co_u32 v2, vcc_lo, v3, 8
	s_wait_alu 0xfffd
	v_add_co_ci_u32_e64 v3, null, 0, v4, vcc_lo
	s_wait_kmcnt 0x0
	s_and_b32 s1, s5, 0xffff
	s_wait_alu 0xfffe
	s_lshl_b32 s5, s1, 4
.LBB85_24:                              ; =>This Inner Loop Header: Depth=1
	global_load_b128 v[4:7], v[2:3], off offset:-8
	v_add_co_u32 v0, vcc_lo, v0, s1
	s_wait_alu 0xfffd
	v_add_co_ci_u32_e64 v1, null, 0, v1, vcc_lo
	s_delay_alu instid0(VALU_DEP_1) | instskip(NEXT) | instid1(VALU_DEP_1)
	v_lshlrev_b64_e32 v[8:9], 2, v[0:1]
	v_cmp_le_i64_e32 vcc_lo, s[2:3], v[8:9]
	s_or_b32 s4, vcc_lo, s4
	s_wait_loadcnt 0x0
	v_subrev_nc_u32_e32 v4, s22, v4
	v_subrev_nc_u32_e32 v5, s22, v5
	;; [unrolled: 1-line block ×4, first 2 shown]
	global_store_b128 v[2:3], v[4:7], off offset:-8
	s_wait_alu 0xfffe
	v_add_co_u32 v2, s0, v2, s5
	s_wait_alu 0xf1ff
	v_add_co_ci_u32_e64 v3, null, 0, v3, s0
	s_and_not1_b32 exec_lo, exec_lo, s4
	s_cbranch_execnz .LBB85_24
.LBB85_25:
	s_endpgm
	.section	.rodata,"a",@progbits
	.p2align	6, 0x0
	.amdhsa_kernel _ZN2at6native12_GLOBAL__N_125multi_tensor_apply_kernelINS1_18TensorListMetadataILi1EEENS1_21BinaryOpScalarFunctorIiLi1ELi1ELi0EEEJSt5minusIiEiEEEvT_T0_DpT1_
		.amdhsa_group_segment_fixed_size 0
		.amdhsa_private_segment_fixed_size 0
		.amdhsa_kernarg_size 3632
		.amdhsa_user_sgpr_count 2
		.amdhsa_user_sgpr_dispatch_ptr 0
		.amdhsa_user_sgpr_queue_ptr 0
		.amdhsa_user_sgpr_kernarg_segment_ptr 1
		.amdhsa_user_sgpr_dispatch_id 0
		.amdhsa_user_sgpr_private_segment_size 0
		.amdhsa_wavefront_size32 1
		.amdhsa_uses_dynamic_stack 0
		.amdhsa_enable_private_segment 0
		.amdhsa_system_sgpr_workgroup_id_x 1
		.amdhsa_system_sgpr_workgroup_id_y 0
		.amdhsa_system_sgpr_workgroup_id_z 0
		.amdhsa_system_sgpr_workgroup_info 0
		.amdhsa_system_vgpr_workitem_id 0
		.amdhsa_next_free_vgpr 16
		.amdhsa_next_free_sgpr 26
		.amdhsa_reserve_vcc 1
		.amdhsa_float_round_mode_32 0
		.amdhsa_float_round_mode_16_64 0
		.amdhsa_float_denorm_mode_32 3
		.amdhsa_float_denorm_mode_16_64 3
		.amdhsa_fp16_overflow 0
		.amdhsa_workgroup_processor_mode 1
		.amdhsa_memory_ordered 1
		.amdhsa_forward_progress 1
		.amdhsa_inst_pref_size 10
		.amdhsa_round_robin_scheduling 0
		.amdhsa_exception_fp_ieee_invalid_op 0
		.amdhsa_exception_fp_denorm_src 0
		.amdhsa_exception_fp_ieee_div_zero 0
		.amdhsa_exception_fp_ieee_overflow 0
		.amdhsa_exception_fp_ieee_underflow 0
		.amdhsa_exception_fp_ieee_inexact 0
		.amdhsa_exception_int_div_zero 0
	.end_amdhsa_kernel
	.section	.text._ZN2at6native12_GLOBAL__N_125multi_tensor_apply_kernelINS1_18TensorListMetadataILi1EEENS1_21BinaryOpScalarFunctorIiLi1ELi1ELi0EEEJSt5minusIiEiEEEvT_T0_DpT1_,"axG",@progbits,_ZN2at6native12_GLOBAL__N_125multi_tensor_apply_kernelINS1_18TensorListMetadataILi1EEENS1_21BinaryOpScalarFunctorIiLi1ELi1ELi0EEEJSt5minusIiEiEEEvT_T0_DpT1_,comdat
.Lfunc_end85:
	.size	_ZN2at6native12_GLOBAL__N_125multi_tensor_apply_kernelINS1_18TensorListMetadataILi1EEENS1_21BinaryOpScalarFunctorIiLi1ELi1ELi0EEEJSt5minusIiEiEEEvT_T0_DpT1_, .Lfunc_end85-_ZN2at6native12_GLOBAL__N_125multi_tensor_apply_kernelINS1_18TensorListMetadataILi1EEENS1_21BinaryOpScalarFunctorIiLi1ELi1ELi0EEEJSt5minusIiEiEEEvT_T0_DpT1_
                                        ; -- End function
	.set _ZN2at6native12_GLOBAL__N_125multi_tensor_apply_kernelINS1_18TensorListMetadataILi1EEENS1_21BinaryOpScalarFunctorIiLi1ELi1ELi0EEEJSt5minusIiEiEEEvT_T0_DpT1_.num_vgpr, 16
	.set _ZN2at6native12_GLOBAL__N_125multi_tensor_apply_kernelINS1_18TensorListMetadataILi1EEENS1_21BinaryOpScalarFunctorIiLi1ELi1ELi0EEEJSt5minusIiEiEEEvT_T0_DpT1_.num_agpr, 0
	.set _ZN2at6native12_GLOBAL__N_125multi_tensor_apply_kernelINS1_18TensorListMetadataILi1EEENS1_21BinaryOpScalarFunctorIiLi1ELi1ELi0EEEJSt5minusIiEiEEEvT_T0_DpT1_.numbered_sgpr, 26
	.set _ZN2at6native12_GLOBAL__N_125multi_tensor_apply_kernelINS1_18TensorListMetadataILi1EEENS1_21BinaryOpScalarFunctorIiLi1ELi1ELi0EEEJSt5minusIiEiEEEvT_T0_DpT1_.num_named_barrier, 0
	.set _ZN2at6native12_GLOBAL__N_125multi_tensor_apply_kernelINS1_18TensorListMetadataILi1EEENS1_21BinaryOpScalarFunctorIiLi1ELi1ELi0EEEJSt5minusIiEiEEEvT_T0_DpT1_.private_seg_size, 0
	.set _ZN2at6native12_GLOBAL__N_125multi_tensor_apply_kernelINS1_18TensorListMetadataILi1EEENS1_21BinaryOpScalarFunctorIiLi1ELi1ELi0EEEJSt5minusIiEiEEEvT_T0_DpT1_.uses_vcc, 1
	.set _ZN2at6native12_GLOBAL__N_125multi_tensor_apply_kernelINS1_18TensorListMetadataILi1EEENS1_21BinaryOpScalarFunctorIiLi1ELi1ELi0EEEJSt5minusIiEiEEEvT_T0_DpT1_.uses_flat_scratch, 0
	.set _ZN2at6native12_GLOBAL__N_125multi_tensor_apply_kernelINS1_18TensorListMetadataILi1EEENS1_21BinaryOpScalarFunctorIiLi1ELi1ELi0EEEJSt5minusIiEiEEEvT_T0_DpT1_.has_dyn_sized_stack, 0
	.set _ZN2at6native12_GLOBAL__N_125multi_tensor_apply_kernelINS1_18TensorListMetadataILi1EEENS1_21BinaryOpScalarFunctorIiLi1ELi1ELi0EEEJSt5minusIiEiEEEvT_T0_DpT1_.has_recursion, 0
	.set _ZN2at6native12_GLOBAL__N_125multi_tensor_apply_kernelINS1_18TensorListMetadataILi1EEENS1_21BinaryOpScalarFunctorIiLi1ELi1ELi0EEEJSt5minusIiEiEEEvT_T0_DpT1_.has_indirect_call, 0
	.section	.AMDGPU.csdata,"",@progbits
; Kernel info:
; codeLenInByte = 1256
; TotalNumSgprs: 28
; NumVgprs: 16
; ScratchSize: 0
; MemoryBound: 0
; FloatMode: 240
; IeeeMode: 1
; LDSByteSize: 0 bytes/workgroup (compile time only)
; SGPRBlocks: 0
; VGPRBlocks: 1
; NumSGPRsForWavesPerEU: 28
; NumVGPRsForWavesPerEU: 16
; Occupancy: 16
; WaveLimiterHint : 0
; COMPUTE_PGM_RSRC2:SCRATCH_EN: 0
; COMPUTE_PGM_RSRC2:USER_SGPR: 2
; COMPUTE_PGM_RSRC2:TRAP_HANDLER: 0
; COMPUTE_PGM_RSRC2:TGID_X_EN: 1
; COMPUTE_PGM_RSRC2:TGID_Y_EN: 0
; COMPUTE_PGM_RSRC2:TGID_Z_EN: 0
; COMPUTE_PGM_RSRC2:TIDIG_COMP_CNT: 0
	.section	.text._ZN2at6native12_GLOBAL__N_125multi_tensor_apply_kernelINS1_18TensorListMetadataILi1EEENS1_21BinaryOpScalarFunctorIlLi1ELi1ELi0EEEJSt5minusIlElEEEvT_T0_DpT1_,"axG",@progbits,_ZN2at6native12_GLOBAL__N_125multi_tensor_apply_kernelINS1_18TensorListMetadataILi1EEENS1_21BinaryOpScalarFunctorIlLi1ELi1ELi0EEEJSt5minusIlElEEEvT_T0_DpT1_,comdat
	.globl	_ZN2at6native12_GLOBAL__N_125multi_tensor_apply_kernelINS1_18TensorListMetadataILi1EEENS1_21BinaryOpScalarFunctorIlLi1ELi1ELi0EEEJSt5minusIlElEEEvT_T0_DpT1_ ; -- Begin function _ZN2at6native12_GLOBAL__N_125multi_tensor_apply_kernelINS1_18TensorListMetadataILi1EEENS1_21BinaryOpScalarFunctorIlLi1ELi1ELi0EEEJSt5minusIlElEEEvT_T0_DpT1_
	.p2align	8
	.type	_ZN2at6native12_GLOBAL__N_125multi_tensor_apply_kernelINS1_18TensorListMetadataILi1EEENS1_21BinaryOpScalarFunctorIlLi1ELi1ELi0EEEJSt5minusIlElEEEvT_T0_DpT1_,@function
_ZN2at6native12_GLOBAL__N_125multi_tensor_apply_kernelINS1_18TensorListMetadataILi1EEENS1_21BinaryOpScalarFunctorIlLi1ELi1ELi0EEEJSt5minusIlElEEEvT_T0_DpT1_: ; @_ZN2at6native12_GLOBAL__N_125multi_tensor_apply_kernelINS1_18TensorListMetadataILi1EEENS1_21BinaryOpScalarFunctorIlLi1ELi1ELi0EEEJSt5minusIlElEEEvT_T0_DpT1_
; %bb.0:
	s_load_u8 s8, s[0:1], ttmp9 offset:0x6e0
	s_mov_b32 s2, ttmp9
	s_mov_b32 s3, 0
	s_delay_alu instid0(SALU_CYCLE_1)
	s_mul_u64 s[4:5], s[2:3], 3
	s_add_nc_u64 s[6:7], s[0:1], s[2:3]
	s_mov_b32 s15, s3
	s_add_nc_u64 s[4:5], s[6:7], s[4:5]
	s_load_b32 s4, s[4:5], 0x820
	s_wait_kmcnt 0x0
	s_lshl_b32 s2, s8, 3
	s_clause 0x2
	s_load_b64 s[8:9], s[0:1], s2 offset:0x0
	s_load_b64 s[12:13], s[0:1], s2 offset:0x370
	s_load_b64 s[6:7], s[0:1], 0xd30
	s_ashr_i32 s5, s4, 31
	s_delay_alu instid0(SALU_CYCLE_1)
	s_lshl_b64 s[10:11], s[4:5], 19
	s_lshl_b64 s[4:5], s[4:5], 16
	s_wait_kmcnt 0x0
	s_and_b32 s2, s8, 31
	s_and_b32 s14, s12, 3
	s_sub_nc_u64 s[12:13], s[12:13], s[4:5]
	s_or_b64 s[2:3], s[2:3], s[14:15]
	s_delay_alu instid0(SALU_CYCLE_1)
	s_cmp_eq_u64 s[2:3], 0
	s_cbranch_scc1 .LBB86_21
; %bb.1:
	v_cmp_lt_i64_e64 s2, s[12:13], 1
	s_and_b32 vcc_lo, exec_lo, s2
	s_cbranch_vccnz .LBB86_20
; %bb.2:
	s_load_b32 s2, s[0:1], 0xd44
	v_cmp_gt_i64_e64 s14, 0x10000, s[12:13]
	v_lshlrev_b32_e32 v1, 3, v0
	s_add_nc_u64 s[4:5], s[8:9], s[10:11]
	s_mov_b32 s3, 0
	v_cmp_gt_u64_e64 s18, 0x10000, s[12:13]
	s_mov_b32 s15, s3
	v_add_co_u32 v1, s16, s4, v1
	s_and_b32 s14, s14, exec_lo
	v_add_co_ci_u32_e64 v2, null, s5, 0, s16
	s_cselect_b32 s17, s13, 0
	s_cselect_b32 s16, s12, 0x10000
	s_wait_kmcnt 0x0
	s_and_b32 s2, s2, 0xffff
	s_and_b32 s14, s18, exec_lo
	s_mul_u64 s[20:21], s[2:3], 24
	v_add_co_u32 v13, s3, v0, s2
	s_cselect_b32 s19, s13, 0
	s_cselect_b32 s18, s12, 0x10000
	s_lshl_b32 s22, s2, 1
	v_lshlrev_b32_e32 v3, 3, v13
	s_mul_i32 s23, s2, 3
	v_add_co_ci_u32_e64 v16, null, 0, 0, s3
	v_add_co_u32 v17, s3, s22, v0
	v_add_co_u32 v14, s23, s23, v0
	s_wait_alu 0xf1ff
	v_add_co_ci_u32_e64 v18, null, 0, 0, s3
	v_add_co_u32 v3, s3, s4, v3
	v_add_co_ci_u32_e64 v15, null, 0, 0, s23
	s_wait_alu 0xf1ff
	v_add_co_ci_u32_e64 v4, null, s5, 0, s3
	s_lshl_b32 s14, s2, 2
	s_lshl_b32 s24, s2, 5
	;; [unrolled: 1-line block ×3, first 2 shown]
	s_mov_b64 s[22:23], 0
	s_branch .LBB86_4
.LBB86_3:                               ;   in Loop: Header=BB86_4 Depth=1
	s_wait_alu 0xfffe
	s_or_b32 exec_lo, exec_lo, s2
	s_add_nc_u64 s[22:23], s[22:23], s[14:15]
	v_add_co_u32 v1, vcc_lo, v1, s24
	s_wait_alu 0xfffe
	v_cmp_lt_i64_e64 s2, s[22:23], s[16:17]
	s_wait_alu 0xfffd
	v_add_co_ci_u32_e64 v2, null, 0, v2, vcc_lo
	v_add_co_u32 v3, vcc_lo, v3, s24
	s_wait_alu 0xfffd
	v_add_co_ci_u32_e64 v4, null, 0, v4, vcc_lo
	s_and_b32 vcc_lo, exec_lo, s2
	s_wait_alu 0xfffe
	s_cbranch_vccz .LBB86_20
.LBB86_4:                               ; =>This Inner Loop Header: Depth=1
	s_wait_loadcnt 0x0
	s_wait_alu 0xfffe
	v_add_co_u32 v7, s2, v0, s22
	s_wait_alu 0xf1ff
	v_add_co_ci_u32_e64 v8, null, 0, s23, s2
	v_mov_b32_e32 v5, 0
	v_dual_mov_b32 v6, 0 :: v_dual_mov_b32 v9, 0
	s_delay_alu instid0(VALU_DEP_3)
	v_cmp_gt_u64_e32 vcc_lo, s[18:19], v[7:8]
	v_mov_b32_e32 v10, 0
	s_and_saveexec_b32 s2, vcc_lo
	s_cbranch_execz .LBB86_6
; %bb.5:                                ;   in Loop: Header=BB86_4 Depth=1
	global_load_b64 v[9:10], v[1:2], off
.LBB86_6:                               ;   in Loop: Header=BB86_4 Depth=1
	s_wait_alu 0xfffe
	s_or_b32 exec_lo, exec_lo, s2
	v_add_co_u32 v7, s2, v13, s22
	s_wait_alu 0xf1ff
	v_add_co_ci_u32_e64 v8, null, s23, v16, s2
	s_delay_alu instid0(VALU_DEP_1)
	v_cmp_gt_u64_e64 s2, s[18:19], v[7:8]
	s_and_saveexec_b32 s3, s2
	s_cbranch_execz .LBB86_8
; %bb.7:                                ;   in Loop: Header=BB86_4 Depth=1
	global_load_b64 v[5:6], v[3:4], off
.LBB86_8:                               ;   in Loop: Header=BB86_4 Depth=1
	s_wait_alu 0xfffe
	s_or_b32 exec_lo, exec_lo, s3
	v_add_co_u32 v11, s3, v17, s22
	s_wait_alu 0xf1ff
	v_add_co_ci_u32_e64 v12, null, s23, v18, s3
	v_mov_b32_e32 v7, 0
	v_mov_b32_e32 v8, 0
	s_delay_alu instid0(VALU_DEP_3)
	v_cmp_gt_u64_e64 s3, s[18:19], v[11:12]
	v_mov_b32_e32 v11, 0
	v_mov_b32_e32 v12, 0
	s_and_saveexec_b32 s5, s3
	s_cbranch_execz .LBB86_10
; %bb.9:                                ;   in Loop: Header=BB86_4 Depth=1
	v_add_co_u32 v11, s4, v1, s25
	s_wait_alu 0xf1ff
	v_add_co_ci_u32_e64 v12, null, 0, v2, s4
	global_load_b64 v[11:12], v[11:12], off
.LBB86_10:                              ;   in Loop: Header=BB86_4 Depth=1
	s_wait_alu 0xfffe
	s_or_b32 exec_lo, exec_lo, s5
	v_add_co_u32 v19, s4, v14, s22
	s_wait_alu 0xf1ff
	v_add_co_ci_u32_e64 v20, null, s23, v15, s4
	s_delay_alu instid0(VALU_DEP_1)
	v_cmp_gt_u64_e64 s4, s[18:19], v[19:20]
	s_and_saveexec_b32 s26, s4
	s_cbranch_execnz .LBB86_15
; %bb.11:                               ;   in Loop: Header=BB86_4 Depth=1
	s_or_b32 exec_lo, exec_lo, s26
	s_and_saveexec_b32 s5, vcc_lo
	s_cbranch_execnz .LBB86_16
.LBB86_12:                              ;   in Loop: Header=BB86_4 Depth=1
	s_wait_alu 0xfffe
	s_or_b32 exec_lo, exec_lo, s5
	s_and_saveexec_b32 s5, s2
	s_cbranch_execnz .LBB86_17
.LBB86_13:                              ;   in Loop: Header=BB86_4 Depth=1
	s_wait_alu 0xfffe
	s_or_b32 exec_lo, exec_lo, s5
	s_and_saveexec_b32 s2, s3
	s_cbranch_execnz .LBB86_18
.LBB86_14:                              ;   in Loop: Header=BB86_4 Depth=1
	s_wait_alu 0xfffe
	s_or_b32 exec_lo, exec_lo, s2
	s_and_saveexec_b32 s2, s4
	s_cbranch_execz .LBB86_3
	s_branch .LBB86_19
.LBB86_15:                              ;   in Loop: Header=BB86_4 Depth=1
	v_add_co_u32 v7, s5, v1, s20
	s_wait_alu 0xf1ff
	v_add_co_ci_u32_e64 v8, null, s21, v2, s5
	global_load_b64 v[7:8], v[7:8], off
	s_or_b32 exec_lo, exec_lo, s26
	s_and_saveexec_b32 s5, vcc_lo
	s_cbranch_execz .LBB86_12
.LBB86_16:                              ;   in Loop: Header=BB86_4 Depth=1
	s_wait_loadcnt 0x0
	v_sub_co_u32 v9, vcc_lo, v9, s6
	s_wait_alu 0xfffd
	v_subrev_co_ci_u32_e64 v10, null, s7, v10, vcc_lo
	global_store_b64 v[1:2], v[9:10], off
	s_wait_alu 0xfffe
	s_or_b32 exec_lo, exec_lo, s5
	s_and_saveexec_b32 s5, s2
	s_cbranch_execz .LBB86_13
.LBB86_17:                              ;   in Loop: Header=BB86_4 Depth=1
	s_wait_loadcnt 0x0
	v_sub_co_u32 v5, vcc_lo, v5, s6
	s_wait_alu 0xfffd
	v_subrev_co_ci_u32_e64 v6, null, s7, v6, vcc_lo
	global_store_b64 v[3:4], v[5:6], off
	s_wait_alu 0xfffe
	s_or_b32 exec_lo, exec_lo, s5
	s_and_saveexec_b32 s2, s3
	s_cbranch_execz .LBB86_14
.LBB86_18:                              ;   in Loop: Header=BB86_4 Depth=1
	s_wait_loadcnt 0x0
	v_sub_co_u32 v5, vcc_lo, v11, s6
	s_wait_alu 0xfffd
	v_subrev_co_ci_u32_e64 v6, null, s7, v12, vcc_lo
	v_add_co_u32 v9, vcc_lo, v1, s25
	s_wait_alu 0xfffd
	v_add_co_ci_u32_e64 v10, null, 0, v2, vcc_lo
	global_store_b64 v[9:10], v[5:6], off
	s_wait_alu 0xfffe
	s_or_b32 exec_lo, exec_lo, s2
	s_and_saveexec_b32 s2, s4
	s_cbranch_execz .LBB86_3
.LBB86_19:                              ;   in Loop: Header=BB86_4 Depth=1
	s_wait_loadcnt 0x0
	v_sub_co_u32 v5, vcc_lo, v7, s6
	s_wait_alu 0xfffd
	v_subrev_co_ci_u32_e64 v6, null, s7, v8, vcc_lo
	v_add_co_u32 v7, vcc_lo, v1, s20
	s_wait_alu 0xfffd
	v_add_co_ci_u32_e64 v8, null, s21, v2, vcc_lo
	global_store_b64 v[7:8], v[5:6], off
	s_branch .LBB86_3
.LBB86_20:
	s_cbranch_execz .LBB86_22
	s_branch .LBB86_25
.LBB86_21:
.LBB86_22:
	v_cmp_gt_i64_e64 s2, 0x10000, s[12:13]
	v_dual_mov_b32 v2, 0 :: v_dual_lshlrev_b32 v1, 2, v0
	s_mov_b32 s4, 0
	s_mov_b32 s5, exec_lo
	s_and_b32 s2, s2, exec_lo
	s_cselect_b32 s3, s13, 0
	s_cselect_b32 s2, s12, 0x10000
	s_wait_alu 0xfffe
	v_cmpx_gt_i64_e64 s[2:3], v[1:2]
	s_cbranch_execz .LBB86_25
; %bb.23:
	s_load_b32 s5, s[0:1], 0xd44
	v_lshlrev_b32_e32 v1, 5, v0
	s_add_nc_u64 s[0:1], s[8:9], s[10:11]
	s_delay_alu instid0(VALU_DEP_1) | instid1(SALU_CYCLE_1)
	v_add_co_u32 v3, s0, s0, v1
	s_wait_alu 0xf1ff
	v_add_co_ci_u32_e64 v4, null, s1, 0, s0
	v_mov_b32_e32 v1, v2
	s_delay_alu instid0(VALU_DEP_3) | instskip(SKIP_1) | instid1(VALU_DEP_3)
	v_add_co_u32 v2, vcc_lo, v3, 16
	s_wait_alu 0xfffd
	v_add_co_ci_u32_e64 v3, null, 0, v4, vcc_lo
	s_wait_kmcnt 0x0
	s_and_b32 s1, s5, 0xffff
	s_wait_alu 0xfffe
	s_lshl_b32 s5, s1, 5
.LBB86_24:                              ; =>This Inner Loop Header: Depth=1
	s_wait_loadcnt 0x0
	s_clause 0x1
	global_load_b128 v[4:7], v[2:3], off offset:-16
	global_load_b128 v[8:11], v[2:3], off
	v_add_co_u32 v0, vcc_lo, v0, s1
	s_wait_alu 0xfffd
	v_add_co_ci_u32_e64 v1, null, 0, v1, vcc_lo
	s_delay_alu instid0(VALU_DEP_1)
	v_lshlrev_b64_e32 v[12:13], 2, v[0:1]
	s_wait_loadcnt 0x1
	v_sub_co_u32 v4, vcc_lo, v4, s6
	s_wait_alu 0xfffd
	v_subrev_co_ci_u32_e64 v5, null, s7, v5, vcc_lo
	v_sub_co_u32 v6, vcc_lo, v6, s6
	s_wait_alu 0xfffd
	v_subrev_co_ci_u32_e64 v7, null, s7, v7, vcc_lo
	s_wait_loadcnt 0x0
	v_sub_co_u32 v8, vcc_lo, v8, s6
	s_wait_alu 0xfffd
	v_subrev_co_ci_u32_e64 v9, null, s7, v9, vcc_lo
	v_sub_co_u32 v10, vcc_lo, v10, s6
	s_wait_alu 0xfffd
	v_subrev_co_ci_u32_e64 v11, null, s7, v11, vcc_lo
	v_cmp_le_i64_e32 vcc_lo, s[2:3], v[12:13]
	s_clause 0x1
	global_store_b128 v[2:3], v[4:7], off offset:-16
	global_store_b128 v[2:3], v[8:11], off
	s_wait_alu 0xfffe
	v_add_co_u32 v2, s0, v2, s5
	s_wait_alu 0xf1ff
	v_add_co_ci_u32_e64 v3, null, 0, v3, s0
	s_or_b32 s4, vcc_lo, s4
	s_wait_alu 0xfffe
	s_and_not1_b32 exec_lo, exec_lo, s4
	s_cbranch_execnz .LBB86_24
.LBB86_25:
	s_endpgm
	.section	.rodata,"a",@progbits
	.p2align	6, 0x0
	.amdhsa_kernel _ZN2at6native12_GLOBAL__N_125multi_tensor_apply_kernelINS1_18TensorListMetadataILi1EEENS1_21BinaryOpScalarFunctorIlLi1ELi1ELi0EEEJSt5minusIlElEEEvT_T0_DpT1_
		.amdhsa_group_segment_fixed_size 0
		.amdhsa_private_segment_fixed_size 0
		.amdhsa_kernarg_size 3640
		.amdhsa_user_sgpr_count 2
		.amdhsa_user_sgpr_dispatch_ptr 0
		.amdhsa_user_sgpr_queue_ptr 0
		.amdhsa_user_sgpr_kernarg_segment_ptr 1
		.amdhsa_user_sgpr_dispatch_id 0
		.amdhsa_user_sgpr_private_segment_size 0
		.amdhsa_wavefront_size32 1
		.amdhsa_uses_dynamic_stack 0
		.amdhsa_enable_private_segment 0
		.amdhsa_system_sgpr_workgroup_id_x 1
		.amdhsa_system_sgpr_workgroup_id_y 0
		.amdhsa_system_sgpr_workgroup_id_z 0
		.amdhsa_system_sgpr_workgroup_info 0
		.amdhsa_system_vgpr_workitem_id 0
		.amdhsa_next_free_vgpr 21
		.amdhsa_next_free_sgpr 27
		.amdhsa_reserve_vcc 1
		.amdhsa_float_round_mode_32 0
		.amdhsa_float_round_mode_16_64 0
		.amdhsa_float_denorm_mode_32 3
		.amdhsa_float_denorm_mode_16_64 3
		.amdhsa_fp16_overflow 0
		.amdhsa_workgroup_processor_mode 1
		.amdhsa_memory_ordered 1
		.amdhsa_forward_progress 1
		.amdhsa_inst_pref_size 12
		.amdhsa_round_robin_scheduling 0
		.amdhsa_exception_fp_ieee_invalid_op 0
		.amdhsa_exception_fp_denorm_src 0
		.amdhsa_exception_fp_ieee_div_zero 0
		.amdhsa_exception_fp_ieee_overflow 0
		.amdhsa_exception_fp_ieee_underflow 0
		.amdhsa_exception_fp_ieee_inexact 0
		.amdhsa_exception_int_div_zero 0
	.end_amdhsa_kernel
	.section	.text._ZN2at6native12_GLOBAL__N_125multi_tensor_apply_kernelINS1_18TensorListMetadataILi1EEENS1_21BinaryOpScalarFunctorIlLi1ELi1ELi0EEEJSt5minusIlElEEEvT_T0_DpT1_,"axG",@progbits,_ZN2at6native12_GLOBAL__N_125multi_tensor_apply_kernelINS1_18TensorListMetadataILi1EEENS1_21BinaryOpScalarFunctorIlLi1ELi1ELi0EEEJSt5minusIlElEEEvT_T0_DpT1_,comdat
.Lfunc_end86:
	.size	_ZN2at6native12_GLOBAL__N_125multi_tensor_apply_kernelINS1_18TensorListMetadataILi1EEENS1_21BinaryOpScalarFunctorIlLi1ELi1ELi0EEEJSt5minusIlElEEEvT_T0_DpT1_, .Lfunc_end86-_ZN2at6native12_GLOBAL__N_125multi_tensor_apply_kernelINS1_18TensorListMetadataILi1EEENS1_21BinaryOpScalarFunctorIlLi1ELi1ELi0EEEJSt5minusIlElEEEvT_T0_DpT1_
                                        ; -- End function
	.set _ZN2at6native12_GLOBAL__N_125multi_tensor_apply_kernelINS1_18TensorListMetadataILi1EEENS1_21BinaryOpScalarFunctorIlLi1ELi1ELi0EEEJSt5minusIlElEEEvT_T0_DpT1_.num_vgpr, 21
	.set _ZN2at6native12_GLOBAL__N_125multi_tensor_apply_kernelINS1_18TensorListMetadataILi1EEENS1_21BinaryOpScalarFunctorIlLi1ELi1ELi0EEEJSt5minusIlElEEEvT_T0_DpT1_.num_agpr, 0
	.set _ZN2at6native12_GLOBAL__N_125multi_tensor_apply_kernelINS1_18TensorListMetadataILi1EEENS1_21BinaryOpScalarFunctorIlLi1ELi1ELi0EEEJSt5minusIlElEEEvT_T0_DpT1_.numbered_sgpr, 27
	.set _ZN2at6native12_GLOBAL__N_125multi_tensor_apply_kernelINS1_18TensorListMetadataILi1EEENS1_21BinaryOpScalarFunctorIlLi1ELi1ELi0EEEJSt5minusIlElEEEvT_T0_DpT1_.num_named_barrier, 0
	.set _ZN2at6native12_GLOBAL__N_125multi_tensor_apply_kernelINS1_18TensorListMetadataILi1EEENS1_21BinaryOpScalarFunctorIlLi1ELi1ELi0EEEJSt5minusIlElEEEvT_T0_DpT1_.private_seg_size, 0
	.set _ZN2at6native12_GLOBAL__N_125multi_tensor_apply_kernelINS1_18TensorListMetadataILi1EEENS1_21BinaryOpScalarFunctorIlLi1ELi1ELi0EEEJSt5minusIlElEEEvT_T0_DpT1_.uses_vcc, 1
	.set _ZN2at6native12_GLOBAL__N_125multi_tensor_apply_kernelINS1_18TensorListMetadataILi1EEENS1_21BinaryOpScalarFunctorIlLi1ELi1ELi0EEEJSt5minusIlElEEEvT_T0_DpT1_.uses_flat_scratch, 0
	.set _ZN2at6native12_GLOBAL__N_125multi_tensor_apply_kernelINS1_18TensorListMetadataILi1EEENS1_21BinaryOpScalarFunctorIlLi1ELi1ELi0EEEJSt5minusIlElEEEvT_T0_DpT1_.has_dyn_sized_stack, 0
	.set _ZN2at6native12_GLOBAL__N_125multi_tensor_apply_kernelINS1_18TensorListMetadataILi1EEENS1_21BinaryOpScalarFunctorIlLi1ELi1ELi0EEEJSt5minusIlElEEEvT_T0_DpT1_.has_recursion, 0
	.set _ZN2at6native12_GLOBAL__N_125multi_tensor_apply_kernelINS1_18TensorListMetadataILi1EEENS1_21BinaryOpScalarFunctorIlLi1ELi1ELi0EEEJSt5minusIlElEEEvT_T0_DpT1_.has_indirect_call, 0
	.section	.AMDGPU.csdata,"",@progbits
; Kernel info:
; codeLenInByte = 1436
; TotalNumSgprs: 29
; NumVgprs: 21
; ScratchSize: 0
; MemoryBound: 0
; FloatMode: 240
; IeeeMode: 1
; LDSByteSize: 0 bytes/workgroup (compile time only)
; SGPRBlocks: 0
; VGPRBlocks: 2
; NumSGPRsForWavesPerEU: 29
; NumVGPRsForWavesPerEU: 21
; Occupancy: 16
; WaveLimiterHint : 0
; COMPUTE_PGM_RSRC2:SCRATCH_EN: 0
; COMPUTE_PGM_RSRC2:USER_SGPR: 2
; COMPUTE_PGM_RSRC2:TRAP_HANDLER: 0
; COMPUTE_PGM_RSRC2:TGID_X_EN: 1
; COMPUTE_PGM_RSRC2:TGID_Y_EN: 0
; COMPUTE_PGM_RSRC2:TGID_Z_EN: 0
; COMPUTE_PGM_RSRC2:TIDIG_COMP_CNT: 0
	.section	.text._ZN2at6native12_GLOBAL__N_125multi_tensor_apply_kernelINS1_18TensorListMetadataILi1EEENS1_21BinaryOpScalarFunctorIsLi1ELi1ELi0EEEJSt5minusIsEsEEEvT_T0_DpT1_,"axG",@progbits,_ZN2at6native12_GLOBAL__N_125multi_tensor_apply_kernelINS1_18TensorListMetadataILi1EEENS1_21BinaryOpScalarFunctorIsLi1ELi1ELi0EEEJSt5minusIsEsEEEvT_T0_DpT1_,comdat
	.globl	_ZN2at6native12_GLOBAL__N_125multi_tensor_apply_kernelINS1_18TensorListMetadataILi1EEENS1_21BinaryOpScalarFunctorIsLi1ELi1ELi0EEEJSt5minusIsEsEEEvT_T0_DpT1_ ; -- Begin function _ZN2at6native12_GLOBAL__N_125multi_tensor_apply_kernelINS1_18TensorListMetadataILi1EEENS1_21BinaryOpScalarFunctorIsLi1ELi1ELi0EEEJSt5minusIsEsEEEvT_T0_DpT1_
	.p2align	8
	.type	_ZN2at6native12_GLOBAL__N_125multi_tensor_apply_kernelINS1_18TensorListMetadataILi1EEENS1_21BinaryOpScalarFunctorIsLi1ELi1ELi0EEEJSt5minusIsEsEEEvT_T0_DpT1_,@function
_ZN2at6native12_GLOBAL__N_125multi_tensor_apply_kernelINS1_18TensorListMetadataILi1EEENS1_21BinaryOpScalarFunctorIsLi1ELi1ELi0EEEJSt5minusIsEsEEEvT_T0_DpT1_: ; @_ZN2at6native12_GLOBAL__N_125multi_tensor_apply_kernelINS1_18TensorListMetadataILi1EEENS1_21BinaryOpScalarFunctorIsLi1ELi1ELi0EEEJSt5minusIsEsEEEvT_T0_DpT1_
; %bb.0:
	s_load_u8 s8, s[0:1], ttmp9 offset:0x6e0
	s_mov_b32 s2, ttmp9
	s_mov_b32 s3, 0
	s_delay_alu instid0(SALU_CYCLE_1)
	s_mul_u64 s[4:5], s[2:3], 3
	s_add_nc_u64 s[6:7], s[0:1], s[2:3]
	s_mov_b32 s13, s3
	s_add_nc_u64 s[4:5], s[6:7], s[4:5]
	s_load_b32 s4, s[4:5], 0x820
	s_wait_kmcnt 0x0
	s_lshl_b32 s2, s8, 3
	s_clause 0x2
	s_load_b32 s5, s[0:1], 0xd28
	s_load_b64 s[6:7], s[0:1], s2 offset:0x0
	s_load_b64 s[10:11], s[0:1], s2 offset:0x370
	s_wait_kmcnt 0x0
	s_lshr_b32 s22, s5, 16
	s_ashr_i32 s5, s4, 31
	s_and_b32 s2, s6, 7
	s_and_b32 s12, s10, 3
	s_lshl_b64 s[8:9], s[4:5], 17
	s_or_b64 s[2:3], s[2:3], s[12:13]
	s_lshl_b64 s[4:5], s[4:5], 16
	s_cmp_eq_u64 s[2:3], 0
	s_sub_nc_u64 s[10:11], s[10:11], s[4:5]
	s_cbranch_scc1 .LBB87_21
; %bb.1:
	v_cmp_lt_i64_e64 s2, s[10:11], 1
	s_and_b32 vcc_lo, exec_lo, s2
	s_cbranch_vccnz .LBB87_20
; %bb.2:
	s_load_b32 s2, s[0:1], 0xd3c
	v_cmp_gt_i64_e64 s12, 0x10000, s[10:11]
	v_lshlrev_b32_e32 v1, 1, v0
	s_add_nc_u64 s[4:5], s[6:7], s[8:9]
	v_cmp_gt_u64_e64 s14, 0x10000, s[10:11]
	s_mov_b32 s3, 0
	v_add_co_u32 v1, s13, s4, v1
	s_and_b32 s12, s12, exec_lo
	v_add_co_ci_u32_e64 v2, null, s5, 0, s13
	s_cselect_b32 s13, s11, 0
	s_cselect_b32 s12, s10, 0x10000
	s_wait_kmcnt 0x0
	s_and_b32 s2, s2, 0xffff
	s_and_b32 s14, s14, exec_lo
	v_add_co_u32 v5, s21, v0, s2
	s_cselect_b32 s15, s11, 0
	s_cselect_b32 s14, s10, 0x10000
	s_lshl_b32 s17, s2, 1
	v_lshlrev_b32_e32 v3, 1, v5
	s_mul_i32 s20, s2, 3
	v_add_co_u32 v9, s17, s17, v0
	v_add_co_u32 v6, s20, s20, v0
	s_delay_alu instid0(VALU_DEP_3)
	v_add_co_u32 v3, s4, s4, v3
	s_wait_alu 0xf1ff
	v_add_co_ci_u32_e64 v7, null, 0, 0, s20
	v_add_co_ci_u32_e64 v8, null, 0, 0, s21
	;; [unrolled: 1-line block ×4, first 2 shown]
	s_lshl_b32 s16, s2, 2
	s_mul_u64 s[18:19], s[2:3], 6
	s_mov_b32 s17, s3
	s_lshl_b32 s23, s2, 3
	s_mov_b64 s[20:21], 0
	s_branch .LBB87_4
.LBB87_3:                               ;   in Loop: Header=BB87_4 Depth=1
	s_wait_alu 0xfffe
	s_or_b32 exec_lo, exec_lo, s2
	s_add_nc_u64 s[20:21], s[20:21], s[16:17]
	v_add_co_u32 v1, vcc_lo, v1, s23
	s_wait_alu 0xfffe
	v_cmp_lt_i64_e64 s2, s[20:21], s[12:13]
	s_wait_alu 0xfffd
	v_add_co_ci_u32_e64 v2, null, 0, v2, vcc_lo
	v_add_co_u32 v3, vcc_lo, v3, s23
	s_wait_alu 0xfffd
	v_add_co_ci_u32_e64 v4, null, 0, v4, vcc_lo
	s_and_b32 vcc_lo, exec_lo, s2
	s_wait_alu 0xfffe
	s_cbranch_vccz .LBB87_20
.LBB87_4:                               ; =>This Inner Loop Header: Depth=1
	s_wait_loadcnt 0x0
	s_wait_alu 0xfffe
	v_add_co_u32 v11, s2, v0, s20
	s_wait_alu 0xf1ff
	v_add_co_ci_u32_e64 v12, null, 0, s21, s2
	s_delay_alu instid0(VALU_DEP_1)
	v_cmp_gt_u64_e32 vcc_lo, s[14:15], v[11:12]
	v_mov_b32_e32 v11, 0
	s_and_saveexec_b32 s2, vcc_lo
	s_cbranch_execz .LBB87_6
; %bb.5:                                ;   in Loop: Header=BB87_4 Depth=1
	global_load_u16 v11, v[1:2], off
.LBB87_6:                               ;   in Loop: Header=BB87_4 Depth=1
	s_wait_alu 0xfffe
	s_or_b32 exec_lo, exec_lo, s2
	v_add_co_u32 v12, s2, v5, s20
	s_wait_alu 0xf1ff
	v_add_co_ci_u32_e64 v13, null, s21, v8, s2
	s_delay_alu instid0(VALU_DEP_1)
	v_cmp_gt_u64_e64 s2, s[14:15], v[12:13]
	v_dual_mov_b32 v12, 0 :: v_dual_mov_b32 v13, 0
	s_and_saveexec_b32 s3, s2
	s_cbranch_execz .LBB87_8
; %bb.7:                                ;   in Loop: Header=BB87_4 Depth=1
	global_load_u16 v13, v[3:4], off
.LBB87_8:                               ;   in Loop: Header=BB87_4 Depth=1
	s_wait_alu 0xfffe
	s_or_b32 exec_lo, exec_lo, s3
	v_add_co_u32 v14, s3, v9, s20
	s_wait_alu 0xf1ff
	v_add_co_ci_u32_e64 v15, null, s21, v10, s3
	s_delay_alu instid0(VALU_DEP_1)
	v_cmp_gt_u64_e64 s3, s[14:15], v[14:15]
	s_and_saveexec_b32 s5, s3
	s_cbranch_execz .LBB87_10
; %bb.9:                                ;   in Loop: Header=BB87_4 Depth=1
	v_add_co_u32 v14, s4, v1, s16
	s_wait_alu 0xf1ff
	v_add_co_ci_u32_e64 v15, null, 0, v2, s4
	global_load_u16 v12, v[14:15], off
.LBB87_10:                              ;   in Loop: Header=BB87_4 Depth=1
	s_wait_alu 0xfffe
	s_or_b32 exec_lo, exec_lo, s5
	v_add_co_u32 v14, s4, v6, s20
	s_wait_alu 0xf1ff
	v_add_co_ci_u32_e64 v15, null, s21, v7, s4
	s_delay_alu instid0(VALU_DEP_1)
	v_cmp_gt_u64_e64 s4, s[14:15], v[14:15]
	v_mov_b32_e32 v14, 0
	s_and_saveexec_b32 s24, s4
	s_cbranch_execnz .LBB87_15
; %bb.11:                               ;   in Loop: Header=BB87_4 Depth=1
	s_or_b32 exec_lo, exec_lo, s24
	s_and_saveexec_b32 s5, vcc_lo
	s_cbranch_execnz .LBB87_16
.LBB87_12:                              ;   in Loop: Header=BB87_4 Depth=1
	s_wait_alu 0xfffe
	s_or_b32 exec_lo, exec_lo, s5
	s_and_saveexec_b32 s5, s2
	s_cbranch_execnz .LBB87_17
.LBB87_13:                              ;   in Loop: Header=BB87_4 Depth=1
	s_wait_alu 0xfffe
	s_or_b32 exec_lo, exec_lo, s5
	s_and_saveexec_b32 s2, s3
	s_cbranch_execnz .LBB87_18
.LBB87_14:                              ;   in Loop: Header=BB87_4 Depth=1
	s_wait_alu 0xfffe
	s_or_b32 exec_lo, exec_lo, s2
	s_and_saveexec_b32 s2, s4
	s_cbranch_execz .LBB87_3
	s_branch .LBB87_19
.LBB87_15:                              ;   in Loop: Header=BB87_4 Depth=1
	v_add_co_u32 v14, s5, v1, s18
	s_wait_alu 0xf1ff
	v_add_co_ci_u32_e64 v15, null, s19, v2, s5
	global_load_u16 v14, v[14:15], off
	s_or_b32 exec_lo, exec_lo, s24
	s_and_saveexec_b32 s5, vcc_lo
	s_cbranch_execz .LBB87_12
.LBB87_16:                              ;   in Loop: Header=BB87_4 Depth=1
	s_wait_loadcnt 0x0
	v_sub_nc_u16 v11, v11, s22
	global_store_b16 v[1:2], v11, off
	s_wait_alu 0xfffe
	s_or_b32 exec_lo, exec_lo, s5
	s_and_saveexec_b32 s5, s2
	s_cbranch_execz .LBB87_13
.LBB87_17:                              ;   in Loop: Header=BB87_4 Depth=1
	s_wait_loadcnt 0x0
	v_sub_nc_u16 v11, v13, s22
	global_store_b16 v[3:4], v11, off
	s_wait_alu 0xfffe
	s_or_b32 exec_lo, exec_lo, s5
	s_and_saveexec_b32 s2, s3
	s_cbranch_execz .LBB87_14
.LBB87_18:                              ;   in Loop: Header=BB87_4 Depth=1
	s_wait_loadcnt 0x0
	v_add_co_u32 v11, vcc_lo, v1, s16
	v_sub_nc_u16 v13, v12, s22
	s_wait_alu 0xfffd
	v_add_co_ci_u32_e64 v12, null, 0, v2, vcc_lo
	global_store_b16 v[11:12], v13, off
	s_wait_alu 0xfffe
	s_or_b32 exec_lo, exec_lo, s2
	s_and_saveexec_b32 s2, s4
	s_cbranch_execz .LBB87_3
.LBB87_19:                              ;   in Loop: Header=BB87_4 Depth=1
	s_wait_loadcnt 0x0
	v_add_co_u32 v11, vcc_lo, v1, s18
	v_sub_nc_u16 v13, v14, s22
	s_wait_alu 0xfffd
	v_add_co_ci_u32_e64 v12, null, s19, v2, vcc_lo
	global_store_b16 v[11:12], v13, off
	s_branch .LBB87_3
.LBB87_20:
	s_cbranch_execz .LBB87_22
	s_branch .LBB87_25
.LBB87_21:
.LBB87_22:
	v_cmp_gt_i64_e64 s2, 0x10000, s[10:11]
	v_dual_mov_b32 v2, 0 :: v_dual_lshlrev_b32 v1, 2, v0
	s_mov_b32 s4, 0
	s_mov_b32 s5, exec_lo
	s_and_b32 s2, s2, exec_lo
	s_cselect_b32 s3, s11, 0
	s_cselect_b32 s2, s10, 0x10000
	s_wait_alu 0xfffe
	v_cmpx_gt_i64_e64 s[2:3], v[1:2]
	s_cbranch_execz .LBB87_25
; %bb.23:
	s_load_b32 s5, s[0:1], 0xd3c
	v_lshlrev_b32_e32 v3, 3, v0
	s_add_nc_u64 s[0:1], s[6:7], s[8:9]
	v_mov_b32_e32 v1, v2
	s_delay_alu instid0(VALU_DEP_2)
	v_add_co_u32 v2, s0, s0, v3
	s_wait_alu 0xf1ff
	v_add_co_ci_u32_e64 v3, null, s1, 0, s0
	s_wait_kmcnt 0x0
	s_and_b32 s1, s5, 0xffff
	s_wait_alu 0xfffe
	s_lshl_b32 s5, s1, 3
.LBB87_24:                              ; =>This Inner Loop Header: Depth=1
	global_load_b64 v[4:5], v[2:3], off
	v_add_co_u32 v0, vcc_lo, v0, s1
	s_wait_alu 0xfffd
	v_add_co_ci_u32_e64 v1, null, 0, v1, vcc_lo
	s_wait_loadcnt 0x0
	v_lshrrev_b32_e32 v6, 16, v4
	v_lshrrev_b32_e32 v7, 16, v5
	v_sub_nc_u16 v8, v4, s22
	v_sub_nc_u16 v9, v5, s22
	v_lshlrev_b64_e32 v[4:5], 2, v[0:1]
	v_sub_nc_u16 v6, v6, s22
	v_sub_nc_u16 v7, v7, s22
	s_delay_alu instid0(VALU_DEP_3) | instskip(NEXT) | instid1(VALU_DEP_2)
	v_cmp_le_i64_e32 vcc_lo, s[2:3], v[4:5]
	v_perm_b32 v7, v7, v9, 0x5040100
	s_delay_alu instid0(VALU_DEP_4)
	v_perm_b32 v6, v6, v8, 0x5040100
	s_or_b32 s4, vcc_lo, s4
	global_store_b64 v[2:3], v[6:7], off
	s_wait_alu 0xfffe
	v_add_co_u32 v2, s0, v2, s5
	s_wait_alu 0xf1ff
	v_add_co_ci_u32_e64 v3, null, 0, v3, s0
	s_and_not1_b32 exec_lo, exec_lo, s4
	s_cbranch_execnz .LBB87_24
.LBB87_25:
	s_endpgm
	.section	.rodata,"a",@progbits
	.p2align	6, 0x0
	.amdhsa_kernel _ZN2at6native12_GLOBAL__N_125multi_tensor_apply_kernelINS1_18TensorListMetadataILi1EEENS1_21BinaryOpScalarFunctorIsLi1ELi1ELi0EEEJSt5minusIsEsEEEvT_T0_DpT1_
		.amdhsa_group_segment_fixed_size 0
		.amdhsa_private_segment_fixed_size 0
		.amdhsa_kernarg_size 3632
		.amdhsa_user_sgpr_count 2
		.amdhsa_user_sgpr_dispatch_ptr 0
		.amdhsa_user_sgpr_queue_ptr 0
		.amdhsa_user_sgpr_kernarg_segment_ptr 1
		.amdhsa_user_sgpr_dispatch_id 0
		.amdhsa_user_sgpr_private_segment_size 0
		.amdhsa_wavefront_size32 1
		.amdhsa_uses_dynamic_stack 0
		.amdhsa_enable_private_segment 0
		.amdhsa_system_sgpr_workgroup_id_x 1
		.amdhsa_system_sgpr_workgroup_id_y 0
		.amdhsa_system_sgpr_workgroup_id_z 0
		.amdhsa_system_sgpr_workgroup_info 0
		.amdhsa_system_vgpr_workitem_id 0
		.amdhsa_next_free_vgpr 16
		.amdhsa_next_free_sgpr 25
		.amdhsa_reserve_vcc 1
		.amdhsa_float_round_mode_32 0
		.amdhsa_float_round_mode_16_64 0
		.amdhsa_float_denorm_mode_32 3
		.amdhsa_float_denorm_mode_16_64 3
		.amdhsa_fp16_overflow 0
		.amdhsa_workgroup_processor_mode 1
		.amdhsa_memory_ordered 1
		.amdhsa_forward_progress 1
		.amdhsa_inst_pref_size 11
		.amdhsa_round_robin_scheduling 0
		.amdhsa_exception_fp_ieee_invalid_op 0
		.amdhsa_exception_fp_denorm_src 0
		.amdhsa_exception_fp_ieee_div_zero 0
		.amdhsa_exception_fp_ieee_overflow 0
		.amdhsa_exception_fp_ieee_underflow 0
		.amdhsa_exception_fp_ieee_inexact 0
		.amdhsa_exception_int_div_zero 0
	.end_amdhsa_kernel
	.section	.text._ZN2at6native12_GLOBAL__N_125multi_tensor_apply_kernelINS1_18TensorListMetadataILi1EEENS1_21BinaryOpScalarFunctorIsLi1ELi1ELi0EEEJSt5minusIsEsEEEvT_T0_DpT1_,"axG",@progbits,_ZN2at6native12_GLOBAL__N_125multi_tensor_apply_kernelINS1_18TensorListMetadataILi1EEENS1_21BinaryOpScalarFunctorIsLi1ELi1ELi0EEEJSt5minusIsEsEEEvT_T0_DpT1_,comdat
.Lfunc_end87:
	.size	_ZN2at6native12_GLOBAL__N_125multi_tensor_apply_kernelINS1_18TensorListMetadataILi1EEENS1_21BinaryOpScalarFunctorIsLi1ELi1ELi0EEEJSt5minusIsEsEEEvT_T0_DpT1_, .Lfunc_end87-_ZN2at6native12_GLOBAL__N_125multi_tensor_apply_kernelINS1_18TensorListMetadataILi1EEENS1_21BinaryOpScalarFunctorIsLi1ELi1ELi0EEEJSt5minusIsEsEEEvT_T0_DpT1_
                                        ; -- End function
	.set _ZN2at6native12_GLOBAL__N_125multi_tensor_apply_kernelINS1_18TensorListMetadataILi1EEENS1_21BinaryOpScalarFunctorIsLi1ELi1ELi0EEEJSt5minusIsEsEEEvT_T0_DpT1_.num_vgpr, 16
	.set _ZN2at6native12_GLOBAL__N_125multi_tensor_apply_kernelINS1_18TensorListMetadataILi1EEENS1_21BinaryOpScalarFunctorIsLi1ELi1ELi0EEEJSt5minusIsEsEEEvT_T0_DpT1_.num_agpr, 0
	.set _ZN2at6native12_GLOBAL__N_125multi_tensor_apply_kernelINS1_18TensorListMetadataILi1EEENS1_21BinaryOpScalarFunctorIsLi1ELi1ELi0EEEJSt5minusIsEsEEEvT_T0_DpT1_.numbered_sgpr, 25
	.set _ZN2at6native12_GLOBAL__N_125multi_tensor_apply_kernelINS1_18TensorListMetadataILi1EEENS1_21BinaryOpScalarFunctorIsLi1ELi1ELi0EEEJSt5minusIsEsEEEvT_T0_DpT1_.num_named_barrier, 0
	.set _ZN2at6native12_GLOBAL__N_125multi_tensor_apply_kernelINS1_18TensorListMetadataILi1EEENS1_21BinaryOpScalarFunctorIsLi1ELi1ELi0EEEJSt5minusIsEsEEEvT_T0_DpT1_.private_seg_size, 0
	.set _ZN2at6native12_GLOBAL__N_125multi_tensor_apply_kernelINS1_18TensorListMetadataILi1EEENS1_21BinaryOpScalarFunctorIsLi1ELi1ELi0EEEJSt5minusIsEsEEEvT_T0_DpT1_.uses_vcc, 1
	.set _ZN2at6native12_GLOBAL__N_125multi_tensor_apply_kernelINS1_18TensorListMetadataILi1EEENS1_21BinaryOpScalarFunctorIsLi1ELi1ELi0EEEJSt5minusIsEsEEEvT_T0_DpT1_.uses_flat_scratch, 0
	.set _ZN2at6native12_GLOBAL__N_125multi_tensor_apply_kernelINS1_18TensorListMetadataILi1EEENS1_21BinaryOpScalarFunctorIsLi1ELi1ELi0EEEJSt5minusIsEsEEEvT_T0_DpT1_.has_dyn_sized_stack, 0
	.set _ZN2at6native12_GLOBAL__N_125multi_tensor_apply_kernelINS1_18TensorListMetadataILi1EEENS1_21BinaryOpScalarFunctorIsLi1ELi1ELi0EEEJSt5minusIsEsEEEvT_T0_DpT1_.has_recursion, 0
	.set _ZN2at6native12_GLOBAL__N_125multi_tensor_apply_kernelINS1_18TensorListMetadataILi1EEENS1_21BinaryOpScalarFunctorIsLi1ELi1ELi0EEEJSt5minusIsEsEEEvT_T0_DpT1_.has_indirect_call, 0
	.section	.AMDGPU.csdata,"",@progbits
; Kernel info:
; codeLenInByte = 1284
; TotalNumSgprs: 27
; NumVgprs: 16
; ScratchSize: 0
; MemoryBound: 0
; FloatMode: 240
; IeeeMode: 1
; LDSByteSize: 0 bytes/workgroup (compile time only)
; SGPRBlocks: 0
; VGPRBlocks: 1
; NumSGPRsForWavesPerEU: 27
; NumVGPRsForWavesPerEU: 16
; Occupancy: 16
; WaveLimiterHint : 0
; COMPUTE_PGM_RSRC2:SCRATCH_EN: 0
; COMPUTE_PGM_RSRC2:USER_SGPR: 2
; COMPUTE_PGM_RSRC2:TRAP_HANDLER: 0
; COMPUTE_PGM_RSRC2:TGID_X_EN: 1
; COMPUTE_PGM_RSRC2:TGID_Y_EN: 0
; COMPUTE_PGM_RSRC2:TGID_Z_EN: 0
; COMPUTE_PGM_RSRC2:TIDIG_COMP_CNT: 0
	.section	.text._ZN2at6native12_GLOBAL__N_125multi_tensor_apply_kernelINS1_18TensorListMetadataILi1EEENS1_21BinaryOpScalarFunctorIdLi1ELi1ELi0EEEJSt5minusIdEdEEEvT_T0_DpT1_,"axG",@progbits,_ZN2at6native12_GLOBAL__N_125multi_tensor_apply_kernelINS1_18TensorListMetadataILi1EEENS1_21BinaryOpScalarFunctorIdLi1ELi1ELi0EEEJSt5minusIdEdEEEvT_T0_DpT1_,comdat
	.globl	_ZN2at6native12_GLOBAL__N_125multi_tensor_apply_kernelINS1_18TensorListMetadataILi1EEENS1_21BinaryOpScalarFunctorIdLi1ELi1ELi0EEEJSt5minusIdEdEEEvT_T0_DpT1_ ; -- Begin function _ZN2at6native12_GLOBAL__N_125multi_tensor_apply_kernelINS1_18TensorListMetadataILi1EEENS1_21BinaryOpScalarFunctorIdLi1ELi1ELi0EEEJSt5minusIdEdEEEvT_T0_DpT1_
	.p2align	8
	.type	_ZN2at6native12_GLOBAL__N_125multi_tensor_apply_kernelINS1_18TensorListMetadataILi1EEENS1_21BinaryOpScalarFunctorIdLi1ELi1ELi0EEEJSt5minusIdEdEEEvT_T0_DpT1_,@function
_ZN2at6native12_GLOBAL__N_125multi_tensor_apply_kernelINS1_18TensorListMetadataILi1EEENS1_21BinaryOpScalarFunctorIdLi1ELi1ELi0EEEJSt5minusIdEdEEEvT_T0_DpT1_: ; @_ZN2at6native12_GLOBAL__N_125multi_tensor_apply_kernelINS1_18TensorListMetadataILi1EEENS1_21BinaryOpScalarFunctorIdLi1ELi1ELi0EEEJSt5minusIdEdEEEvT_T0_DpT1_
; %bb.0:
	s_load_u8 s8, s[0:1], ttmp9 offset:0x6e0
	s_mov_b32 s2, ttmp9
	s_mov_b32 s3, 0
	s_delay_alu instid0(SALU_CYCLE_1)
	s_mul_u64 s[4:5], s[2:3], 3
	s_add_nc_u64 s[6:7], s[0:1], s[2:3]
	s_mov_b32 s15, s3
	s_add_nc_u64 s[4:5], s[6:7], s[4:5]
	s_load_b32 s4, s[4:5], 0x820
	s_wait_kmcnt 0x0
	s_lshl_b32 s2, s8, 3
	s_clause 0x2
	s_load_b64 s[8:9], s[0:1], s2 offset:0x0
	s_load_b64 s[12:13], s[0:1], s2 offset:0x370
	s_load_b64 s[6:7], s[0:1], 0xd30
	s_ashr_i32 s5, s4, 31
	s_delay_alu instid0(SALU_CYCLE_1)
	s_lshl_b64 s[10:11], s[4:5], 19
	s_lshl_b64 s[4:5], s[4:5], 16
	s_wait_kmcnt 0x0
	s_and_b32 s2, s8, 31
	s_and_b32 s14, s12, 3
	s_sub_nc_u64 s[12:13], s[12:13], s[4:5]
	s_or_b64 s[2:3], s[2:3], s[14:15]
	s_delay_alu instid0(SALU_CYCLE_1)
	s_cmp_eq_u64 s[2:3], 0
	s_cbranch_scc1 .LBB88_21
; %bb.1:
	v_cmp_lt_i64_e64 s2, s[12:13], 1
	s_and_b32 vcc_lo, exec_lo, s2
	s_cbranch_vccnz .LBB88_20
; %bb.2:
	s_load_b32 s2, s[0:1], 0xd44
	v_cmp_gt_i64_e64 s14, 0x10000, s[12:13]
	v_lshlrev_b32_e32 v1, 3, v0
	s_add_nc_u64 s[4:5], s[8:9], s[10:11]
	s_mov_b32 s3, 0
	v_cmp_gt_u64_e64 s18, 0x10000, s[12:13]
	s_mov_b32 s15, s3
	v_add_co_u32 v1, s16, s4, v1
	s_and_b32 s14, s14, exec_lo
	v_add_co_ci_u32_e64 v2, null, s5, 0, s16
	s_cselect_b32 s17, s13, 0
	s_cselect_b32 s16, s12, 0x10000
	s_wait_kmcnt 0x0
	s_and_b32 s2, s2, 0xffff
	s_and_b32 s14, s18, exec_lo
	s_mul_u64 s[20:21], s[2:3], 24
	v_add_co_u32 v13, s3, v0, s2
	s_cselect_b32 s19, s13, 0
	s_cselect_b32 s18, s12, 0x10000
	s_lshl_b32 s22, s2, 1
	v_lshlrev_b32_e32 v3, 3, v13
	s_mul_i32 s23, s2, 3
	v_add_co_ci_u32_e64 v16, null, 0, 0, s3
	v_add_co_u32 v17, s3, s22, v0
	v_add_co_u32 v14, s23, s23, v0
	s_wait_alu 0xf1ff
	v_add_co_ci_u32_e64 v18, null, 0, 0, s3
	v_add_co_u32 v3, s3, s4, v3
	v_add_co_ci_u32_e64 v15, null, 0, 0, s23
	s_wait_alu 0xf1ff
	v_add_co_ci_u32_e64 v4, null, s5, 0, s3
	s_lshl_b32 s14, s2, 2
	s_lshl_b32 s24, s2, 5
	;; [unrolled: 1-line block ×3, first 2 shown]
	s_mov_b64 s[22:23], 0
	s_branch .LBB88_4
.LBB88_3:                               ;   in Loop: Header=BB88_4 Depth=1
	s_wait_alu 0xfffe
	s_or_b32 exec_lo, exec_lo, s2
	s_add_nc_u64 s[22:23], s[22:23], s[14:15]
	v_add_co_u32 v1, vcc_lo, v1, s24
	s_wait_alu 0xfffe
	v_cmp_lt_i64_e64 s2, s[22:23], s[16:17]
	s_wait_alu 0xfffd
	v_add_co_ci_u32_e64 v2, null, 0, v2, vcc_lo
	v_add_co_u32 v3, vcc_lo, v3, s24
	s_wait_alu 0xfffd
	v_add_co_ci_u32_e64 v4, null, 0, v4, vcc_lo
	s_and_b32 vcc_lo, exec_lo, s2
	s_wait_alu 0xfffe
	s_cbranch_vccz .LBB88_20
.LBB88_4:                               ; =>This Inner Loop Header: Depth=1
	s_wait_loadcnt 0x0
	s_wait_alu 0xfffe
	v_add_co_u32 v7, s2, v0, s22
	s_wait_alu 0xf1ff
	v_add_co_ci_u32_e64 v8, null, 0, s23, s2
	v_mov_b32_e32 v5, 0
	v_mov_b32_e32 v6, 0
	s_delay_alu instid0(VALU_DEP_3)
	v_cmp_gt_u64_e32 vcc_lo, s[18:19], v[7:8]
	v_mov_b32_e32 v7, 0
	v_mov_b32_e32 v8, 0
	s_and_saveexec_b32 s2, vcc_lo
	s_cbranch_execz .LBB88_6
; %bb.5:                                ;   in Loop: Header=BB88_4 Depth=1
	global_load_b64 v[7:8], v[1:2], off
.LBB88_6:                               ;   in Loop: Header=BB88_4 Depth=1
	s_wait_alu 0xfffe
	s_or_b32 exec_lo, exec_lo, s2
	v_add_co_u32 v9, s2, v13, s22
	s_wait_alu 0xf1ff
	v_add_co_ci_u32_e64 v10, null, s23, v16, s2
	s_delay_alu instid0(VALU_DEP_1)
	v_cmp_gt_u64_e64 s2, s[18:19], v[9:10]
	s_and_saveexec_b32 s3, s2
	s_cbranch_execz .LBB88_8
; %bb.7:                                ;   in Loop: Header=BB88_4 Depth=1
	global_load_b64 v[5:6], v[3:4], off
.LBB88_8:                               ;   in Loop: Header=BB88_4 Depth=1
	s_wait_alu 0xfffe
	s_or_b32 exec_lo, exec_lo, s3
	v_add_co_u32 v11, s3, v17, s22
	s_wait_alu 0xf1ff
	v_add_co_ci_u32_e64 v12, null, s23, v18, s3
	v_mov_b32_e32 v9, 0
	v_mov_b32_e32 v10, 0
	s_delay_alu instid0(VALU_DEP_3)
	v_cmp_gt_u64_e64 s3, s[18:19], v[11:12]
	v_mov_b32_e32 v11, 0
	v_mov_b32_e32 v12, 0
	s_and_saveexec_b32 s5, s3
	s_cbranch_execz .LBB88_10
; %bb.9:                                ;   in Loop: Header=BB88_4 Depth=1
	v_add_co_u32 v11, s4, v1, s25
	s_wait_alu 0xf1ff
	v_add_co_ci_u32_e64 v12, null, 0, v2, s4
	global_load_b64 v[11:12], v[11:12], off
.LBB88_10:                              ;   in Loop: Header=BB88_4 Depth=1
	s_wait_alu 0xfffe
	s_or_b32 exec_lo, exec_lo, s5
	v_add_co_u32 v19, s4, v14, s22
	s_wait_alu 0xf1ff
	v_add_co_ci_u32_e64 v20, null, s23, v15, s4
	s_delay_alu instid0(VALU_DEP_1)
	v_cmp_gt_u64_e64 s4, s[18:19], v[19:20]
	s_and_saveexec_b32 s26, s4
	s_cbranch_execnz .LBB88_15
; %bb.11:                               ;   in Loop: Header=BB88_4 Depth=1
	s_or_b32 exec_lo, exec_lo, s26
	s_and_saveexec_b32 s5, vcc_lo
	s_cbranch_execnz .LBB88_16
.LBB88_12:                              ;   in Loop: Header=BB88_4 Depth=1
	s_wait_alu 0xfffe
	s_or_b32 exec_lo, exec_lo, s5
	s_and_saveexec_b32 s5, s2
	s_cbranch_execnz .LBB88_17
.LBB88_13:                              ;   in Loop: Header=BB88_4 Depth=1
	s_wait_alu 0xfffe
	s_or_b32 exec_lo, exec_lo, s5
	s_and_saveexec_b32 s2, s3
	s_cbranch_execnz .LBB88_18
.LBB88_14:                              ;   in Loop: Header=BB88_4 Depth=1
	s_wait_alu 0xfffe
	s_or_b32 exec_lo, exec_lo, s2
	s_and_saveexec_b32 s2, s4
	s_cbranch_execz .LBB88_3
	s_branch .LBB88_19
.LBB88_15:                              ;   in Loop: Header=BB88_4 Depth=1
	v_add_co_u32 v9, s5, v1, s20
	s_wait_alu 0xf1ff
	v_add_co_ci_u32_e64 v10, null, s21, v2, s5
	global_load_b64 v[9:10], v[9:10], off
	s_or_b32 exec_lo, exec_lo, s26
	s_and_saveexec_b32 s5, vcc_lo
	s_cbranch_execz .LBB88_12
.LBB88_16:                              ;   in Loop: Header=BB88_4 Depth=1
	s_wait_loadcnt 0x0
	v_add_f64_e64 v[7:8], v[7:8], -s[6:7]
	global_store_b64 v[1:2], v[7:8], off
	s_wait_alu 0xfffe
	s_or_b32 exec_lo, exec_lo, s5
	s_and_saveexec_b32 s5, s2
	s_cbranch_execz .LBB88_13
.LBB88_17:                              ;   in Loop: Header=BB88_4 Depth=1
	s_wait_loadcnt 0x0
	v_add_f64_e64 v[5:6], v[5:6], -s[6:7]
	global_store_b64 v[3:4], v[5:6], off
	s_wait_alu 0xfffe
	s_or_b32 exec_lo, exec_lo, s5
	s_and_saveexec_b32 s2, s3
	s_cbranch_execz .LBB88_14
.LBB88_18:                              ;   in Loop: Header=BB88_4 Depth=1
	s_wait_loadcnt 0x0
	v_add_f64_e64 v[5:6], v[11:12], -s[6:7]
	v_add_co_u32 v7, vcc_lo, v1, s25
	s_wait_alu 0xfffd
	v_add_co_ci_u32_e64 v8, null, 0, v2, vcc_lo
	global_store_b64 v[7:8], v[5:6], off
	s_wait_alu 0xfffe
	s_or_b32 exec_lo, exec_lo, s2
	s_and_saveexec_b32 s2, s4
	s_cbranch_execz .LBB88_3
.LBB88_19:                              ;   in Loop: Header=BB88_4 Depth=1
	s_wait_loadcnt 0x0
	v_add_f64_e64 v[5:6], v[9:10], -s[6:7]
	v_add_co_u32 v7, vcc_lo, v1, s20
	s_wait_alu 0xfffd
	v_add_co_ci_u32_e64 v8, null, s21, v2, vcc_lo
	global_store_b64 v[7:8], v[5:6], off
	s_branch .LBB88_3
.LBB88_20:
	s_cbranch_execz .LBB88_22
	s_branch .LBB88_25
.LBB88_21:
.LBB88_22:
	v_cmp_gt_i64_e64 s2, 0x10000, s[12:13]
	v_dual_mov_b32 v2, 0 :: v_dual_lshlrev_b32 v1, 2, v0
	s_mov_b32 s4, 0
	s_mov_b32 s5, exec_lo
	s_and_b32 s2, s2, exec_lo
	s_cselect_b32 s3, s13, 0
	s_cselect_b32 s2, s12, 0x10000
	s_wait_alu 0xfffe
	v_cmpx_gt_i64_e64 s[2:3], v[1:2]
	s_cbranch_execz .LBB88_25
; %bb.23:
	s_load_b32 s5, s[0:1], 0xd44
	v_lshlrev_b32_e32 v1, 5, v0
	s_add_nc_u64 s[0:1], s[8:9], s[10:11]
	s_delay_alu instid0(VALU_DEP_1) | instid1(SALU_CYCLE_1)
	v_add_co_u32 v3, s0, s0, v1
	s_wait_alu 0xf1ff
	v_add_co_ci_u32_e64 v4, null, s1, 0, s0
	v_mov_b32_e32 v1, v2
	s_delay_alu instid0(VALU_DEP_3) | instskip(SKIP_1) | instid1(VALU_DEP_3)
	v_add_co_u32 v2, vcc_lo, v3, 16
	s_wait_alu 0xfffd
	v_add_co_ci_u32_e64 v3, null, 0, v4, vcc_lo
	s_wait_kmcnt 0x0
	s_and_b32 s1, s5, 0xffff
	s_wait_alu 0xfffe
	s_lshl_b32 s5, s1, 5
.LBB88_24:                              ; =>This Inner Loop Header: Depth=1
	s_wait_loadcnt 0x0
	s_clause 0x1
	global_load_b128 v[4:7], v[2:3], off offset:-16
	global_load_b128 v[8:11], v[2:3], off
	v_add_co_u32 v0, vcc_lo, v0, s1
	s_wait_alu 0xfffd
	v_add_co_ci_u32_e64 v1, null, 0, v1, vcc_lo
	s_delay_alu instid0(VALU_DEP_1) | instskip(NEXT) | instid1(VALU_DEP_1)
	v_lshlrev_b64_e32 v[12:13], 2, v[0:1]
	v_cmp_le_i64_e32 vcc_lo, s[2:3], v[12:13]
	s_or_b32 s4, vcc_lo, s4
	s_wait_loadcnt 0x1
	v_add_f64_e64 v[4:5], v[4:5], -s[6:7]
	v_add_f64_e64 v[6:7], v[6:7], -s[6:7]
	s_wait_loadcnt 0x0
	v_add_f64_e64 v[8:9], v[8:9], -s[6:7]
	v_add_f64_e64 v[10:11], v[10:11], -s[6:7]
	s_clause 0x1
	global_store_b128 v[2:3], v[4:7], off offset:-16
	global_store_b128 v[2:3], v[8:11], off
	s_wait_alu 0xfffe
	v_add_co_u32 v2, s0, v2, s5
	s_wait_alu 0xf1ff
	v_add_co_ci_u32_e64 v3, null, 0, v3, s0
	s_and_not1_b32 exec_lo, exec_lo, s4
	s_cbranch_execnz .LBB88_24
.LBB88_25:
	s_endpgm
	.section	.rodata,"a",@progbits
	.p2align	6, 0x0
	.amdhsa_kernel _ZN2at6native12_GLOBAL__N_125multi_tensor_apply_kernelINS1_18TensorListMetadataILi1EEENS1_21BinaryOpScalarFunctorIdLi1ELi1ELi0EEEJSt5minusIdEdEEEvT_T0_DpT1_
		.amdhsa_group_segment_fixed_size 0
		.amdhsa_private_segment_fixed_size 0
		.amdhsa_kernarg_size 3640
		.amdhsa_user_sgpr_count 2
		.amdhsa_user_sgpr_dispatch_ptr 0
		.amdhsa_user_sgpr_queue_ptr 0
		.amdhsa_user_sgpr_kernarg_segment_ptr 1
		.amdhsa_user_sgpr_dispatch_id 0
		.amdhsa_user_sgpr_private_segment_size 0
		.amdhsa_wavefront_size32 1
		.amdhsa_uses_dynamic_stack 0
		.amdhsa_enable_private_segment 0
		.amdhsa_system_sgpr_workgroup_id_x 1
		.amdhsa_system_sgpr_workgroup_id_y 0
		.amdhsa_system_sgpr_workgroup_id_z 0
		.amdhsa_system_sgpr_workgroup_info 0
		.amdhsa_system_vgpr_workitem_id 0
		.amdhsa_next_free_vgpr 21
		.amdhsa_next_free_sgpr 27
		.amdhsa_reserve_vcc 1
		.amdhsa_float_round_mode_32 0
		.amdhsa_float_round_mode_16_64 0
		.amdhsa_float_denorm_mode_32 3
		.amdhsa_float_denorm_mode_16_64 3
		.amdhsa_fp16_overflow 0
		.amdhsa_workgroup_processor_mode 1
		.amdhsa_memory_ordered 1
		.amdhsa_forward_progress 1
		.amdhsa_inst_pref_size 11
		.amdhsa_round_robin_scheduling 0
		.amdhsa_exception_fp_ieee_invalid_op 0
		.amdhsa_exception_fp_denorm_src 0
		.amdhsa_exception_fp_ieee_div_zero 0
		.amdhsa_exception_fp_ieee_overflow 0
		.amdhsa_exception_fp_ieee_underflow 0
		.amdhsa_exception_fp_ieee_inexact 0
		.amdhsa_exception_int_div_zero 0
	.end_amdhsa_kernel
	.section	.text._ZN2at6native12_GLOBAL__N_125multi_tensor_apply_kernelINS1_18TensorListMetadataILi1EEENS1_21BinaryOpScalarFunctorIdLi1ELi1ELi0EEEJSt5minusIdEdEEEvT_T0_DpT1_,"axG",@progbits,_ZN2at6native12_GLOBAL__N_125multi_tensor_apply_kernelINS1_18TensorListMetadataILi1EEENS1_21BinaryOpScalarFunctorIdLi1ELi1ELi0EEEJSt5minusIdEdEEEvT_T0_DpT1_,comdat
.Lfunc_end88:
	.size	_ZN2at6native12_GLOBAL__N_125multi_tensor_apply_kernelINS1_18TensorListMetadataILi1EEENS1_21BinaryOpScalarFunctorIdLi1ELi1ELi0EEEJSt5minusIdEdEEEvT_T0_DpT1_, .Lfunc_end88-_ZN2at6native12_GLOBAL__N_125multi_tensor_apply_kernelINS1_18TensorListMetadataILi1EEENS1_21BinaryOpScalarFunctorIdLi1ELi1ELi0EEEJSt5minusIdEdEEEvT_T0_DpT1_
                                        ; -- End function
	.set _ZN2at6native12_GLOBAL__N_125multi_tensor_apply_kernelINS1_18TensorListMetadataILi1EEENS1_21BinaryOpScalarFunctorIdLi1ELi1ELi0EEEJSt5minusIdEdEEEvT_T0_DpT1_.num_vgpr, 21
	.set _ZN2at6native12_GLOBAL__N_125multi_tensor_apply_kernelINS1_18TensorListMetadataILi1EEENS1_21BinaryOpScalarFunctorIdLi1ELi1ELi0EEEJSt5minusIdEdEEEvT_T0_DpT1_.num_agpr, 0
	.set _ZN2at6native12_GLOBAL__N_125multi_tensor_apply_kernelINS1_18TensorListMetadataILi1EEENS1_21BinaryOpScalarFunctorIdLi1ELi1ELi0EEEJSt5minusIdEdEEEvT_T0_DpT1_.numbered_sgpr, 27
	.set _ZN2at6native12_GLOBAL__N_125multi_tensor_apply_kernelINS1_18TensorListMetadataILi1EEENS1_21BinaryOpScalarFunctorIdLi1ELi1ELi0EEEJSt5minusIdEdEEEvT_T0_DpT1_.num_named_barrier, 0
	.set _ZN2at6native12_GLOBAL__N_125multi_tensor_apply_kernelINS1_18TensorListMetadataILi1EEENS1_21BinaryOpScalarFunctorIdLi1ELi1ELi0EEEJSt5minusIdEdEEEvT_T0_DpT1_.private_seg_size, 0
	.set _ZN2at6native12_GLOBAL__N_125multi_tensor_apply_kernelINS1_18TensorListMetadataILi1EEENS1_21BinaryOpScalarFunctorIdLi1ELi1ELi0EEEJSt5minusIdEdEEEvT_T0_DpT1_.uses_vcc, 1
	.set _ZN2at6native12_GLOBAL__N_125multi_tensor_apply_kernelINS1_18TensorListMetadataILi1EEENS1_21BinaryOpScalarFunctorIdLi1ELi1ELi0EEEJSt5minusIdEdEEEvT_T0_DpT1_.uses_flat_scratch, 0
	.set _ZN2at6native12_GLOBAL__N_125multi_tensor_apply_kernelINS1_18TensorListMetadataILi1EEENS1_21BinaryOpScalarFunctorIdLi1ELi1ELi0EEEJSt5minusIdEdEEEvT_T0_DpT1_.has_dyn_sized_stack, 0
	.set _ZN2at6native12_GLOBAL__N_125multi_tensor_apply_kernelINS1_18TensorListMetadataILi1EEENS1_21BinaryOpScalarFunctorIdLi1ELi1ELi0EEEJSt5minusIdEdEEEvT_T0_DpT1_.has_recursion, 0
	.set _ZN2at6native12_GLOBAL__N_125multi_tensor_apply_kernelINS1_18TensorListMetadataILi1EEENS1_21BinaryOpScalarFunctorIdLi1ELi1ELi0EEEJSt5minusIdEdEEEvT_T0_DpT1_.has_indirect_call, 0
	.section	.AMDGPU.csdata,"",@progbits
; Kernel info:
; codeLenInByte = 1336
; TotalNumSgprs: 29
; NumVgprs: 21
; ScratchSize: 0
; MemoryBound: 0
; FloatMode: 240
; IeeeMode: 1
; LDSByteSize: 0 bytes/workgroup (compile time only)
; SGPRBlocks: 0
; VGPRBlocks: 2
; NumSGPRsForWavesPerEU: 29
; NumVGPRsForWavesPerEU: 21
; Occupancy: 16
; WaveLimiterHint : 0
; COMPUTE_PGM_RSRC2:SCRATCH_EN: 0
; COMPUTE_PGM_RSRC2:USER_SGPR: 2
; COMPUTE_PGM_RSRC2:TRAP_HANDLER: 0
; COMPUTE_PGM_RSRC2:TGID_X_EN: 1
; COMPUTE_PGM_RSRC2:TGID_Y_EN: 0
; COMPUTE_PGM_RSRC2:TGID_Z_EN: 0
; COMPUTE_PGM_RSRC2:TIDIG_COMP_CNT: 0
	.section	.text._ZN2at6native12_GLOBAL__N_125multi_tensor_apply_kernelINS1_18TensorListMetadataILi1EEENS1_21BinaryOpScalarFunctorIfLi1ELi1ELi0EEEJSt5minusIfEfEEEvT_T0_DpT1_,"axG",@progbits,_ZN2at6native12_GLOBAL__N_125multi_tensor_apply_kernelINS1_18TensorListMetadataILi1EEENS1_21BinaryOpScalarFunctorIfLi1ELi1ELi0EEEJSt5minusIfEfEEEvT_T0_DpT1_,comdat
	.globl	_ZN2at6native12_GLOBAL__N_125multi_tensor_apply_kernelINS1_18TensorListMetadataILi1EEENS1_21BinaryOpScalarFunctorIfLi1ELi1ELi0EEEJSt5minusIfEfEEEvT_T0_DpT1_ ; -- Begin function _ZN2at6native12_GLOBAL__N_125multi_tensor_apply_kernelINS1_18TensorListMetadataILi1EEENS1_21BinaryOpScalarFunctorIfLi1ELi1ELi0EEEJSt5minusIfEfEEEvT_T0_DpT1_
	.p2align	8
	.type	_ZN2at6native12_GLOBAL__N_125multi_tensor_apply_kernelINS1_18TensorListMetadataILi1EEENS1_21BinaryOpScalarFunctorIfLi1ELi1ELi0EEEJSt5minusIfEfEEEvT_T0_DpT1_,@function
_ZN2at6native12_GLOBAL__N_125multi_tensor_apply_kernelINS1_18TensorListMetadataILi1EEENS1_21BinaryOpScalarFunctorIfLi1ELi1ELi0EEEJSt5minusIfEfEEEvT_T0_DpT1_: ; @_ZN2at6native12_GLOBAL__N_125multi_tensor_apply_kernelINS1_18TensorListMetadataILi1EEENS1_21BinaryOpScalarFunctorIfLi1ELi1ELi0EEEJSt5minusIfEfEEEvT_T0_DpT1_
; %bb.0:
	s_load_u8 s8, s[0:1], ttmp9 offset:0x6e0
	s_mov_b32 s2, ttmp9
	s_mov_b32 s3, 0
	s_delay_alu instid0(SALU_CYCLE_1)
	s_mul_u64 s[4:5], s[2:3], 3
	s_add_nc_u64 s[6:7], s[0:1], s[2:3]
	s_mov_b32 s13, s3
	s_add_nc_u64 s[4:5], s[6:7], s[4:5]
	s_load_b32 s4, s[4:5], 0x820
	s_wait_kmcnt 0x0
	s_lshl_b32 s2, s8, 3
	s_clause 0x2
	s_load_b64 s[6:7], s[0:1], s2 offset:0x0
	s_load_b64 s[10:11], s[0:1], s2 offset:0x370
	s_load_b32 s22, s[0:1], 0xd2c
	s_ashr_i32 s5, s4, 31
	s_delay_alu instid0(SALU_CYCLE_1)
	s_lshl_b64 s[8:9], s[4:5], 18
	s_lshl_b64 s[4:5], s[4:5], 16
	s_wait_kmcnt 0x0
	s_and_b32 s2, s6, 15
	s_and_b32 s12, s10, 3
	s_sub_nc_u64 s[10:11], s[10:11], s[4:5]
	s_or_b64 s[2:3], s[2:3], s[12:13]
	s_delay_alu instid0(SALU_CYCLE_1)
	s_cmp_eq_u64 s[2:3], 0
	s_cbranch_scc1 .LBB89_21
; %bb.1:
	v_cmp_lt_i64_e64 s2, s[10:11], 1
	s_and_b32 vcc_lo, exec_lo, s2
	s_cbranch_vccnz .LBB89_20
; %bb.2:
	s_load_b32 s2, s[0:1], 0xd3c
	v_cmp_gt_i64_e64 s12, 0x10000, s[10:11]
	v_lshlrev_b32_e32 v1, 2, v0
	s_add_nc_u64 s[4:5], s[6:7], s[8:9]
	s_mov_b32 s3, 0
	v_cmp_gt_u64_e64 s16, 0x10000, s[10:11]
	s_mov_b32 s13, s3
	v_add_co_u32 v1, s14, s4, v1
	s_and_b32 s12, s12, exec_lo
	v_add_co_ci_u32_e64 v2, null, s5, 0, s14
	s_cselect_b32 s15, s11, 0
	s_cselect_b32 s14, s10, 0x10000
	s_wait_kmcnt 0x0
	s_and_b32 s2, s2, 0xffff
	s_and_b32 s12, s16, exec_lo
	s_mul_u64 s[18:19], s[2:3], 12
	v_add_co_u32 v5, s3, v0, s2
	s_cselect_b32 s17, s11, 0
	s_cselect_b32 s16, s10, 0x10000
	s_lshl_b32 s20, s2, 1
	v_lshlrev_b32_e32 v3, 2, v5
	s_mul_i32 s21, s2, 3
	v_add_co_ci_u32_e64 v8, null, 0, 0, s3
	v_add_co_u32 v9, s3, s20, v0
	v_add_co_u32 v6, s21, s21, v0
	s_wait_alu 0xf1ff
	v_add_co_ci_u32_e64 v10, null, 0, 0, s3
	v_add_co_u32 v3, s3, s4, v3
	v_add_co_ci_u32_e64 v7, null, 0, 0, s21
	s_wait_alu 0xf1ff
	v_add_co_ci_u32_e64 v4, null, s5, 0, s3
	s_lshl_b32 s12, s2, 2
	s_lshl_b32 s23, s2, 4
	;; [unrolled: 1-line block ×3, first 2 shown]
	s_mov_b64 s[20:21], 0
	s_branch .LBB89_4
.LBB89_3:                               ;   in Loop: Header=BB89_4 Depth=1
	s_wait_alu 0xfffe
	s_or_b32 exec_lo, exec_lo, s2
	s_add_nc_u64 s[20:21], s[20:21], s[12:13]
	v_add_co_u32 v1, vcc_lo, v1, s23
	s_wait_alu 0xfffe
	v_cmp_lt_i64_e64 s2, s[20:21], s[14:15]
	s_wait_alu 0xfffd
	v_add_co_ci_u32_e64 v2, null, 0, v2, vcc_lo
	v_add_co_u32 v3, vcc_lo, v3, s23
	s_wait_alu 0xfffd
	v_add_co_ci_u32_e64 v4, null, 0, v4, vcc_lo
	s_and_b32 vcc_lo, exec_lo, s2
	s_wait_alu 0xfffe
	s_cbranch_vccz .LBB89_20
.LBB89_4:                               ; =>This Inner Loop Header: Depth=1
	s_wait_loadcnt 0x0
	s_wait_alu 0xfffe
	v_add_co_u32 v11, s2, v0, s20
	s_wait_alu 0xf1ff
	v_add_co_ci_u32_e64 v12, null, 0, s21, s2
	s_delay_alu instid0(VALU_DEP_1)
	v_cmp_gt_u64_e32 vcc_lo, s[16:17], v[11:12]
	v_mov_b32_e32 v11, 0
	s_and_saveexec_b32 s2, vcc_lo
	s_cbranch_execz .LBB89_6
; %bb.5:                                ;   in Loop: Header=BB89_4 Depth=1
	global_load_b32 v11, v[1:2], off
.LBB89_6:                               ;   in Loop: Header=BB89_4 Depth=1
	s_wait_alu 0xfffe
	s_or_b32 exec_lo, exec_lo, s2
	v_add_co_u32 v12, s2, v5, s20
	s_wait_alu 0xf1ff
	v_add_co_ci_u32_e64 v13, null, s21, v8, s2
	s_delay_alu instid0(VALU_DEP_1)
	v_cmp_gt_u64_e64 s2, s[16:17], v[12:13]
	v_dual_mov_b32 v12, 0 :: v_dual_mov_b32 v13, 0
	s_and_saveexec_b32 s3, s2
	s_cbranch_execz .LBB89_8
; %bb.7:                                ;   in Loop: Header=BB89_4 Depth=1
	global_load_b32 v13, v[3:4], off
.LBB89_8:                               ;   in Loop: Header=BB89_4 Depth=1
	s_wait_alu 0xfffe
	s_or_b32 exec_lo, exec_lo, s3
	v_add_co_u32 v14, s3, v9, s20
	s_wait_alu 0xf1ff
	v_add_co_ci_u32_e64 v15, null, s21, v10, s3
	s_delay_alu instid0(VALU_DEP_1)
	v_cmp_gt_u64_e64 s3, s[16:17], v[14:15]
	s_and_saveexec_b32 s5, s3
	s_cbranch_execz .LBB89_10
; %bb.9:                                ;   in Loop: Header=BB89_4 Depth=1
	v_add_co_u32 v14, s4, v1, s24
	s_wait_alu 0xf1ff
	v_add_co_ci_u32_e64 v15, null, 0, v2, s4
	global_load_b32 v12, v[14:15], off
.LBB89_10:                              ;   in Loop: Header=BB89_4 Depth=1
	s_wait_alu 0xfffe
	s_or_b32 exec_lo, exec_lo, s5
	v_add_co_u32 v14, s4, v6, s20
	s_wait_alu 0xf1ff
	v_add_co_ci_u32_e64 v15, null, s21, v7, s4
	s_delay_alu instid0(VALU_DEP_1)
	v_cmp_gt_u64_e64 s4, s[16:17], v[14:15]
	v_mov_b32_e32 v14, 0
	s_and_saveexec_b32 s25, s4
	s_cbranch_execnz .LBB89_15
; %bb.11:                               ;   in Loop: Header=BB89_4 Depth=1
	s_wait_alu 0xfffe
	s_or_b32 exec_lo, exec_lo, s25
	s_and_saveexec_b32 s5, vcc_lo
	s_cbranch_execnz .LBB89_16
.LBB89_12:                              ;   in Loop: Header=BB89_4 Depth=1
	s_wait_alu 0xfffe
	s_or_b32 exec_lo, exec_lo, s5
	s_and_saveexec_b32 s5, s2
	s_cbranch_execnz .LBB89_17
.LBB89_13:                              ;   in Loop: Header=BB89_4 Depth=1
	s_wait_alu 0xfffe
	s_or_b32 exec_lo, exec_lo, s5
	s_and_saveexec_b32 s2, s3
	s_cbranch_execnz .LBB89_18
.LBB89_14:                              ;   in Loop: Header=BB89_4 Depth=1
	s_wait_alu 0xfffe
	s_or_b32 exec_lo, exec_lo, s2
	s_and_saveexec_b32 s2, s4
	s_cbranch_execz .LBB89_3
	s_branch .LBB89_19
.LBB89_15:                              ;   in Loop: Header=BB89_4 Depth=1
	v_add_co_u32 v14, s5, v1, s18
	s_wait_alu 0xf1ff
	v_add_co_ci_u32_e64 v15, null, s19, v2, s5
	global_load_b32 v14, v[14:15], off
	s_wait_alu 0xfffe
	s_or_b32 exec_lo, exec_lo, s25
	s_and_saveexec_b32 s5, vcc_lo
	s_cbranch_execz .LBB89_12
.LBB89_16:                              ;   in Loop: Header=BB89_4 Depth=1
	s_wait_loadcnt 0x0
	v_subrev_f32_e32 v11, s22, v11
	global_store_b32 v[1:2], v11, off
	s_wait_alu 0xfffe
	s_or_b32 exec_lo, exec_lo, s5
	s_and_saveexec_b32 s5, s2
	s_cbranch_execz .LBB89_13
.LBB89_17:                              ;   in Loop: Header=BB89_4 Depth=1
	s_wait_loadcnt 0x0
	v_subrev_f32_e32 v11, s22, v13
	global_store_b32 v[3:4], v11, off
	s_wait_alu 0xfffe
	s_or_b32 exec_lo, exec_lo, s5
	s_and_saveexec_b32 s2, s3
	s_cbranch_execz .LBB89_14
.LBB89_18:                              ;   in Loop: Header=BB89_4 Depth=1
	s_wait_loadcnt 0x0
	v_add_co_u32 v11, vcc_lo, v1, s24
	v_subrev_f32_e32 v13, s22, v12
	s_wait_alu 0xfffd
	v_add_co_ci_u32_e64 v12, null, 0, v2, vcc_lo
	global_store_b32 v[11:12], v13, off
	s_wait_alu 0xfffe
	s_or_b32 exec_lo, exec_lo, s2
	s_and_saveexec_b32 s2, s4
	s_cbranch_execz .LBB89_3
.LBB89_19:                              ;   in Loop: Header=BB89_4 Depth=1
	s_wait_loadcnt 0x0
	v_add_co_u32 v11, vcc_lo, v1, s18
	v_subrev_f32_e32 v13, s22, v14
	s_wait_alu 0xfffd
	v_add_co_ci_u32_e64 v12, null, s19, v2, vcc_lo
	global_store_b32 v[11:12], v13, off
	s_branch .LBB89_3
.LBB89_20:
	s_cbranch_execz .LBB89_22
	s_branch .LBB89_25
.LBB89_21:
.LBB89_22:
	v_cmp_gt_i64_e64 s2, 0x10000, s[10:11]
	v_dual_mov_b32 v2, 0 :: v_dual_lshlrev_b32 v1, 2, v0
	s_mov_b32 s4, 0
	s_mov_b32 s5, exec_lo
	s_and_b32 s2, s2, exec_lo
	s_cselect_b32 s3, s11, 0
	s_cselect_b32 s2, s10, 0x10000
	s_wait_alu 0xfffe
	v_cmpx_gt_i64_e64 s[2:3], v[1:2]
	s_cbranch_execz .LBB89_25
; %bb.23:
	s_load_b32 s5, s[0:1], 0xd3c
	v_lshlrev_b32_e32 v1, 4, v0
	s_add_nc_u64 s[0:1], s[6:7], s[8:9]
	s_delay_alu instid0(VALU_DEP_1) | instid1(SALU_CYCLE_1)
	v_add_co_u32 v3, s0, s0, v1
	s_wait_alu 0xf1ff
	v_add_co_ci_u32_e64 v4, null, s1, 0, s0
	v_mov_b32_e32 v1, v2
	s_delay_alu instid0(VALU_DEP_3) | instskip(SKIP_1) | instid1(VALU_DEP_3)
	v_add_co_u32 v2, vcc_lo, v3, 8
	s_wait_alu 0xfffd
	v_add_co_ci_u32_e64 v3, null, 0, v4, vcc_lo
	s_wait_kmcnt 0x0
	s_and_b32 s1, s5, 0xffff
	s_wait_alu 0xfffe
	s_lshl_b32 s5, s1, 4
.LBB89_24:                              ; =>This Inner Loop Header: Depth=1
	global_load_b128 v[4:7], v[2:3], off offset:-8
	v_add_co_u32 v0, vcc_lo, v0, s1
	s_wait_alu 0xfffd
	v_add_co_ci_u32_e64 v1, null, 0, v1, vcc_lo
	s_delay_alu instid0(VALU_DEP_1) | instskip(NEXT) | instid1(VALU_DEP_1)
	v_lshlrev_b64_e32 v[8:9], 2, v[0:1]
	v_cmp_le_i64_e32 vcc_lo, s[2:3], v[8:9]
	s_or_b32 s4, vcc_lo, s4
	s_wait_loadcnt 0x0
	v_dual_subrev_f32 v4, s22, v4 :: v_dual_subrev_f32 v5, s22, v5
	v_dual_subrev_f32 v6, s22, v6 :: v_dual_subrev_f32 v7, s22, v7
	global_store_b128 v[2:3], v[4:7], off offset:-8
	s_wait_alu 0xfffe
	v_add_co_u32 v2, s0, v2, s5
	s_wait_alu 0xf1ff
	v_add_co_ci_u32_e64 v3, null, 0, v3, s0
	s_and_not1_b32 exec_lo, exec_lo, s4
	s_cbranch_execnz .LBB89_24
.LBB89_25:
	s_endpgm
	.section	.rodata,"a",@progbits
	.p2align	6, 0x0
	.amdhsa_kernel _ZN2at6native12_GLOBAL__N_125multi_tensor_apply_kernelINS1_18TensorListMetadataILi1EEENS1_21BinaryOpScalarFunctorIfLi1ELi1ELi0EEEJSt5minusIfEfEEEvT_T0_DpT1_
		.amdhsa_group_segment_fixed_size 0
		.amdhsa_private_segment_fixed_size 0
		.amdhsa_kernarg_size 3632
		.amdhsa_user_sgpr_count 2
		.amdhsa_user_sgpr_dispatch_ptr 0
		.amdhsa_user_sgpr_queue_ptr 0
		.amdhsa_user_sgpr_kernarg_segment_ptr 1
		.amdhsa_user_sgpr_dispatch_id 0
		.amdhsa_user_sgpr_private_segment_size 0
		.amdhsa_wavefront_size32 1
		.amdhsa_uses_dynamic_stack 0
		.amdhsa_enable_private_segment 0
		.amdhsa_system_sgpr_workgroup_id_x 1
		.amdhsa_system_sgpr_workgroup_id_y 0
		.amdhsa_system_sgpr_workgroup_id_z 0
		.amdhsa_system_sgpr_workgroup_info 0
		.amdhsa_system_vgpr_workitem_id 0
		.amdhsa_next_free_vgpr 16
		.amdhsa_next_free_sgpr 26
		.amdhsa_reserve_vcc 1
		.amdhsa_float_round_mode_32 0
		.amdhsa_float_round_mode_16_64 0
		.amdhsa_float_denorm_mode_32 3
		.amdhsa_float_denorm_mode_16_64 3
		.amdhsa_fp16_overflow 0
		.amdhsa_workgroup_processor_mode 1
		.amdhsa_memory_ordered 1
		.amdhsa_forward_progress 1
		.amdhsa_inst_pref_size 10
		.amdhsa_round_robin_scheduling 0
		.amdhsa_exception_fp_ieee_invalid_op 0
		.amdhsa_exception_fp_denorm_src 0
		.amdhsa_exception_fp_ieee_div_zero 0
		.amdhsa_exception_fp_ieee_overflow 0
		.amdhsa_exception_fp_ieee_underflow 0
		.amdhsa_exception_fp_ieee_inexact 0
		.amdhsa_exception_int_div_zero 0
	.end_amdhsa_kernel
	.section	.text._ZN2at6native12_GLOBAL__N_125multi_tensor_apply_kernelINS1_18TensorListMetadataILi1EEENS1_21BinaryOpScalarFunctorIfLi1ELi1ELi0EEEJSt5minusIfEfEEEvT_T0_DpT1_,"axG",@progbits,_ZN2at6native12_GLOBAL__N_125multi_tensor_apply_kernelINS1_18TensorListMetadataILi1EEENS1_21BinaryOpScalarFunctorIfLi1ELi1ELi0EEEJSt5minusIfEfEEEvT_T0_DpT1_,comdat
.Lfunc_end89:
	.size	_ZN2at6native12_GLOBAL__N_125multi_tensor_apply_kernelINS1_18TensorListMetadataILi1EEENS1_21BinaryOpScalarFunctorIfLi1ELi1ELi0EEEJSt5minusIfEfEEEvT_T0_DpT1_, .Lfunc_end89-_ZN2at6native12_GLOBAL__N_125multi_tensor_apply_kernelINS1_18TensorListMetadataILi1EEENS1_21BinaryOpScalarFunctorIfLi1ELi1ELi0EEEJSt5minusIfEfEEEvT_T0_DpT1_
                                        ; -- End function
	.set _ZN2at6native12_GLOBAL__N_125multi_tensor_apply_kernelINS1_18TensorListMetadataILi1EEENS1_21BinaryOpScalarFunctorIfLi1ELi1ELi0EEEJSt5minusIfEfEEEvT_T0_DpT1_.num_vgpr, 16
	.set _ZN2at6native12_GLOBAL__N_125multi_tensor_apply_kernelINS1_18TensorListMetadataILi1EEENS1_21BinaryOpScalarFunctorIfLi1ELi1ELi0EEEJSt5minusIfEfEEEvT_T0_DpT1_.num_agpr, 0
	.set _ZN2at6native12_GLOBAL__N_125multi_tensor_apply_kernelINS1_18TensorListMetadataILi1EEENS1_21BinaryOpScalarFunctorIfLi1ELi1ELi0EEEJSt5minusIfEfEEEvT_T0_DpT1_.numbered_sgpr, 26
	.set _ZN2at6native12_GLOBAL__N_125multi_tensor_apply_kernelINS1_18TensorListMetadataILi1EEENS1_21BinaryOpScalarFunctorIfLi1ELi1ELi0EEEJSt5minusIfEfEEEvT_T0_DpT1_.num_named_barrier, 0
	.set _ZN2at6native12_GLOBAL__N_125multi_tensor_apply_kernelINS1_18TensorListMetadataILi1EEENS1_21BinaryOpScalarFunctorIfLi1ELi1ELi0EEEJSt5minusIfEfEEEvT_T0_DpT1_.private_seg_size, 0
	.set _ZN2at6native12_GLOBAL__N_125multi_tensor_apply_kernelINS1_18TensorListMetadataILi1EEENS1_21BinaryOpScalarFunctorIfLi1ELi1ELi0EEEJSt5minusIfEfEEEvT_T0_DpT1_.uses_vcc, 1
	.set _ZN2at6native12_GLOBAL__N_125multi_tensor_apply_kernelINS1_18TensorListMetadataILi1EEENS1_21BinaryOpScalarFunctorIfLi1ELi1ELi0EEEJSt5minusIfEfEEEvT_T0_DpT1_.uses_flat_scratch, 0
	.set _ZN2at6native12_GLOBAL__N_125multi_tensor_apply_kernelINS1_18TensorListMetadataILi1EEENS1_21BinaryOpScalarFunctorIfLi1ELi1ELi0EEEJSt5minusIfEfEEEvT_T0_DpT1_.has_dyn_sized_stack, 0
	.set _ZN2at6native12_GLOBAL__N_125multi_tensor_apply_kernelINS1_18TensorListMetadataILi1EEENS1_21BinaryOpScalarFunctorIfLi1ELi1ELi0EEEJSt5minusIfEfEEEvT_T0_DpT1_.has_recursion, 0
	.set _ZN2at6native12_GLOBAL__N_125multi_tensor_apply_kernelINS1_18TensorListMetadataILi1EEENS1_21BinaryOpScalarFunctorIfLi1ELi1ELi0EEEJSt5minusIfEfEEEvT_T0_DpT1_.has_indirect_call, 0
	.section	.AMDGPU.csdata,"",@progbits
; Kernel info:
; codeLenInByte = 1256
; TotalNumSgprs: 28
; NumVgprs: 16
; ScratchSize: 0
; MemoryBound: 0
; FloatMode: 240
; IeeeMode: 1
; LDSByteSize: 0 bytes/workgroup (compile time only)
; SGPRBlocks: 0
; VGPRBlocks: 1
; NumSGPRsForWavesPerEU: 28
; NumVGPRsForWavesPerEU: 16
; Occupancy: 16
; WaveLimiterHint : 0
; COMPUTE_PGM_RSRC2:SCRATCH_EN: 0
; COMPUTE_PGM_RSRC2:USER_SGPR: 2
; COMPUTE_PGM_RSRC2:TRAP_HANDLER: 0
; COMPUTE_PGM_RSRC2:TGID_X_EN: 1
; COMPUTE_PGM_RSRC2:TGID_Y_EN: 0
; COMPUTE_PGM_RSRC2:TGID_Z_EN: 0
; COMPUTE_PGM_RSRC2:TIDIG_COMP_CNT: 0
	.section	.text._ZN2at6native12_GLOBAL__N_125multi_tensor_apply_kernelINS1_18TensorListMetadataILi1EEENS1_21BinaryOpScalarFunctorIN3c107complexIdEELi1ELi1ELi0EEEJSt5minusIS8_ES8_EEEvT_T0_DpT1_,"axG",@progbits,_ZN2at6native12_GLOBAL__N_125multi_tensor_apply_kernelINS1_18TensorListMetadataILi1EEENS1_21BinaryOpScalarFunctorIN3c107complexIdEELi1ELi1ELi0EEEJSt5minusIS8_ES8_EEEvT_T0_DpT1_,comdat
	.globl	_ZN2at6native12_GLOBAL__N_125multi_tensor_apply_kernelINS1_18TensorListMetadataILi1EEENS1_21BinaryOpScalarFunctorIN3c107complexIdEELi1ELi1ELi0EEEJSt5minusIS8_ES8_EEEvT_T0_DpT1_ ; -- Begin function _ZN2at6native12_GLOBAL__N_125multi_tensor_apply_kernelINS1_18TensorListMetadataILi1EEENS1_21BinaryOpScalarFunctorIN3c107complexIdEELi1ELi1ELi0EEEJSt5minusIS8_ES8_EEEvT_T0_DpT1_
	.p2align	8
	.type	_ZN2at6native12_GLOBAL__N_125multi_tensor_apply_kernelINS1_18TensorListMetadataILi1EEENS1_21BinaryOpScalarFunctorIN3c107complexIdEELi1ELi1ELi0EEEJSt5minusIS8_ES8_EEEvT_T0_DpT1_,@function
_ZN2at6native12_GLOBAL__N_125multi_tensor_apply_kernelINS1_18TensorListMetadataILi1EEENS1_21BinaryOpScalarFunctorIN3c107complexIdEELi1ELi1ELi0EEEJSt5minusIS8_ES8_EEEvT_T0_DpT1_: ; @_ZN2at6native12_GLOBAL__N_125multi_tensor_apply_kernelINS1_18TensorListMetadataILi1EEENS1_21BinaryOpScalarFunctorIN3c107complexIdEELi1ELi1ELi0EEEJSt5minusIS8_ES8_EEEvT_T0_DpT1_
; %bb.0:
	s_mov_b32 s2, ttmp9
	s_mov_b32 s3, 0
	s_delay_alu instid0(SALU_CYCLE_1)
	s_mul_u64 s[4:5], s[2:3], 3
	s_add_nc_u64 s[6:7], s[0:1], s[2:3]
	s_mov_b32 s19, s3
	s_add_nc_u64 s[4:5], s[6:7], s[4:5]
	s_clause 0x1
	s_load_b32 s4, s[4:5], 0x820
	s_load_u8 s2, s[0:1], ttmp9 offset:0x6e0
	s_wait_kmcnt 0x0
	s_ashr_i32 s5, s4, 31
	s_lshl_b32 s2, s2, 3
	s_clause 0x2
	s_load_b64 s[6:7], s[0:1], s2 offset:0x0
	s_load_b64 s[14:15], s[0:1], s2 offset:0x370
	s_load_b128 s[8:11], s[0:1], 0xd30
	s_lshl_b64 s[12:13], s[4:5], 20
	s_lshl_b64 s[4:5], s[4:5], 16
	s_wait_kmcnt 0x0
	s_add_nc_u64 s[16:17], s[6:7], s[12:13]
	s_and_b32 s18, s14, 3
	s_and_b32 s2, s16, 63
	s_sub_nc_u64 s[14:15], s[14:15], s[4:5]
	s_or_b64 s[2:3], s[2:3], s[18:19]
	s_delay_alu instid0(SALU_CYCLE_1)
	s_cmp_eq_u64 s[2:3], 0
	s_cbranch_scc1 .LBB90_21
; %bb.1:
	v_cmp_lt_i64_e64 s2, s[14:15], 1
	s_and_b32 vcc_lo, exec_lo, s2
	s_cbranch_vccnz .LBB90_20
; %bb.2:
	s_load_b32 s2, s[0:1], 0xd4c
	v_cmp_gt_i64_e64 s3, 0x10000, s[14:15]
	v_cmp_gt_u64_e64 s4, 0x10000, s[14:15]
	v_dual_mov_b32 v18, 0 :: v_dual_lshlrev_b32 v17, 4, v0
	s_mov_b32 s19, 0
	s_mov_b64 s[26:27], 0
	s_and_b32 s3, s3, exec_lo
	s_cselect_b32 s21, s15, 0
	s_cselect_b32 s20, s14, 0x10000
	s_mov_b32 s25, s19
	s_wait_kmcnt 0x0
	s_and_b32 s2, s2, 0xffff
	s_and_b32 s3, s4, exec_lo
	s_mul_i32 s4, s2, 3
	v_add_co_u32 v20, s5, v0, s2
	v_mad_co_u64_u32 v[18:19], null, s2, 48, v[17:18]
	s_cselect_b32 s23, s15, 0
	s_cselect_b32 s22, s14, 0x10000
	v_add_co_ci_u32_e64 v21, null, 0, 0, s5
	s_lshl_b32 s5, s2, 5
	v_add_co_u32 v22, s4, s4, v0
	s_wait_alu 0xf1ff
	v_add_co_ci_u32_e64 v23, null, 0, 0, s4
	s_wait_alu 0xfffe
	v_add_co_u32 v1, s4, s5, v17
	s_lshl_b32 s3, s2, 1
	v_lshlrev_b32_e32 v24, 4, v20
	s_wait_alu 0xfffe
	v_add_co_u32 v27, s3, s3, v0
	v_or_b32_e32 v18, 8, v18
	v_add_co_ci_u32_e64 v25, null, 0, 0, s4
	v_or_b32_e32 v26, 8, v1
	s_wait_alu 0xf1ff
	v_add_co_ci_u32_e64 v28, null, 0, 0, s3
	s_lshl_b32 s18, s2, 2
	s_lshl_b32 s24, s2, 6
	s_branch .LBB90_4
.LBB90_3:                               ;   in Loop: Header=BB90_4 Depth=1
	s_wait_alu 0xfffe
	s_or_b32 exec_lo, exec_lo, s2
	s_add_nc_u64 s[26:27], s[26:27], s[18:19]
	s_add_nc_u64 s[16:17], s[16:17], s[24:25]
	s_wait_alu 0xfffe
	v_cmp_lt_i64_e64 s2, s[26:27], s[20:21]
	s_and_b32 vcc_lo, exec_lo, s2
	s_wait_alu 0xfffe
	s_cbranch_vccz .LBB90_20
.LBB90_4:                               ; =>This Inner Loop Header: Depth=1
	s_wait_loadcnt 0x0
	v_add_co_u32 v1, s2, v0, s26
	s_wait_alu 0xf1ff
	v_add_co_ci_u32_e64 v2, null, 0, s27, s2
	v_mov_b32_e32 v3, 0
	v_dual_mov_b32 v4, 0 :: v_dual_mov_b32 v7, 0
	s_delay_alu instid0(VALU_DEP_3)
	v_cmp_gt_u64_e32 vcc_lo, s[22:23], v[1:2]
	v_dual_mov_b32 v5, 0 :: v_dual_mov_b32 v8, 0
	v_mov_b32_e32 v6, 0
	s_and_saveexec_b32 s2, vcc_lo
	s_cbranch_execz .LBB90_6
; %bb.5:                                ;   in Loop: Header=BB90_4 Depth=1
	v_add_co_u32 v1, s3, s16, v17
	s_wait_alu 0xf1ff
	v_add_co_ci_u32_e64 v2, null, s17, 0, s3
	global_load_b128 v[5:8], v[1:2], off
.LBB90_6:                               ;   in Loop: Header=BB90_4 Depth=1
	s_wait_alu 0xfffe
	s_or_b32 exec_lo, exec_lo, s2
	v_add_co_u32 v1, s2, v20, s26
	s_wait_alu 0xf1ff
	v_add_co_ci_u32_e64 v2, null, s27, v21, s2
	s_delay_alu instid0(VALU_DEP_1)
	v_cmp_gt_u64_e64 s2, s[22:23], v[1:2]
	v_mov_b32_e32 v1, 0
	v_mov_b32_e32 v2, 0
	s_and_saveexec_b32 s3, s2
	s_cbranch_execz .LBB90_8
; %bb.7:                                ;   in Loop: Header=BB90_4 Depth=1
	v_add_co_u32 v1, s4, s16, v24
	s_wait_alu 0xf1ff
	v_add_co_ci_u32_e64 v2, null, s17, 0, s4
	global_load_b128 v[1:4], v[1:2], off
.LBB90_8:                               ;   in Loop: Header=BB90_4 Depth=1
	s_wait_alu 0xfffe
	s_or_b32 exec_lo, exec_lo, s3
	v_add_co_u32 v9, s3, v27, s26
	s_wait_alu 0xf1ff
	v_add_co_ci_u32_e64 v10, null, s27, v28, s3
	v_mov_b32_e32 v11, 0
	v_dual_mov_b32 v12, 0 :: v_dual_mov_b32 v15, 0
	s_delay_alu instid0(VALU_DEP_3)
	v_cmp_gt_u64_e64 s3, s[22:23], v[9:10]
	v_dual_mov_b32 v13, 0 :: v_dual_mov_b32 v16, 0
	v_mov_b32_e32 v14, 0
	s_and_saveexec_b32 s5, s3
	s_cbranch_execz .LBB90_10
; %bb.9:                                ;   in Loop: Header=BB90_4 Depth=1
	v_add_co_u32 v9, s4, s16, v26
	s_wait_alu 0xf1ff
	v_add_co_ci_u32_e64 v10, null, s17, v25, s4
	global_load_b128 v[13:16], v[9:10], off offset:-8
.LBB90_10:                              ;   in Loop: Header=BB90_4 Depth=1
	s_wait_alu 0xfffe
	s_or_b32 exec_lo, exec_lo, s5
	v_add_co_u32 v9, s4, v22, s26
	s_wait_alu 0xf1ff
	v_add_co_ci_u32_e64 v10, null, s27, v23, s4
	s_delay_alu instid0(VALU_DEP_1)
	v_cmp_gt_u64_e64 s4, s[22:23], v[9:10]
	v_mov_b32_e32 v9, 0
	v_mov_b32_e32 v10, 0
	s_and_saveexec_b32 s28, s4
	s_cbranch_execnz .LBB90_15
; %bb.11:                               ;   in Loop: Header=BB90_4 Depth=1
	s_wait_alu 0xfffe
	s_or_b32 exec_lo, exec_lo, s28
	s_and_saveexec_b32 s5, vcc_lo
	s_cbranch_execnz .LBB90_16
.LBB90_12:                              ;   in Loop: Header=BB90_4 Depth=1
	s_wait_alu 0xfffe
	s_or_b32 exec_lo, exec_lo, s5
	s_and_saveexec_b32 s5, s2
	s_cbranch_execnz .LBB90_17
.LBB90_13:                              ;   in Loop: Header=BB90_4 Depth=1
	s_wait_alu 0xfffe
	s_or_b32 exec_lo, exec_lo, s5
	s_and_saveexec_b32 s2, s3
	s_cbranch_execnz .LBB90_18
.LBB90_14:                              ;   in Loop: Header=BB90_4 Depth=1
	s_wait_alu 0xfffe
	s_or_b32 exec_lo, exec_lo, s2
	s_and_saveexec_b32 s2, s4
	s_cbranch_execz .LBB90_3
	s_branch .LBB90_19
.LBB90_15:                              ;   in Loop: Header=BB90_4 Depth=1
	v_add_co_u32 v9, s5, s16, v18
	s_wait_alu 0xf1ff
	v_add_co_ci_u32_e64 v10, null, s17, v19, s5
	global_load_b128 v[9:12], v[9:10], off offset:-8
	s_wait_alu 0xfffe
	s_or_b32 exec_lo, exec_lo, s28
	s_and_saveexec_b32 s5, vcc_lo
	s_cbranch_execz .LBB90_12
.LBB90_16:                              ;   in Loop: Header=BB90_4 Depth=1
	s_wait_loadcnt 0x0
	v_add_f64_e64 v[7:8], v[7:8], -s[10:11]
	v_add_f64_e64 v[5:6], v[5:6], -s[8:9]
	v_add_co_u32 v29, s28, s16, v17
	s_wait_alu 0xf1ff
	v_add_co_ci_u32_e64 v30, null, s17, 0, s28
	global_store_b128 v[29:30], v[5:8], off
	s_wait_alu 0xfffe
	s_or_b32 exec_lo, exec_lo, s5
	s_and_saveexec_b32 s5, s2
	s_cbranch_execz .LBB90_13
.LBB90_17:                              ;   in Loop: Header=BB90_4 Depth=1
	s_wait_loadcnt 0x0
	v_add_f64_e64 v[1:2], v[1:2], -s[8:9]
	v_add_f64_e64 v[3:4], v[3:4], -s[10:11]
	v_add_co_u32 v5, s2, s16, v24
	s_wait_alu 0xf1ff
	v_add_co_ci_u32_e64 v6, null, s17, 0, s2
	global_store_b128 v[5:6], v[1:4], off
	s_wait_alu 0xfffe
	s_or_b32 exec_lo, exec_lo, s5
	s_and_saveexec_b32 s2, s3
	s_cbranch_execz .LBB90_14
.LBB90_18:                              ;   in Loop: Header=BB90_4 Depth=1
	s_wait_loadcnt 0x0
	v_add_f64_e64 v[1:2], v[13:14], -s[8:9]
	v_add_f64_e64 v[3:4], v[15:16], -s[10:11]
	v_add_co_u32 v5, vcc_lo, s16, v26
	s_wait_alu 0xfffd
	v_add_co_ci_u32_e64 v6, null, s17, v25, vcc_lo
	global_store_b128 v[5:6], v[1:4], off offset:-8
	s_wait_alu 0xfffe
	s_or_b32 exec_lo, exec_lo, s2
	s_and_saveexec_b32 s2, s4
	s_cbranch_execz .LBB90_3
.LBB90_19:                              ;   in Loop: Header=BB90_4 Depth=1
	s_wait_loadcnt 0x0
	v_add_f64_e64 v[1:2], v[9:10], -s[8:9]
	v_add_f64_e64 v[3:4], v[11:12], -s[10:11]
	v_add_co_u32 v5, vcc_lo, s16, v18
	s_wait_alu 0xfffd
	v_add_co_ci_u32_e64 v6, null, s17, v19, vcc_lo
	global_store_b128 v[5:6], v[1:4], off offset:-8
	s_branch .LBB90_3
.LBB90_20:
	s_cbranch_execz .LBB90_22
	s_branch .LBB90_25
.LBB90_21:
.LBB90_22:
	v_cmp_gt_i64_e64 s2, 0x10000, s[14:15]
	s_wait_loadcnt 0x0
	v_dual_mov_b32 v2, 0 :: v_dual_lshlrev_b32 v1, 2, v0
	s_mov_b32 s4, 0
	s_mov_b32 s5, exec_lo
	s_and_b32 s2, s2, exec_lo
	s_cselect_b32 s3, s15, 0
	s_cselect_b32 s2, s14, 0x10000
	s_wait_alu 0xfffe
	v_cmpx_gt_i64_e64 s[2:3], v[1:2]
	s_cbranch_execz .LBB90_25
; %bb.23:
	s_load_b32 s5, s[0:1], 0xd4c
	v_lshlrev_b32_e32 v3, 6, v0
	s_add_nc_u64 s[0:1], s[6:7], s[12:13]
	v_mov_b32_e32 v1, v2
	s_delay_alu instid0(VALU_DEP_2)
	v_add_co_u32 v2, s0, s0, v3
	s_wait_alu 0xf1ff
	v_add_co_ci_u32_e64 v3, null, s1, 0, s0
	s_wait_kmcnt 0x0
	s_and_b32 s1, s5, 0xffff
	s_wait_alu 0xfffe
	s_lshl_b32 s5, s1, 6
.LBB90_24:                              ; =>This Inner Loop Header: Depth=1
	s_clause 0x3
	global_load_b128 v[4:7], v[2:3], off
	global_load_b128 v[8:11], v[2:3], off offset:16
	global_load_b128 v[12:15], v[2:3], off offset:32
	;; [unrolled: 1-line block ×3, first 2 shown]
	v_add_co_u32 v0, vcc_lo, v0, s1
	s_wait_alu 0xfffd
	v_add_co_ci_u32_e64 v1, null, 0, v1, vcc_lo
	s_delay_alu instid0(VALU_DEP_1) | instskip(NEXT) | instid1(VALU_DEP_1)
	v_lshlrev_b64_e32 v[20:21], 2, v[0:1]
	v_cmp_le_i64_e32 vcc_lo, s[2:3], v[20:21]
	s_or_b32 s4, vcc_lo, s4
	s_wait_loadcnt 0x3
	v_add_f64_e64 v[4:5], v[4:5], -s[8:9]
	v_add_f64_e64 v[6:7], v[6:7], -s[10:11]
	s_wait_loadcnt 0x2
	v_add_f64_e64 v[8:9], v[8:9], -s[8:9]
	v_add_f64_e64 v[10:11], v[10:11], -s[10:11]
	s_wait_loadcnt 0x1
	v_add_f64_e64 v[12:13], v[12:13], -s[8:9]
	v_add_f64_e64 v[14:15], v[14:15], -s[10:11]
	s_wait_loadcnt 0x0
	v_add_f64_e64 v[16:17], v[16:17], -s[8:9]
	v_add_f64_e64 v[18:19], v[18:19], -s[10:11]
	s_clause 0x3
	global_store_b128 v[2:3], v[4:7], off
	global_store_b128 v[2:3], v[8:11], off offset:16
	global_store_b128 v[2:3], v[12:15], off offset:32
	;; [unrolled: 1-line block ×3, first 2 shown]
	s_wait_alu 0xfffe
	v_add_co_u32 v2, s0, v2, s5
	s_wait_alu 0xf1ff
	v_add_co_ci_u32_e64 v3, null, 0, v3, s0
	s_and_not1_b32 exec_lo, exec_lo, s4
	s_cbranch_execnz .LBB90_24
.LBB90_25:
	s_endpgm
	.section	.rodata,"a",@progbits
	.p2align	6, 0x0
	.amdhsa_kernel _ZN2at6native12_GLOBAL__N_125multi_tensor_apply_kernelINS1_18TensorListMetadataILi1EEENS1_21BinaryOpScalarFunctorIN3c107complexIdEELi1ELi1ELi0EEEJSt5minusIS8_ES8_EEEvT_T0_DpT1_
		.amdhsa_group_segment_fixed_size 0
		.amdhsa_private_segment_fixed_size 0
		.amdhsa_kernarg_size 3648
		.amdhsa_user_sgpr_count 2
		.amdhsa_user_sgpr_dispatch_ptr 0
		.amdhsa_user_sgpr_queue_ptr 0
		.amdhsa_user_sgpr_kernarg_segment_ptr 1
		.amdhsa_user_sgpr_dispatch_id 0
		.amdhsa_user_sgpr_private_segment_size 0
		.amdhsa_wavefront_size32 1
		.amdhsa_uses_dynamic_stack 0
		.amdhsa_enable_private_segment 0
		.amdhsa_system_sgpr_workgroup_id_x 1
		.amdhsa_system_sgpr_workgroup_id_y 0
		.amdhsa_system_sgpr_workgroup_id_z 0
		.amdhsa_system_sgpr_workgroup_info 0
		.amdhsa_system_vgpr_workitem_id 0
		.amdhsa_next_free_vgpr 31
		.amdhsa_next_free_sgpr 29
		.amdhsa_reserve_vcc 1
		.amdhsa_float_round_mode_32 0
		.amdhsa_float_round_mode_16_64 0
		.amdhsa_float_denorm_mode_32 3
		.amdhsa_float_denorm_mode_16_64 3
		.amdhsa_fp16_overflow 0
		.amdhsa_workgroup_processor_mode 1
		.amdhsa_memory_ordered 1
		.amdhsa_forward_progress 1
		.amdhsa_inst_pref_size 12
		.amdhsa_round_robin_scheduling 0
		.amdhsa_exception_fp_ieee_invalid_op 0
		.amdhsa_exception_fp_denorm_src 0
		.amdhsa_exception_fp_ieee_div_zero 0
		.amdhsa_exception_fp_ieee_overflow 0
		.amdhsa_exception_fp_ieee_underflow 0
		.amdhsa_exception_fp_ieee_inexact 0
		.amdhsa_exception_int_div_zero 0
	.end_amdhsa_kernel
	.section	.text._ZN2at6native12_GLOBAL__N_125multi_tensor_apply_kernelINS1_18TensorListMetadataILi1EEENS1_21BinaryOpScalarFunctorIN3c107complexIdEELi1ELi1ELi0EEEJSt5minusIS8_ES8_EEEvT_T0_DpT1_,"axG",@progbits,_ZN2at6native12_GLOBAL__N_125multi_tensor_apply_kernelINS1_18TensorListMetadataILi1EEENS1_21BinaryOpScalarFunctorIN3c107complexIdEELi1ELi1ELi0EEEJSt5minusIS8_ES8_EEEvT_T0_DpT1_,comdat
.Lfunc_end90:
	.size	_ZN2at6native12_GLOBAL__N_125multi_tensor_apply_kernelINS1_18TensorListMetadataILi1EEENS1_21BinaryOpScalarFunctorIN3c107complexIdEELi1ELi1ELi0EEEJSt5minusIS8_ES8_EEEvT_T0_DpT1_, .Lfunc_end90-_ZN2at6native12_GLOBAL__N_125multi_tensor_apply_kernelINS1_18TensorListMetadataILi1EEENS1_21BinaryOpScalarFunctorIN3c107complexIdEELi1ELi1ELi0EEEJSt5minusIS8_ES8_EEEvT_T0_DpT1_
                                        ; -- End function
	.set _ZN2at6native12_GLOBAL__N_125multi_tensor_apply_kernelINS1_18TensorListMetadataILi1EEENS1_21BinaryOpScalarFunctorIN3c107complexIdEELi1ELi1ELi0EEEJSt5minusIS8_ES8_EEEvT_T0_DpT1_.num_vgpr, 31
	.set _ZN2at6native12_GLOBAL__N_125multi_tensor_apply_kernelINS1_18TensorListMetadataILi1EEENS1_21BinaryOpScalarFunctorIN3c107complexIdEELi1ELi1ELi0EEEJSt5minusIS8_ES8_EEEvT_T0_DpT1_.num_agpr, 0
	.set _ZN2at6native12_GLOBAL__N_125multi_tensor_apply_kernelINS1_18TensorListMetadataILi1EEENS1_21BinaryOpScalarFunctorIN3c107complexIdEELi1ELi1ELi0EEEJSt5minusIS8_ES8_EEEvT_T0_DpT1_.numbered_sgpr, 29
	.set _ZN2at6native12_GLOBAL__N_125multi_tensor_apply_kernelINS1_18TensorListMetadataILi1EEENS1_21BinaryOpScalarFunctorIN3c107complexIdEELi1ELi1ELi0EEEJSt5minusIS8_ES8_EEEvT_T0_DpT1_.num_named_barrier, 0
	.set _ZN2at6native12_GLOBAL__N_125multi_tensor_apply_kernelINS1_18TensorListMetadataILi1EEENS1_21BinaryOpScalarFunctorIN3c107complexIdEELi1ELi1ELi0EEEJSt5minusIS8_ES8_EEEvT_T0_DpT1_.private_seg_size, 0
	.set _ZN2at6native12_GLOBAL__N_125multi_tensor_apply_kernelINS1_18TensorListMetadataILi1EEENS1_21BinaryOpScalarFunctorIN3c107complexIdEELi1ELi1ELi0EEEJSt5minusIS8_ES8_EEEvT_T0_DpT1_.uses_vcc, 1
	.set _ZN2at6native12_GLOBAL__N_125multi_tensor_apply_kernelINS1_18TensorListMetadataILi1EEENS1_21BinaryOpScalarFunctorIN3c107complexIdEELi1ELi1ELi0EEEJSt5minusIS8_ES8_EEEvT_T0_DpT1_.uses_flat_scratch, 0
	.set _ZN2at6native12_GLOBAL__N_125multi_tensor_apply_kernelINS1_18TensorListMetadataILi1EEENS1_21BinaryOpScalarFunctorIN3c107complexIdEELi1ELi1ELi0EEEJSt5minusIS8_ES8_EEEvT_T0_DpT1_.has_dyn_sized_stack, 0
	.set _ZN2at6native12_GLOBAL__N_125multi_tensor_apply_kernelINS1_18TensorListMetadataILi1EEENS1_21BinaryOpScalarFunctorIN3c107complexIdEELi1ELi1ELi0EEEJSt5minusIS8_ES8_EEEvT_T0_DpT1_.has_recursion, 0
	.set _ZN2at6native12_GLOBAL__N_125multi_tensor_apply_kernelINS1_18TensorListMetadataILi1EEENS1_21BinaryOpScalarFunctorIN3c107complexIdEELi1ELi1ELi0EEEJSt5minusIS8_ES8_EEEvT_T0_DpT1_.has_indirect_call, 0
	.section	.AMDGPU.csdata,"",@progbits
; Kernel info:
; codeLenInByte = 1520
; TotalNumSgprs: 31
; NumVgprs: 31
; ScratchSize: 0
; MemoryBound: 1
; FloatMode: 240
; IeeeMode: 1
; LDSByteSize: 0 bytes/workgroup (compile time only)
; SGPRBlocks: 0
; VGPRBlocks: 3
; NumSGPRsForWavesPerEU: 31
; NumVGPRsForWavesPerEU: 31
; Occupancy: 16
; WaveLimiterHint : 0
; COMPUTE_PGM_RSRC2:SCRATCH_EN: 0
; COMPUTE_PGM_RSRC2:USER_SGPR: 2
; COMPUTE_PGM_RSRC2:TRAP_HANDLER: 0
; COMPUTE_PGM_RSRC2:TGID_X_EN: 1
; COMPUTE_PGM_RSRC2:TGID_Y_EN: 0
; COMPUTE_PGM_RSRC2:TGID_Z_EN: 0
; COMPUTE_PGM_RSRC2:TIDIG_COMP_CNT: 0
	.section	.text._ZN2at6native12_GLOBAL__N_125multi_tensor_apply_kernelINS1_18TensorListMetadataILi1EEENS1_21BinaryOpScalarFunctorIN3c107complexIfEELi1ELi1ELi0EEEJSt5minusIS8_ES8_EEEvT_T0_DpT1_,"axG",@progbits,_ZN2at6native12_GLOBAL__N_125multi_tensor_apply_kernelINS1_18TensorListMetadataILi1EEENS1_21BinaryOpScalarFunctorIN3c107complexIfEELi1ELi1ELi0EEEJSt5minusIS8_ES8_EEEvT_T0_DpT1_,comdat
	.globl	_ZN2at6native12_GLOBAL__N_125multi_tensor_apply_kernelINS1_18TensorListMetadataILi1EEENS1_21BinaryOpScalarFunctorIN3c107complexIfEELi1ELi1ELi0EEEJSt5minusIS8_ES8_EEEvT_T0_DpT1_ ; -- Begin function _ZN2at6native12_GLOBAL__N_125multi_tensor_apply_kernelINS1_18TensorListMetadataILi1EEENS1_21BinaryOpScalarFunctorIN3c107complexIfEELi1ELi1ELi0EEEJSt5minusIS8_ES8_EEEvT_T0_DpT1_
	.p2align	8
	.type	_ZN2at6native12_GLOBAL__N_125multi_tensor_apply_kernelINS1_18TensorListMetadataILi1EEENS1_21BinaryOpScalarFunctorIN3c107complexIfEELi1ELi1ELi0EEEJSt5minusIS8_ES8_EEEvT_T0_DpT1_,@function
_ZN2at6native12_GLOBAL__N_125multi_tensor_apply_kernelINS1_18TensorListMetadataILi1EEENS1_21BinaryOpScalarFunctorIN3c107complexIfEELi1ELi1ELi0EEEJSt5minusIS8_ES8_EEEvT_T0_DpT1_: ; @_ZN2at6native12_GLOBAL__N_125multi_tensor_apply_kernelINS1_18TensorListMetadataILi1EEENS1_21BinaryOpScalarFunctorIN3c107complexIfEELi1ELi1ELi0EEEJSt5minusIS8_ES8_EEEvT_T0_DpT1_
; %bb.0:
	s_load_u8 s8, s[0:1], ttmp9 offset:0x6e0
	s_mov_b32 s2, ttmp9
	s_mov_b32 s3, 0
	s_delay_alu instid0(SALU_CYCLE_1) | instskip(SKIP_1) | instid1(SALU_CYCLE_1)
	s_mul_u64 s[4:5], s[2:3], 3
	s_add_nc_u64 s[6:7], s[0:1], s[2:3]
	s_add_nc_u64 s[4:5], s[6:7], s[4:5]
	s_load_b32 s4, s[4:5], 0x820
	s_wait_kmcnt 0x0
	s_lshl_b32 s2, s8, 3
	s_clause 0x2
	s_load_b64 s[8:9], s[0:1], s2 offset:0x0
	s_load_b64 s[10:11], s[0:1], s2 offset:0x370
	s_load_b64 s[6:7], s[0:1], 0xd30
	s_ashr_i32 s5, s4, 31
	s_delay_alu instid0(SALU_CYCLE_1)
	s_lshl_b64 s[12:13], s[4:5], 19
	s_lshl_b64 s[4:5], s[4:5], 16
	s_wait_kmcnt 0x0
	s_add_nc_u64 s[8:9], s[8:9], s[12:13]
	s_and_b32 s12, s10, 3
	s_and_b32 s2, s8, 31
	s_mov_b32 s13, s3
	s_sub_nc_u64 s[10:11], s[10:11], s[4:5]
	s_or_b64 s[2:3], s[2:3], s[12:13]
	s_delay_alu instid0(SALU_CYCLE_1)
	s_cmp_eq_u64 s[2:3], 0
	s_cbranch_scc1 .LBB91_19
; %bb.1:
	v_cmp_lt_i64_e64 s2, s[10:11], 1
	s_and_b32 vcc_lo, exec_lo, s2
	s_cbranch_vccnz .LBB91_18
; %bb.2:
	s_load_b32 s2, s[0:1], 0xd44
	v_cmp_gt_i64_e64 s3, 0x10000, s[10:11]
	s_mov_b64 s[4:5], src_private_base
	v_mov_b32_e32 v1, 0
	v_cmp_gt_u64_e64 s4, 0x10000, s[10:11]
	s_mov_b32 s13, 0
	s_mov_b64 s[18:19], 0
	s_and_b32 s3, s3, exec_lo
	v_mov_b32_e32 v2, v1
	s_cselect_b32 s15, s11, 0
	s_cselect_b32 s14, s10, 0x10000
	s_wait_kmcnt 0x0
	s_and_b32 s20, s2, 0xffff
	s_and_b32 s2, s4, exec_lo
	s_cselect_b32 s17, s11, 0
	s_cselect_b32 s16, s10, 0x10000
	s_lshl_b32 s21, s20, 1
	s_mul_i32 s22, s20, 3
	s_lshl_b32 s12, s20, 2
	s_branch .LBB91_4
.LBB91_3:                               ;   in Loop: Header=BB91_4 Depth=1
	s_wait_alu 0xfffe
	s_or_b32 exec_lo, exec_lo, s2
	s_add_nc_u64 s[18:19], s[18:19], s[12:13]
	s_wait_alu 0xfffe
	v_cmp_lt_i64_e64 s2, s[18:19], s[14:15]
	s_and_b32 vcc_lo, exec_lo, s2
	s_wait_alu 0xfffe
	s_cbranch_vccz .LBB91_18
.LBB91_4:                               ; =>This Inner Loop Header: Depth=1
	v_add_co_u32 v13, s2, s18, v0
	s_wait_alu 0xf1ff
	v_add_co_ci_u32_e64 v14, null, s19, 0, s2
	v_dual_mov_b32 v6, 0 :: v_dual_mov_b32 v5, 0
	s_delay_alu instid0(VALU_DEP_2)
	v_cmp_gt_u64_e32 vcc_lo, s[16:17], v[13:14]
	v_lshlrev_b64_e32 v[3:4], 3, v[13:14]
	s_and_saveexec_b32 s3, vcc_lo
	s_cbranch_execz .LBB91_6
; %bb.5:                                ;   in Loop: Header=BB91_4 Depth=1
	s_delay_alu instid0(VALU_DEP_1) | instskip(SKIP_1) | instid1(VALU_DEP_2)
	v_add_co_u32 v5, s2, s8, v3
	s_wait_alu 0xf1ff
	v_add_co_ci_u32_e64 v6, null, s9, v4, s2
	global_load_b64 v[5:6], v[5:6], off
.LBB91_6:                               ;   in Loop: Header=BB91_4 Depth=1
	s_wait_alu 0xfffe
	s_or_b32 exec_lo, exec_lo, s3
	v_add_co_u32 v7, s2, v13, s20
	s_wait_alu 0xf1ff
	v_add_co_ci_u32_e64 v8, null, 0, v14, s2
	v_dual_mov_b32 v10, 0 :: v_dual_mov_b32 v9, 0
	s_delay_alu instid0(VALU_DEP_2)
	v_cmp_gt_u64_e64 s2, s[16:17], v[7:8]
	v_lshlrev_b64_e32 v[7:8], 3, v[7:8]
	s_and_saveexec_b32 s4, s2
	s_cbranch_execz .LBB91_8
; %bb.7:                                ;   in Loop: Header=BB91_4 Depth=1
	s_delay_alu instid0(VALU_DEP_1) | instskip(SKIP_1) | instid1(VALU_DEP_2)
	v_add_co_u32 v9, s3, s8, v7
	s_wait_alu 0xf1ff
	v_add_co_ci_u32_e64 v10, null, s9, v8, s3
	global_load_b64 v[9:10], v[9:10], off
.LBB91_8:                               ;   in Loop: Header=BB91_4 Depth=1
	s_wait_alu 0xfffe
	s_or_b32 exec_lo, exec_lo, s4
	v_add_co_u32 v11, s3, v13, s21
	s_wait_alu 0xf1ff
	v_add_co_ci_u32_e64 v12, null, 0, v14, s3
	v_mov_b32_e32 v15, 0
	v_mov_b32_e32 v16, 0
	s_delay_alu instid0(VALU_DEP_3)
	v_cmp_gt_u64_e64 s3, s[16:17], v[11:12]
	v_lshlrev_b64_e32 v[11:12], 3, v[11:12]
	s_and_saveexec_b32 s23, s3
	s_cbranch_execz .LBB91_10
; %bb.9:                                ;   in Loop: Header=BB91_4 Depth=1
	s_delay_alu instid0(VALU_DEP_1) | instskip(SKIP_1) | instid1(VALU_DEP_2)
	v_add_co_u32 v15, s4, s8, v11
	s_wait_alu 0xf1ff
	v_add_co_ci_u32_e64 v16, null, s9, v12, s4
	global_load_b64 v[15:16], v[15:16], off
.LBB91_10:                              ;   in Loop: Header=BB91_4 Depth=1
	s_wait_alu 0xfffe
	s_or_b32 exec_lo, exec_lo, s23
	v_add_co_u32 v17, s4, v13, s22
	s_wait_alu 0xf1ff
	v_add_co_ci_u32_e64 v18, null, 0, v14, s4
	scratch_store_b64 off, v[1:2], off
	v_lshlrev_b64_e32 v[13:14], 3, v[17:18]
	s_delay_alu instid0(VALU_DEP_1) | instskip(SKIP_1) | instid1(VALU_DEP_2)
	v_add_co_u32 v13, s4, s8, v13
	s_wait_alu 0xf1ff
	v_add_co_ci_u32_e64 v14, null, s9, v14, s4
	v_cmp_gt_u64_e64 s4, s[16:17], v[17:18]
	s_wait_alu 0xf1ff
	s_delay_alu instid0(VALU_DEP_1)
	v_cndmask_b32_e64 v18, s5, v14, s4
	v_cndmask_b32_e64 v17, 0, v13, s4
	flat_load_b64 v[17:18], v[17:18]
	s_wait_loadcnt_dscnt 0x0
	v_dual_subrev_f32 v17, s6, v17 :: v_dual_subrev_f32 v18, s7, v18
	scratch_store_b64 off, v[17:18], off
	s_and_saveexec_b32 s23, vcc_lo
	s_cbranch_execnz .LBB91_14
; %bb.11:                               ;   in Loop: Header=BB91_4 Depth=1
	s_wait_alu 0xfffe
	s_or_b32 exec_lo, exec_lo, s23
	s_and_saveexec_b32 s23, s2
	s_cbranch_execnz .LBB91_15
.LBB91_12:                              ;   in Loop: Header=BB91_4 Depth=1
	s_wait_alu 0xfffe
	s_or_b32 exec_lo, exec_lo, s23
	s_and_saveexec_b32 s2, s3
	s_cbranch_execnz .LBB91_16
.LBB91_13:                              ;   in Loop: Header=BB91_4 Depth=1
	s_wait_alu 0xfffe
	s_or_b32 exec_lo, exec_lo, s2
	s_and_saveexec_b32 s2, s4
	s_cbranch_execz .LBB91_3
	s_branch .LBB91_17
.LBB91_14:                              ;   in Loop: Header=BB91_4 Depth=1
	v_add_co_u32 v3, vcc_lo, s8, v3
	s_wait_alu 0xfffd
	v_add_co_ci_u32_e64 v4, null, s9, v4, vcc_lo
	v_dual_subrev_f32 v5, s6, v5 :: v_dual_subrev_f32 v6, s7, v6
	global_store_b64 v[3:4], v[5:6], off
	s_wait_alu 0xfffe
	s_or_b32 exec_lo, exec_lo, s23
	s_and_saveexec_b32 s23, s2
	s_cbranch_execz .LBB91_12
.LBB91_15:                              ;   in Loop: Header=BB91_4 Depth=1
	v_add_co_u32 v5, vcc_lo, s8, v7
	v_dual_subrev_f32 v3, s6, v9 :: v_dual_subrev_f32 v4, s7, v10
	s_wait_alu 0xfffd
	v_add_co_ci_u32_e64 v6, null, s9, v8, vcc_lo
	global_store_b64 v[5:6], v[3:4], off
	s_wait_alu 0xfffe
	s_or_b32 exec_lo, exec_lo, s23
	s_and_saveexec_b32 s2, s3
	s_cbranch_execz .LBB91_13
.LBB91_16:                              ;   in Loop: Header=BB91_4 Depth=1
	v_add_co_u32 v5, vcc_lo, s8, v11
	v_dual_subrev_f32 v3, s6, v15 :: v_dual_subrev_f32 v4, s7, v16
	s_wait_alu 0xfffd
	v_add_co_ci_u32_e64 v6, null, s9, v12, vcc_lo
	global_store_b64 v[5:6], v[3:4], off
	s_wait_alu 0xfffe
	s_or_b32 exec_lo, exec_lo, s2
	s_and_saveexec_b32 s2, s4
	s_cbranch_execz .LBB91_3
.LBB91_17:                              ;   in Loop: Header=BB91_4 Depth=1
	scratch_load_b64 v[3:4], off, off
	s_wait_loadcnt 0x0
	global_store_b64 v[13:14], v[3:4], off
	s_branch .LBB91_3
.LBB91_18:
	s_cbranch_execz .LBB91_20
	s_branch .LBB91_23
.LBB91_19:
.LBB91_20:
	v_cmp_gt_i64_e64 s2, 0x10000, s[10:11]
	v_dual_mov_b32 v2, 0 :: v_dual_lshlrev_b32 v1, 2, v0
	s_mov_b32 s4, 0
	s_mov_b32 s5, exec_lo
	s_and_b32 s2, s2, exec_lo
	s_cselect_b32 s3, s11, 0
	s_cselect_b32 s2, s10, 0x10000
	s_wait_alu 0xfffe
	v_cmpx_gt_i64_e64 s[2:3], v[1:2]
	s_cbranch_execz .LBB91_23
; %bb.21:
	s_load_b32 s0, s[0:1], 0xd44
	v_lshlrev_b32_e32 v3, 5, v0
	v_mov_b32_e32 v1, v2
	s_delay_alu instid0(VALU_DEP_2) | instskip(NEXT) | instid1(VALU_DEP_1)
	v_add_co_u32 v2, s1, s8, v3
	v_add_co_ci_u32_e64 v3, null, s9, 0, s1
	s_wait_kmcnt 0x0
	s_and_b32 s1, s0, 0xffff
	s_wait_alu 0xfffe
	s_lshl_b32 s5, s1, 5
.LBB91_22:                              ; =>This Inner Loop Header: Depth=1
	s_clause 0x1
	global_load_b128 v[4:7], v[2:3], off
	global_load_b128 v[8:11], v[2:3], off offset:16
	v_add_co_u32 v0, vcc_lo, v0, s1
	s_wait_alu 0xfffd
	v_add_co_ci_u32_e64 v1, null, 0, v1, vcc_lo
	s_delay_alu instid0(VALU_DEP_1) | instskip(NEXT) | instid1(VALU_DEP_1)
	v_lshlrev_b64_e32 v[12:13], 2, v[0:1]
	v_cmp_le_i64_e32 vcc_lo, s[2:3], v[12:13]
	s_or_b32 s4, vcc_lo, s4
	s_wait_loadcnt 0x1
	v_dual_subrev_f32 v4, s6, v4 :: v_dual_subrev_f32 v5, s7, v5
	v_dual_subrev_f32 v6, s6, v6 :: v_dual_subrev_f32 v7, s7, v7
	s_wait_loadcnt 0x0
	v_dual_subrev_f32 v8, s6, v8 :: v_dual_subrev_f32 v9, s7, v9
	v_dual_subrev_f32 v10, s6, v10 :: v_dual_subrev_f32 v11, s7, v11
	s_clause 0x1
	global_store_b128 v[2:3], v[4:7], off
	global_store_b128 v[2:3], v[8:11], off offset:16
	s_wait_alu 0xfffe
	v_add_co_u32 v2, s0, v2, s5
	s_wait_alu 0xf1ff
	v_add_co_ci_u32_e64 v3, null, 0, v3, s0
	scratch_store_b64 off, v[10:11], off
	s_and_not1_b32 exec_lo, exec_lo, s4
	s_cbranch_execnz .LBB91_22
.LBB91_23:
	s_endpgm
	.section	.rodata,"a",@progbits
	.p2align	6, 0x0
	.amdhsa_kernel _ZN2at6native12_GLOBAL__N_125multi_tensor_apply_kernelINS1_18TensorListMetadataILi1EEENS1_21BinaryOpScalarFunctorIN3c107complexIfEELi1ELi1ELi0EEEJSt5minusIS8_ES8_EEEvT_T0_DpT1_
		.amdhsa_group_segment_fixed_size 0
		.amdhsa_private_segment_fixed_size 16
		.amdhsa_kernarg_size 3640
		.amdhsa_user_sgpr_count 2
		.amdhsa_user_sgpr_dispatch_ptr 0
		.amdhsa_user_sgpr_queue_ptr 0
		.amdhsa_user_sgpr_kernarg_segment_ptr 1
		.amdhsa_user_sgpr_dispatch_id 0
		.amdhsa_user_sgpr_private_segment_size 0
		.amdhsa_wavefront_size32 1
		.amdhsa_uses_dynamic_stack 0
		.amdhsa_enable_private_segment 1
		.amdhsa_system_sgpr_workgroup_id_x 1
		.amdhsa_system_sgpr_workgroup_id_y 0
		.amdhsa_system_sgpr_workgroup_id_z 0
		.amdhsa_system_sgpr_workgroup_info 0
		.amdhsa_system_vgpr_workitem_id 0
		.amdhsa_next_free_vgpr 19
		.amdhsa_next_free_sgpr 24
		.amdhsa_reserve_vcc 1
		.amdhsa_float_round_mode_32 0
		.amdhsa_float_round_mode_16_64 0
		.amdhsa_float_denorm_mode_32 3
		.amdhsa_float_denorm_mode_16_64 3
		.amdhsa_fp16_overflow 0
		.amdhsa_workgroup_processor_mode 1
		.amdhsa_memory_ordered 1
		.amdhsa_forward_progress 1
		.amdhsa_inst_pref_size 10
		.amdhsa_round_robin_scheduling 0
		.amdhsa_exception_fp_ieee_invalid_op 0
		.amdhsa_exception_fp_denorm_src 0
		.amdhsa_exception_fp_ieee_div_zero 0
		.amdhsa_exception_fp_ieee_overflow 0
		.amdhsa_exception_fp_ieee_underflow 0
		.amdhsa_exception_fp_ieee_inexact 0
		.amdhsa_exception_int_div_zero 0
	.end_amdhsa_kernel
	.section	.text._ZN2at6native12_GLOBAL__N_125multi_tensor_apply_kernelINS1_18TensorListMetadataILi1EEENS1_21BinaryOpScalarFunctorIN3c107complexIfEELi1ELi1ELi0EEEJSt5minusIS8_ES8_EEEvT_T0_DpT1_,"axG",@progbits,_ZN2at6native12_GLOBAL__N_125multi_tensor_apply_kernelINS1_18TensorListMetadataILi1EEENS1_21BinaryOpScalarFunctorIN3c107complexIfEELi1ELi1ELi0EEEJSt5minusIS8_ES8_EEEvT_T0_DpT1_,comdat
.Lfunc_end91:
	.size	_ZN2at6native12_GLOBAL__N_125multi_tensor_apply_kernelINS1_18TensorListMetadataILi1EEENS1_21BinaryOpScalarFunctorIN3c107complexIfEELi1ELi1ELi0EEEJSt5minusIS8_ES8_EEEvT_T0_DpT1_, .Lfunc_end91-_ZN2at6native12_GLOBAL__N_125multi_tensor_apply_kernelINS1_18TensorListMetadataILi1EEENS1_21BinaryOpScalarFunctorIN3c107complexIfEELi1ELi1ELi0EEEJSt5minusIS8_ES8_EEEvT_T0_DpT1_
                                        ; -- End function
	.set _ZN2at6native12_GLOBAL__N_125multi_tensor_apply_kernelINS1_18TensorListMetadataILi1EEENS1_21BinaryOpScalarFunctorIN3c107complexIfEELi1ELi1ELi0EEEJSt5minusIS8_ES8_EEEvT_T0_DpT1_.num_vgpr, 19
	.set _ZN2at6native12_GLOBAL__N_125multi_tensor_apply_kernelINS1_18TensorListMetadataILi1EEENS1_21BinaryOpScalarFunctorIN3c107complexIfEELi1ELi1ELi0EEEJSt5minusIS8_ES8_EEEvT_T0_DpT1_.num_agpr, 0
	.set _ZN2at6native12_GLOBAL__N_125multi_tensor_apply_kernelINS1_18TensorListMetadataILi1EEENS1_21BinaryOpScalarFunctorIN3c107complexIfEELi1ELi1ELi0EEEJSt5minusIS8_ES8_EEEvT_T0_DpT1_.numbered_sgpr, 24
	.set _ZN2at6native12_GLOBAL__N_125multi_tensor_apply_kernelINS1_18TensorListMetadataILi1EEENS1_21BinaryOpScalarFunctorIN3c107complexIfEELi1ELi1ELi0EEEJSt5minusIS8_ES8_EEEvT_T0_DpT1_.num_named_barrier, 0
	.set _ZN2at6native12_GLOBAL__N_125multi_tensor_apply_kernelINS1_18TensorListMetadataILi1EEENS1_21BinaryOpScalarFunctorIN3c107complexIfEELi1ELi1ELi0EEEJSt5minusIS8_ES8_EEEvT_T0_DpT1_.private_seg_size, 16
	.set _ZN2at6native12_GLOBAL__N_125multi_tensor_apply_kernelINS1_18TensorListMetadataILi1EEENS1_21BinaryOpScalarFunctorIN3c107complexIfEELi1ELi1ELi0EEEJSt5minusIS8_ES8_EEEvT_T0_DpT1_.uses_vcc, 1
	.set _ZN2at6native12_GLOBAL__N_125multi_tensor_apply_kernelINS1_18TensorListMetadataILi1EEENS1_21BinaryOpScalarFunctorIN3c107complexIfEELi1ELi1ELi0EEEJSt5minusIS8_ES8_EEEvT_T0_DpT1_.uses_flat_scratch, 0
	.set _ZN2at6native12_GLOBAL__N_125multi_tensor_apply_kernelINS1_18TensorListMetadataILi1EEENS1_21BinaryOpScalarFunctorIN3c107complexIfEELi1ELi1ELi0EEEJSt5minusIS8_ES8_EEEvT_T0_DpT1_.has_dyn_sized_stack, 0
	.set _ZN2at6native12_GLOBAL__N_125multi_tensor_apply_kernelINS1_18TensorListMetadataILi1EEENS1_21BinaryOpScalarFunctorIN3c107complexIfEELi1ELi1ELi0EEEJSt5minusIS8_ES8_EEEvT_T0_DpT1_.has_recursion, 0
	.set _ZN2at6native12_GLOBAL__N_125multi_tensor_apply_kernelINS1_18TensorListMetadataILi1EEENS1_21BinaryOpScalarFunctorIN3c107complexIfEELi1ELi1ELi0EEEJSt5minusIS8_ES8_EEEvT_T0_DpT1_.has_indirect_call, 0
	.section	.AMDGPU.csdata,"",@progbits
; Kernel info:
; codeLenInByte = 1272
; TotalNumSgprs: 26
; NumVgprs: 19
; ScratchSize: 16
; MemoryBound: 0
; FloatMode: 240
; IeeeMode: 1
; LDSByteSize: 0 bytes/workgroup (compile time only)
; SGPRBlocks: 0
; VGPRBlocks: 2
; NumSGPRsForWavesPerEU: 26
; NumVGPRsForWavesPerEU: 19
; Occupancy: 16
; WaveLimiterHint : 0
; COMPUTE_PGM_RSRC2:SCRATCH_EN: 1
; COMPUTE_PGM_RSRC2:USER_SGPR: 2
; COMPUTE_PGM_RSRC2:TRAP_HANDLER: 0
; COMPUTE_PGM_RSRC2:TGID_X_EN: 1
; COMPUTE_PGM_RSRC2:TGID_Y_EN: 0
; COMPUTE_PGM_RSRC2:TGID_Z_EN: 0
; COMPUTE_PGM_RSRC2:TIDIG_COMP_CNT: 0
	.section	.text._ZN2at6native12_GLOBAL__N_125multi_tensor_apply_kernelINS1_18TensorListMetadataILi1EEENS1_21BinaryOpScalarFunctorIbLi1ELi1ELi0EEEJSt5minusIbEbEEEvT_T0_DpT1_,"axG",@progbits,_ZN2at6native12_GLOBAL__N_125multi_tensor_apply_kernelINS1_18TensorListMetadataILi1EEENS1_21BinaryOpScalarFunctorIbLi1ELi1ELi0EEEJSt5minusIbEbEEEvT_T0_DpT1_,comdat
	.globl	_ZN2at6native12_GLOBAL__N_125multi_tensor_apply_kernelINS1_18TensorListMetadataILi1EEENS1_21BinaryOpScalarFunctorIbLi1ELi1ELi0EEEJSt5minusIbEbEEEvT_T0_DpT1_ ; -- Begin function _ZN2at6native12_GLOBAL__N_125multi_tensor_apply_kernelINS1_18TensorListMetadataILi1EEENS1_21BinaryOpScalarFunctorIbLi1ELi1ELi0EEEJSt5minusIbEbEEEvT_T0_DpT1_
	.p2align	8
	.type	_ZN2at6native12_GLOBAL__N_125multi_tensor_apply_kernelINS1_18TensorListMetadataILi1EEENS1_21BinaryOpScalarFunctorIbLi1ELi1ELi0EEEJSt5minusIbEbEEEvT_T0_DpT1_,@function
_ZN2at6native12_GLOBAL__N_125multi_tensor_apply_kernelINS1_18TensorListMetadataILi1EEENS1_21BinaryOpScalarFunctorIbLi1ELi1ELi0EEEJSt5minusIbEbEEEvT_T0_DpT1_: ; @_ZN2at6native12_GLOBAL__N_125multi_tensor_apply_kernelINS1_18TensorListMetadataILi1EEENS1_21BinaryOpScalarFunctorIbLi1ELi1ELi0EEEJSt5minusIbEbEEEvT_T0_DpT1_
; %bb.0:
	s_clause 0x1
	s_load_b32 s10, s[0:1], 0xd28
	s_load_u8 s6, s[0:1], ttmp9 offset:0x6e0
	s_mov_b32 s2, ttmp9
	s_mov_b32 s3, 0
	s_delay_alu instid0(SALU_CYCLE_1) | instskip(SKIP_1) | instid1(SALU_CYCLE_1)
	s_mul_u64 s[4:5], s[2:3], 3
	s_add_nc_u64 s[2:3], s[0:1], s[2:3]
	s_add_nc_u64 s[2:3], s[2:3], s[4:5]
	s_wait_kmcnt 0x0
	s_bitcmp1_b32 s10, 16
	s_cselect_b32 s21, -1, 0
	s_lshl_b32 s6, s6, 3
	s_clause 0x2
	s_load_b32 s2, s[2:3], 0x820
	s_load_b64 s[4:5], s[0:1], s6 offset:0x370
	s_load_b64 s[6:7], s[0:1], s6 offset:0x0
	s_bfe_u32 s20, s10, 0x10010
	s_wait_kmcnt 0x0
	s_ashr_i32 s3, s2, 31
	s_or_b32 s11, s4, s6
	s_lshl_b64 s[8:9], s[2:3], 16
	s_and_b32 s2, s11, 3
	s_sub_nc_u64 s[10:11], s[4:5], s[8:9]
	s_cmp_eq_u32 s2, 0
	s_cbranch_scc1 .LBB92_21
; %bb.1:
	v_cmp_lt_i64_e64 s2, s[10:11], 1
	s_and_b32 vcc_lo, exec_lo, s2
	s_cbranch_vccnz .LBB92_20
; %bb.2:
	s_load_b32 s2, s[0:1], 0xd3c
	v_cmp_gt_i64_e64 s4, 0x10000, s[10:11]
	s_mov_b32 s17, 0
	v_cmp_gt_u64_e64 s14, 0x10000, s[10:11]
	s_mov_b32 s5, s17
	v_add_co_u32 v11, s3, s8, v0
	s_and_b32 s4, s4, exec_lo
	s_cselect_b32 s13, s11, 0
	s_cselect_b32 s12, s10, 0x10000
	v_add_co_ci_u32_e64 v12, null, s9, 0, s3
	s_mov_b32 s3, s17
	v_add_co_u32 v1, vcc_lo, s6, v11
	s_delay_alu instid0(VALU_DEP_1)
	v_add_co_ci_u32_e64 v2, null, s7, v12, vcc_lo
	s_wait_kmcnt 0x0
	s_and_b32 s16, s2, 0xffff
	s_and_b32 s2, s14, exec_lo
	s_mul_i32 s4, s16, 3
	s_cselect_b32 s15, s11, 0
	s_add_nc_u64 s[18:19], s[8:9], s[4:5]
	s_cselect_b32 s14, s10, 0x10000
	s_add_nc_u64 s[18:19], s[6:7], s[18:19]
	s_lshl_b32 s2, s16, 1
	v_add_co_u32 v3, s5, s18, v0
	s_delay_alu instid0(VALU_DEP_1)
	v_add_co_ci_u32_e64 v4, null, s19, 0, s5
	s_wait_alu 0xfffe
	s_add_nc_u64 s[18:19], s[8:9], s[2:3]
	v_add_co_u32 v5, s3, s4, v0
	s_wait_alu 0xfffe
	s_add_nc_u64 s[4:5], s[6:7], s[18:19]
	v_add_co_ci_u32_e64 v6, null, 0, 0, s3
	s_wait_alu 0xfffe
	v_add_co_u32 v7, s3, s4, v0
	v_add_co_u32 v9, s2, s2, v0
	s_wait_alu 0xf1ff
	v_add_co_ci_u32_e64 v8, null, s5, 0, s3
	v_add_co_ci_u32_e64 v10, null, 0, 0, s2
	s_add_nc_u64 s[2:3], s[6:7], s[16:17]
	s_mov_b64 s[18:19], 0
	s_wait_alu 0xfffe
	v_add_co_u32 v11, vcc_lo, s2, v11
	v_add_co_u32 v13, s2, v0, s16
	s_wait_alu 0xfffd
	v_add_co_ci_u32_e64 v12, null, s3, v12, vcc_lo
	s_wait_alu 0xf1ff
	v_add_co_ci_u32_e64 v14, null, 0, 0, s2
	s_lshl_b32 s16, s16, 2
	s_branch .LBB92_4
.LBB92_3:                               ;   in Loop: Header=BB92_4 Depth=1
	s_wait_alu 0xfffe
	s_or_b32 exec_lo, exec_lo, s2
	s_add_nc_u64 s[18:19], s[18:19], s[16:17]
	s_wait_alu 0xfffe
	v_cmp_lt_i64_e64 s2, s[18:19], s[12:13]
	s_and_b32 vcc_lo, exec_lo, s2
	s_wait_alu 0xfffe
	s_cbranch_vccz .LBB92_20
.LBB92_4:                               ; =>This Inner Loop Header: Depth=1
	v_add_co_u32 v15, s2, v0, s18
	s_wait_alu 0xf1ff
	v_add_co_ci_u32_e64 v16, null, 0, s19, s2
	s_mov_b32 s22, s21
	v_cmp_gt_u64_e32 vcc_lo, s[14:15], v[15:16]
	s_and_saveexec_b32 s3, vcc_lo
	s_cbranch_execz .LBB92_6
; %bb.5:                                ;   in Loop: Header=BB92_4 Depth=1
	v_add_co_u32 v15, s2, v1, s18
	s_wait_alu 0xf1ff
	v_add_co_ci_u32_e64 v16, null, s19, v2, s2
	s_and_not1_b32 s4, s21, exec_lo
	global_load_u8 v15, v[15:16], off
	s_wait_loadcnt 0x0
	v_cmp_ne_u16_e64 s2, s20, v15
	s_and_b32 s2, s2, exec_lo
	s_wait_alu 0xfffe
	s_or_b32 s22, s4, s2
.LBB92_6:                               ;   in Loop: Header=BB92_4 Depth=1
	s_wait_alu 0xfffe
	s_or_b32 exec_lo, exec_lo, s3
	v_add_co_u32 v15, s2, v13, s18
	s_wait_alu 0xf1ff
	v_add_co_ci_u32_e64 v16, null, s19, v14, s2
	s_mov_b32 s23, s21
	v_cmp_gt_u64_e64 s2, s[14:15], v[15:16]
	s_and_saveexec_b32 s4, s2
	s_cbranch_execz .LBB92_8
; %bb.7:                                ;   in Loop: Header=BB92_4 Depth=1
	v_add_co_u32 v15, s3, v11, s18
	s_wait_alu 0xf1ff
	v_add_co_ci_u32_e64 v16, null, s19, v12, s3
	s_and_not1_b32 s5, s21, exec_lo
	global_load_u8 v15, v[15:16], off
	s_wait_loadcnt 0x0
	v_cmp_ne_u16_e64 s3, s20, v15
	s_and_b32 s3, s3, exec_lo
	s_wait_alu 0xfffe
	s_or_b32 s23, s5, s3
.LBB92_8:                               ;   in Loop: Header=BB92_4 Depth=1
	s_wait_alu 0xfffe
	s_or_b32 exec_lo, exec_lo, s4
	v_add_co_u32 v15, s3, v9, s18
	s_wait_alu 0xf1ff
	v_add_co_ci_u32_e64 v16, null, s19, v10, s3
	s_mov_b32 s24, s21
	v_cmp_gt_u64_e64 s3, s[14:15], v[15:16]
	s_and_saveexec_b32 s5, s3
	s_cbranch_execz .LBB92_10
; %bb.9:                                ;   in Loop: Header=BB92_4 Depth=1
	v_add_co_u32 v15, s4, v7, s18
	s_wait_alu 0xf1ff
	v_add_co_ci_u32_e64 v16, null, s19, v8, s4
	s_and_not1_b32 s24, s21, exec_lo
	global_load_u8 v15, v[15:16], off
	s_wait_loadcnt 0x0
	v_cmp_ne_u16_e64 s4, s20, v15
	s_and_b32 s4, s4, exec_lo
	s_wait_alu 0xfffe
	s_or_b32 s24, s24, s4
.LBB92_10:                              ;   in Loop: Header=BB92_4 Depth=1
	s_wait_alu 0xfffe
	s_or_b32 exec_lo, exec_lo, s5
	v_add_co_u32 v15, s4, v5, s18
	s_wait_alu 0xf1ff
	v_add_co_ci_u32_e64 v16, null, s19, v6, s4
	s_delay_alu instid0(VALU_DEP_1)
	v_cmp_gt_u64_e64 s4, s[14:15], v[15:16]
	v_mov_b32_e32 v15, s20
	s_and_saveexec_b32 s25, s4
	s_cbranch_execnz .LBB92_15
; %bb.11:                               ;   in Loop: Header=BB92_4 Depth=1
	s_wait_alu 0xfffe
	s_or_b32 exec_lo, exec_lo, s25
	s_and_saveexec_b32 s5, vcc_lo
	s_cbranch_execnz .LBB92_16
.LBB92_12:                              ;   in Loop: Header=BB92_4 Depth=1
	s_wait_alu 0xfffe
	s_or_b32 exec_lo, exec_lo, s5
	s_and_saveexec_b32 s5, s2
	s_cbranch_execnz .LBB92_17
.LBB92_13:                              ;   in Loop: Header=BB92_4 Depth=1
	s_wait_alu 0xfffe
	s_or_b32 exec_lo, exec_lo, s5
	s_and_saveexec_b32 s2, s3
	s_cbranch_execnz .LBB92_18
.LBB92_14:                              ;   in Loop: Header=BB92_4 Depth=1
	s_wait_alu 0xfffe
	s_or_b32 exec_lo, exec_lo, s2
	s_and_saveexec_b32 s2, s4
	s_cbranch_execz .LBB92_3
	s_branch .LBB92_19
.LBB92_15:                              ;   in Loop: Header=BB92_4 Depth=1
	v_add_co_u32 v15, s5, v3, s18
	s_wait_alu 0xf1ff
	v_add_co_ci_u32_e64 v16, null, s19, v4, s5
	global_load_u8 v15, v[15:16], off
	s_wait_loadcnt 0x0
	v_cmp_ne_u16_e64 s5, s20, v15
	s_wait_alu 0xf1ff
	s_delay_alu instid0(VALU_DEP_1)
	v_cndmask_b32_e64 v15, 0, 1, s5
	s_wait_alu 0xfffe
	s_or_b32 exec_lo, exec_lo, s25
	s_and_saveexec_b32 s5, vcc_lo
	s_cbranch_execz .LBB92_12
.LBB92_16:                              ;   in Loop: Header=BB92_4 Depth=1
	v_add_co_u32 v16, vcc_lo, v1, s18
	v_cndmask_b32_e64 v18, 0, 1, s22
	s_wait_alu 0xfffd
	v_add_co_ci_u32_e64 v17, null, s19, v2, vcc_lo
	global_store_b8 v[16:17], v18, off
	s_wait_alu 0xfffe
	s_or_b32 exec_lo, exec_lo, s5
	s_and_saveexec_b32 s5, s2
	s_cbranch_execz .LBB92_13
.LBB92_17:                              ;   in Loop: Header=BB92_4 Depth=1
	v_add_co_u32 v16, vcc_lo, v11, s18
	v_cndmask_b32_e64 v18, 0, 1, s23
	s_wait_alu 0xfffd
	v_add_co_ci_u32_e64 v17, null, s19, v12, vcc_lo
	global_store_b8 v[16:17], v18, off
	s_wait_alu 0xfffe
	s_or_b32 exec_lo, exec_lo, s5
	s_and_saveexec_b32 s2, s3
	s_cbranch_execz .LBB92_14
.LBB92_18:                              ;   in Loop: Header=BB92_4 Depth=1
	v_add_co_u32 v16, vcc_lo, v7, s18
	v_cndmask_b32_e64 v18, 0, 1, s24
	s_wait_alu 0xfffd
	v_add_co_ci_u32_e64 v17, null, s19, v8, vcc_lo
	global_store_b8 v[16:17], v18, off
	s_wait_alu 0xfffe
	s_or_b32 exec_lo, exec_lo, s2
	s_and_saveexec_b32 s2, s4
	s_cbranch_execz .LBB92_3
.LBB92_19:                              ;   in Loop: Header=BB92_4 Depth=1
	v_add_co_u32 v16, vcc_lo, v3, s18
	s_wait_alu 0xfffd
	v_add_co_ci_u32_e64 v17, null, s19, v4, vcc_lo
	global_store_b8 v[16:17], v15, off
	s_branch .LBB92_3
.LBB92_20:
	s_cbranch_execz .LBB92_22
	s_branch .LBB92_25
.LBB92_21:
.LBB92_22:
	v_cmp_gt_i64_e64 s2, 0x10000, s[10:11]
	v_dual_mov_b32 v3, 0 :: v_dual_lshlrev_b32 v2, 2, v0
	s_mov_b32 s4, 0
	s_mov_b32 s5, exec_lo
	s_and_b32 s2, s2, exec_lo
	s_cselect_b32 s3, s11, 0
	s_cselect_b32 s2, s10, 0x10000
	s_wait_alu 0xfffe
	v_cmpx_gt_i64_e64 s[2:3], v[2:3]
	s_cbranch_execz .LBB92_25
; %bb.23:
	s_load_b32 s5, s[0:1], 0xd3c
	s_add_nc_u64 s[0:1], s[6:7], s[8:9]
	v_mov_b32_e32 v1, v3
	v_add_co_u32 v2, s0, s0, v2
	s_wait_alu 0xf1ff
	v_add_co_ci_u32_e64 v3, null, s1, 0, s0
	s_wait_kmcnt 0x0
	s_and_b32 s1, s5, 0xffff
	s_wait_alu 0xfffe
	s_lshl_b32 s5, s1, 2
.LBB92_24:                              ; =>This Inner Loop Header: Depth=1
	global_load_b32 v4, v[2:3], off
	s_wait_loadcnt 0x0
	v_lshrrev_b32_e32 v5, 8, v4
	v_lshrrev_b32_e32 v7, 24, v4
	;; [unrolled: 1-line block ×3, first 2 shown]
	v_and_b32_e32 v4, 0xff, v4
	s_delay_alu instid0(VALU_DEP_4) | instskip(NEXT) | instid1(VALU_DEP_4)
	v_and_b32_e32 v5, 0xff, v5
	v_cmp_ne_u16_e32 vcc_lo, s20, v7
	s_delay_alu instid0(VALU_DEP_4) | instskip(SKIP_3) | instid1(VALU_DEP_2)
	v_and_b32_e32 v6, 0xff, v6
	s_wait_alu 0xfffd
	v_cndmask_b32_e64 v7, 0, 1, vcc_lo
	v_cmp_ne_u16_e32 vcc_lo, s20, v5
	v_lshlrev_b16 v7, 8, v7
	s_wait_alu 0xfffd
	v_cndmask_b32_e64 v5, 0, 1, vcc_lo
	v_cmp_ne_u16_e32 vcc_lo, s20, v4
	s_delay_alu instid0(VALU_DEP_2) | instskip(SKIP_3) | instid1(VALU_DEP_2)
	v_lshlrev_b16 v5, 8, v5
	s_wait_alu 0xfffd
	v_cndmask_b32_e64 v4, 0, 1, vcc_lo
	v_cmp_ne_u16_e32 vcc_lo, s20, v6
	v_or_b32_e32 v4, v4, v5
	s_wait_alu 0xfffd
	v_cndmask_b32_e64 v6, 0, 1, vcc_lo
	v_add_co_u32 v0, vcc_lo, v0, s1
	s_wait_alu 0xfffd
	v_add_co_ci_u32_e64 v1, null, 0, v1, vcc_lo
	s_delay_alu instid0(VALU_DEP_3) | instskip(SKIP_1) | instid1(VALU_DEP_3)
	v_or_b32_e32 v6, v6, v7
	v_and_b32_e32 v7, 0xffff, v4
	v_lshlrev_b64_e32 v[4:5], 2, v[0:1]
	s_delay_alu instid0(VALU_DEP_3) | instskip(NEXT) | instid1(VALU_DEP_2)
	v_lshlrev_b32_e32 v6, 16, v6
	v_cmp_le_i64_e32 vcc_lo, s[2:3], v[4:5]
	s_delay_alu instid0(VALU_DEP_2)
	v_or_b32_e32 v6, v7, v6
	global_store_b32 v[2:3], v6, off
	s_wait_alu 0xfffe
	v_add_co_u32 v2, s0, v2, s5
	s_wait_alu 0xf1ff
	v_add_co_ci_u32_e64 v3, null, 0, v3, s0
	s_or_b32 s4, vcc_lo, s4
	s_wait_alu 0xfffe
	s_and_not1_b32 exec_lo, exec_lo, s4
	s_cbranch_execnz .LBB92_24
.LBB92_25:
	s_endpgm
	.section	.rodata,"a",@progbits
	.p2align	6, 0x0
	.amdhsa_kernel _ZN2at6native12_GLOBAL__N_125multi_tensor_apply_kernelINS1_18TensorListMetadataILi1EEENS1_21BinaryOpScalarFunctorIbLi1ELi1ELi0EEEJSt5minusIbEbEEEvT_T0_DpT1_
		.amdhsa_group_segment_fixed_size 0
		.amdhsa_private_segment_fixed_size 0
		.amdhsa_kernarg_size 3632
		.amdhsa_user_sgpr_count 2
		.amdhsa_user_sgpr_dispatch_ptr 0
		.amdhsa_user_sgpr_queue_ptr 0
		.amdhsa_user_sgpr_kernarg_segment_ptr 1
		.amdhsa_user_sgpr_dispatch_id 0
		.amdhsa_user_sgpr_private_segment_size 0
		.amdhsa_wavefront_size32 1
		.amdhsa_uses_dynamic_stack 0
		.amdhsa_enable_private_segment 0
		.amdhsa_system_sgpr_workgroup_id_x 1
		.amdhsa_system_sgpr_workgroup_id_y 0
		.amdhsa_system_sgpr_workgroup_id_z 0
		.amdhsa_system_sgpr_workgroup_info 0
		.amdhsa_system_vgpr_workitem_id 0
		.amdhsa_next_free_vgpr 19
		.amdhsa_next_free_sgpr 26
		.amdhsa_reserve_vcc 1
		.amdhsa_float_round_mode_32 0
		.amdhsa_float_round_mode_16_64 0
		.amdhsa_float_denorm_mode_32 3
		.amdhsa_float_denorm_mode_16_64 3
		.amdhsa_fp16_overflow 0
		.amdhsa_workgroup_processor_mode 1
		.amdhsa_memory_ordered 1
		.amdhsa_forward_progress 1
		.amdhsa_inst_pref_size 13
		.amdhsa_round_robin_scheduling 0
		.amdhsa_exception_fp_ieee_invalid_op 0
		.amdhsa_exception_fp_denorm_src 0
		.amdhsa_exception_fp_ieee_div_zero 0
		.amdhsa_exception_fp_ieee_overflow 0
		.amdhsa_exception_fp_ieee_underflow 0
		.amdhsa_exception_fp_ieee_inexact 0
		.amdhsa_exception_int_div_zero 0
	.end_amdhsa_kernel
	.section	.text._ZN2at6native12_GLOBAL__N_125multi_tensor_apply_kernelINS1_18TensorListMetadataILi1EEENS1_21BinaryOpScalarFunctorIbLi1ELi1ELi0EEEJSt5minusIbEbEEEvT_T0_DpT1_,"axG",@progbits,_ZN2at6native12_GLOBAL__N_125multi_tensor_apply_kernelINS1_18TensorListMetadataILi1EEENS1_21BinaryOpScalarFunctorIbLi1ELi1ELi0EEEJSt5minusIbEbEEEvT_T0_DpT1_,comdat
.Lfunc_end92:
	.size	_ZN2at6native12_GLOBAL__N_125multi_tensor_apply_kernelINS1_18TensorListMetadataILi1EEENS1_21BinaryOpScalarFunctorIbLi1ELi1ELi0EEEJSt5minusIbEbEEEvT_T0_DpT1_, .Lfunc_end92-_ZN2at6native12_GLOBAL__N_125multi_tensor_apply_kernelINS1_18TensorListMetadataILi1EEENS1_21BinaryOpScalarFunctorIbLi1ELi1ELi0EEEJSt5minusIbEbEEEvT_T0_DpT1_
                                        ; -- End function
	.set _ZN2at6native12_GLOBAL__N_125multi_tensor_apply_kernelINS1_18TensorListMetadataILi1EEENS1_21BinaryOpScalarFunctorIbLi1ELi1ELi0EEEJSt5minusIbEbEEEvT_T0_DpT1_.num_vgpr, 19
	.set _ZN2at6native12_GLOBAL__N_125multi_tensor_apply_kernelINS1_18TensorListMetadataILi1EEENS1_21BinaryOpScalarFunctorIbLi1ELi1ELi0EEEJSt5minusIbEbEEEvT_T0_DpT1_.num_agpr, 0
	.set _ZN2at6native12_GLOBAL__N_125multi_tensor_apply_kernelINS1_18TensorListMetadataILi1EEENS1_21BinaryOpScalarFunctorIbLi1ELi1ELi0EEEJSt5minusIbEbEEEvT_T0_DpT1_.numbered_sgpr, 26
	.set _ZN2at6native12_GLOBAL__N_125multi_tensor_apply_kernelINS1_18TensorListMetadataILi1EEENS1_21BinaryOpScalarFunctorIbLi1ELi1ELi0EEEJSt5minusIbEbEEEvT_T0_DpT1_.num_named_barrier, 0
	.set _ZN2at6native12_GLOBAL__N_125multi_tensor_apply_kernelINS1_18TensorListMetadataILi1EEENS1_21BinaryOpScalarFunctorIbLi1ELi1ELi0EEEJSt5minusIbEbEEEvT_T0_DpT1_.private_seg_size, 0
	.set _ZN2at6native12_GLOBAL__N_125multi_tensor_apply_kernelINS1_18TensorListMetadataILi1EEENS1_21BinaryOpScalarFunctorIbLi1ELi1ELi0EEEJSt5minusIbEbEEEvT_T0_DpT1_.uses_vcc, 1
	.set _ZN2at6native12_GLOBAL__N_125multi_tensor_apply_kernelINS1_18TensorListMetadataILi1EEENS1_21BinaryOpScalarFunctorIbLi1ELi1ELi0EEEJSt5minusIbEbEEEvT_T0_DpT1_.uses_flat_scratch, 0
	.set _ZN2at6native12_GLOBAL__N_125multi_tensor_apply_kernelINS1_18TensorListMetadataILi1EEENS1_21BinaryOpScalarFunctorIbLi1ELi1ELi0EEEJSt5minusIbEbEEEvT_T0_DpT1_.has_dyn_sized_stack, 0
	.set _ZN2at6native12_GLOBAL__N_125multi_tensor_apply_kernelINS1_18TensorListMetadataILi1EEENS1_21BinaryOpScalarFunctorIbLi1ELi1ELi0EEEJSt5minusIbEbEEEvT_T0_DpT1_.has_recursion, 0
	.set _ZN2at6native12_GLOBAL__N_125multi_tensor_apply_kernelINS1_18TensorListMetadataILi1EEENS1_21BinaryOpScalarFunctorIbLi1ELi1ELi0EEEJSt5minusIbEbEEEvT_T0_DpT1_.has_indirect_call, 0
	.section	.AMDGPU.csdata,"",@progbits
; Kernel info:
; codeLenInByte = 1572
; TotalNumSgprs: 28
; NumVgprs: 19
; ScratchSize: 0
; MemoryBound: 0
; FloatMode: 240
; IeeeMode: 1
; LDSByteSize: 0 bytes/workgroup (compile time only)
; SGPRBlocks: 0
; VGPRBlocks: 2
; NumSGPRsForWavesPerEU: 28
; NumVGPRsForWavesPerEU: 19
; Occupancy: 16
; WaveLimiterHint : 0
; COMPUTE_PGM_RSRC2:SCRATCH_EN: 0
; COMPUTE_PGM_RSRC2:USER_SGPR: 2
; COMPUTE_PGM_RSRC2:TRAP_HANDLER: 0
; COMPUTE_PGM_RSRC2:TGID_X_EN: 1
; COMPUTE_PGM_RSRC2:TGID_Y_EN: 0
; COMPUTE_PGM_RSRC2:TGID_Z_EN: 0
; COMPUTE_PGM_RSRC2:TIDIG_COMP_CNT: 0
	.section	.text._ZN2at6native12_GLOBAL__N_125multi_tensor_apply_kernelINS1_18TensorListMetadataILi1EEENS1_21BinaryOpScalarFunctorIN3c104HalfELi1ELi1ELi0EEEJSt5minusIfEfEEEvT_T0_DpT1_,"axG",@progbits,_ZN2at6native12_GLOBAL__N_125multi_tensor_apply_kernelINS1_18TensorListMetadataILi1EEENS1_21BinaryOpScalarFunctorIN3c104HalfELi1ELi1ELi0EEEJSt5minusIfEfEEEvT_T0_DpT1_,comdat
	.globl	_ZN2at6native12_GLOBAL__N_125multi_tensor_apply_kernelINS1_18TensorListMetadataILi1EEENS1_21BinaryOpScalarFunctorIN3c104HalfELi1ELi1ELi0EEEJSt5minusIfEfEEEvT_T0_DpT1_ ; -- Begin function _ZN2at6native12_GLOBAL__N_125multi_tensor_apply_kernelINS1_18TensorListMetadataILi1EEENS1_21BinaryOpScalarFunctorIN3c104HalfELi1ELi1ELi0EEEJSt5minusIfEfEEEvT_T0_DpT1_
	.p2align	8
	.type	_ZN2at6native12_GLOBAL__N_125multi_tensor_apply_kernelINS1_18TensorListMetadataILi1EEENS1_21BinaryOpScalarFunctorIN3c104HalfELi1ELi1ELi0EEEJSt5minusIfEfEEEvT_T0_DpT1_,@function
_ZN2at6native12_GLOBAL__N_125multi_tensor_apply_kernelINS1_18TensorListMetadataILi1EEENS1_21BinaryOpScalarFunctorIN3c104HalfELi1ELi1ELi0EEEJSt5minusIfEfEEEvT_T0_DpT1_: ; @_ZN2at6native12_GLOBAL__N_125multi_tensor_apply_kernelINS1_18TensorListMetadataILi1EEENS1_21BinaryOpScalarFunctorIN3c104HalfELi1ELi1ELi0EEEJSt5minusIfEfEEEvT_T0_DpT1_
; %bb.0:
	s_load_u8 s8, s[0:1], ttmp9 offset:0x6e0
	s_mov_b32 s2, ttmp9
	s_mov_b32 s3, 0
	s_delay_alu instid0(SALU_CYCLE_1)
	s_mul_u64 s[4:5], s[2:3], 3
	s_add_nc_u64 s[6:7], s[0:1], s[2:3]
	s_mov_b32 s13, s3
	s_add_nc_u64 s[4:5], s[6:7], s[4:5]
	s_load_b32 s4, s[4:5], 0x820
	s_wait_kmcnt 0x0
	s_lshl_b32 s2, s8, 3
	s_clause 0x2
	s_load_b64 s[6:7], s[0:1], s2 offset:0x0
	s_load_b64 s[10:11], s[0:1], s2 offset:0x370
	s_load_b32 s22, s[0:1], 0xd2c
	s_ashr_i32 s5, s4, 31
	s_delay_alu instid0(SALU_CYCLE_1)
	s_lshl_b64 s[8:9], s[4:5], 17
	s_lshl_b64 s[4:5], s[4:5], 16
	s_wait_kmcnt 0x0
	s_and_b32 s2, s6, 7
	s_and_b32 s12, s10, 3
	s_sub_nc_u64 s[10:11], s[10:11], s[4:5]
	s_or_b64 s[2:3], s[2:3], s[12:13]
	s_delay_alu instid0(SALU_CYCLE_1)
	s_cmp_eq_u64 s[2:3], 0
	s_cbranch_scc1 .LBB93_21
; %bb.1:
	v_cmp_lt_i64_e64 s2, s[10:11], 1
	s_and_b32 vcc_lo, exec_lo, s2
	s_cbranch_vccnz .LBB93_20
; %bb.2:
	s_load_b32 s2, s[0:1], 0xd3c
	v_cmp_gt_i64_e64 s12, 0x10000, s[10:11]
	v_lshlrev_b32_e32 v1, 1, v0
	s_add_nc_u64 s[4:5], s[6:7], s[8:9]
	v_cmp_gt_u64_e64 s14, 0x10000, s[10:11]
	s_mov_b32 s3, 0
	v_add_co_u32 v1, s13, s4, v1
	s_and_b32 s12, s12, exec_lo
	v_add_co_ci_u32_e64 v2, null, s5, 0, s13
	s_cselect_b32 s13, s11, 0
	s_cselect_b32 s12, s10, 0x10000
	s_wait_kmcnt 0x0
	s_and_b32 s2, s2, 0xffff
	s_and_b32 s14, s14, exec_lo
	v_add_co_u32 v5, s21, v0, s2
	s_cselect_b32 s15, s11, 0
	s_cselect_b32 s14, s10, 0x10000
	s_lshl_b32 s17, s2, 1
	v_lshlrev_b32_e32 v3, 1, v5
	s_mul_i32 s20, s2, 3
	v_add_co_u32 v9, s17, s17, v0
	v_add_co_u32 v6, s20, s20, v0
	s_delay_alu instid0(VALU_DEP_3)
	v_add_co_u32 v3, s4, s4, v3
	s_wait_alu 0xf1ff
	v_add_co_ci_u32_e64 v7, null, 0, 0, s20
	v_add_co_ci_u32_e64 v8, null, 0, 0, s21
	;; [unrolled: 1-line block ×4, first 2 shown]
	s_lshl_b32 s16, s2, 2
	s_mul_u64 s[18:19], s[2:3], 6
	s_mov_b32 s17, s3
	s_lshl_b32 s23, s2, 3
	s_mov_b64 s[20:21], 0
	s_branch .LBB93_4
.LBB93_3:                               ;   in Loop: Header=BB93_4 Depth=1
	s_wait_alu 0xfffe
	s_or_b32 exec_lo, exec_lo, s2
	s_add_nc_u64 s[20:21], s[20:21], s[16:17]
	v_add_co_u32 v1, vcc_lo, v1, s23
	s_wait_alu 0xfffe
	v_cmp_lt_i64_e64 s2, s[20:21], s[12:13]
	s_wait_alu 0xfffd
	v_add_co_ci_u32_e64 v2, null, 0, v2, vcc_lo
	v_add_co_u32 v3, vcc_lo, v3, s23
	s_wait_alu 0xfffd
	v_add_co_ci_u32_e64 v4, null, 0, v4, vcc_lo
	s_and_b32 vcc_lo, exec_lo, s2
	s_wait_alu 0xfffe
	s_cbranch_vccz .LBB93_20
.LBB93_4:                               ; =>This Inner Loop Header: Depth=1
	s_wait_alu 0xfffe
	v_add_co_u32 v11, s2, v0, s20
	s_wait_alu 0xf1ff
	v_add_co_ci_u32_e64 v12, null, 0, s21, s2
	s_delay_alu instid0(VALU_DEP_1)
	v_cmp_gt_u64_e32 vcc_lo, s[14:15], v[11:12]
	v_mov_b32_e32 v11, 0
	s_and_saveexec_b32 s2, vcc_lo
	s_cbranch_execz .LBB93_6
; %bb.5:                                ;   in Loop: Header=BB93_4 Depth=1
	global_load_u16 v11, v[1:2], off
	s_wait_loadcnt 0x0
	v_cvt_f32_f16_e32 v11, v11
.LBB93_6:                               ;   in Loop: Header=BB93_4 Depth=1
	s_wait_alu 0xfffe
	s_or_b32 exec_lo, exec_lo, s2
	v_add_co_u32 v12, s2, v5, s20
	s_wait_alu 0xf1ff
	v_add_co_ci_u32_e64 v13, null, s21, v8, s2
	s_delay_alu instid0(VALU_DEP_1)
	v_cmp_gt_u64_e64 s2, s[14:15], v[12:13]
	v_dual_mov_b32 v12, 0 :: v_dual_mov_b32 v13, 0
	s_and_saveexec_b32 s3, s2
	s_cbranch_execz .LBB93_8
; %bb.7:                                ;   in Loop: Header=BB93_4 Depth=1
	global_load_u16 v13, v[3:4], off
	s_wait_loadcnt 0x0
	v_cvt_f32_f16_e32 v13, v13
.LBB93_8:                               ;   in Loop: Header=BB93_4 Depth=1
	s_wait_alu 0xfffe
	s_or_b32 exec_lo, exec_lo, s3
	v_add_co_u32 v14, s3, v9, s20
	s_wait_alu 0xf1ff
	v_add_co_ci_u32_e64 v15, null, s21, v10, s3
	s_delay_alu instid0(VALU_DEP_1)
	v_cmp_gt_u64_e64 s3, s[14:15], v[14:15]
	s_and_saveexec_b32 s5, s3
	s_cbranch_execz .LBB93_10
; %bb.9:                                ;   in Loop: Header=BB93_4 Depth=1
	v_add_co_u32 v14, s4, v1, s16
	s_wait_alu 0xf1ff
	v_add_co_ci_u32_e64 v15, null, 0, v2, s4
	global_load_u16 v12, v[14:15], off
	s_wait_loadcnt 0x0
	v_cvt_f32_f16_e32 v12, v12
.LBB93_10:                              ;   in Loop: Header=BB93_4 Depth=1
	s_wait_alu 0xfffe
	s_or_b32 exec_lo, exec_lo, s5
	v_add_co_u32 v14, s4, v6, s20
	s_wait_alu 0xf1ff
	v_add_co_ci_u32_e64 v15, null, s21, v7, s4
	s_delay_alu instid0(VALU_DEP_1)
	v_cmp_gt_u64_e64 s4, s[14:15], v[14:15]
	v_mov_b32_e32 v14, 0
	s_and_saveexec_b32 s24, s4
	s_cbranch_execnz .LBB93_15
; %bb.11:                               ;   in Loop: Header=BB93_4 Depth=1
	s_or_b32 exec_lo, exec_lo, s24
	s_and_saveexec_b32 s5, vcc_lo
	s_cbranch_execnz .LBB93_16
.LBB93_12:                              ;   in Loop: Header=BB93_4 Depth=1
	s_wait_alu 0xfffe
	s_or_b32 exec_lo, exec_lo, s5
	s_and_saveexec_b32 s5, s2
	s_cbranch_execnz .LBB93_17
.LBB93_13:                              ;   in Loop: Header=BB93_4 Depth=1
	s_wait_alu 0xfffe
	s_or_b32 exec_lo, exec_lo, s5
	s_and_saveexec_b32 s2, s3
	s_cbranch_execnz .LBB93_18
.LBB93_14:                              ;   in Loop: Header=BB93_4 Depth=1
	s_wait_alu 0xfffe
	s_or_b32 exec_lo, exec_lo, s2
	s_and_saveexec_b32 s2, s4
	s_cbranch_execz .LBB93_3
	s_branch .LBB93_19
.LBB93_15:                              ;   in Loop: Header=BB93_4 Depth=1
	v_add_co_u32 v14, s5, v1, s18
	s_wait_alu 0xf1ff
	v_add_co_ci_u32_e64 v15, null, s19, v2, s5
	global_load_u16 v14, v[14:15], off
	s_wait_loadcnt 0x0
	v_cvt_f32_f16_e32 v14, v14
	s_or_b32 exec_lo, exec_lo, s24
	s_and_saveexec_b32 s5, vcc_lo
	s_cbranch_execz .LBB93_12
.LBB93_16:                              ;   in Loop: Header=BB93_4 Depth=1
	v_subrev_f32_e32 v11, s22, v11
	s_delay_alu instid0(VALU_DEP_1)
	v_cvt_f16_f32_e32 v11, v11
	global_store_b16 v[1:2], v11, off
	s_wait_alu 0xfffe
	s_or_b32 exec_lo, exec_lo, s5
	s_and_saveexec_b32 s5, s2
	s_cbranch_execz .LBB93_13
.LBB93_17:                              ;   in Loop: Header=BB93_4 Depth=1
	v_subrev_f32_e32 v11, s22, v13
	s_delay_alu instid0(VALU_DEP_1)
	v_cvt_f16_f32_e32 v11, v11
	global_store_b16 v[3:4], v11, off
	s_wait_alu 0xfffe
	s_or_b32 exec_lo, exec_lo, s5
	s_and_saveexec_b32 s2, s3
	s_cbranch_execz .LBB93_14
.LBB93_18:                              ;   in Loop: Header=BB93_4 Depth=1
	v_subrev_f32_e32 v11, s22, v12
	s_delay_alu instid0(VALU_DEP_1)
	v_cvt_f16_f32_e32 v13, v11
	v_add_co_u32 v11, vcc_lo, v1, s16
	s_wait_alu 0xfffd
	v_add_co_ci_u32_e64 v12, null, 0, v2, vcc_lo
	global_store_b16 v[11:12], v13, off
	s_wait_alu 0xfffe
	s_or_b32 exec_lo, exec_lo, s2
	s_and_saveexec_b32 s2, s4
	s_cbranch_execz .LBB93_3
.LBB93_19:                              ;   in Loop: Header=BB93_4 Depth=1
	v_subrev_f32_e32 v11, s22, v14
	s_delay_alu instid0(VALU_DEP_1)
	v_cvt_f16_f32_e32 v13, v11
	v_add_co_u32 v11, vcc_lo, v1, s18
	s_wait_alu 0xfffd
	v_add_co_ci_u32_e64 v12, null, s19, v2, vcc_lo
	global_store_b16 v[11:12], v13, off
	s_branch .LBB93_3
.LBB93_20:
	s_cbranch_execz .LBB93_22
	s_branch .LBB93_25
.LBB93_21:
.LBB93_22:
	v_cmp_gt_i64_e64 s2, 0x10000, s[10:11]
	v_dual_mov_b32 v2, 0 :: v_dual_lshlrev_b32 v1, 2, v0
	s_mov_b32 s4, 0
	s_mov_b32 s5, exec_lo
	s_and_b32 s2, s2, exec_lo
	s_cselect_b32 s3, s11, 0
	s_cselect_b32 s2, s10, 0x10000
	s_wait_alu 0xfffe
	v_cmpx_gt_i64_e64 s[2:3], v[1:2]
	s_cbranch_execz .LBB93_25
; %bb.23:
	s_load_b32 s5, s[0:1], 0xd3c
	v_lshlrev_b32_e32 v1, 3, v0
	s_add_nc_u64 s[0:1], s[6:7], s[8:9]
	s_delay_alu instid0(VALU_DEP_1) | instid1(SALU_CYCLE_1)
	v_add_co_u32 v3, s0, s0, v1
	s_wait_alu 0xf1ff
	v_add_co_ci_u32_e64 v4, null, s1, 0, s0
	v_mov_b32_e32 v1, v2
	s_delay_alu instid0(VALU_DEP_3) | instskip(SKIP_1) | instid1(VALU_DEP_3)
	v_add_co_u32 v2, vcc_lo, v3, 6
	s_wait_alu 0xfffd
	v_add_co_ci_u32_e64 v3, null, 0, v4, vcc_lo
	s_wait_kmcnt 0x0
	s_and_b32 s1, s5, 0xffff
	s_mov_b32 s5, s22
	s_wait_alu 0xfffe
	s_lshl_b32 s6, s1, 3
.LBB93_24:                              ; =>This Inner Loop Header: Depth=1
	global_load_b64 v[4:5], v[2:3], off offset:-6
	v_add_co_u32 v0, vcc_lo, v0, s1
	s_wait_alu 0xfffd
	v_add_co_ci_u32_e64 v1, null, 0, v1, vcc_lo
	s_wait_loadcnt 0x0
	v_lshrrev_b32_e32 v6, 16, v5
	v_lshrrev_b32_e32 v7, 16, v4
	v_cvt_f32_f16_e32 v4, v4
	v_cvt_f32_f16_e32 v5, v5
	s_delay_alu instid0(VALU_DEP_4) | instskip(NEXT) | instid1(VALU_DEP_4)
	v_cvt_f32_f16_e32 v6, v6
	v_cvt_f32_f16_e32 v7, v7
	s_delay_alu instid0(VALU_DEP_3) | instskip(NEXT) | instid1(VALU_DEP_2)
	v_dual_subrev_f32 v4, s22, v4 :: v_dual_subrev_f32 v5, s5, v5
	v_dual_subrev_f32 v6, s22, v6 :: v_dual_subrev_f32 v7, s22, v7
	s_delay_alu instid0(VALU_DEP_2) | instskip(NEXT) | instid1(VALU_DEP_3)
	v_cvt_f16_f32_e32 v8, v4
	v_cvt_f16_f32_e32 v9, v5
	v_lshlrev_b64_e32 v[4:5], 2, v[0:1]
	s_delay_alu instid0(VALU_DEP_4) | instskip(SKIP_1) | instid1(VALU_DEP_3)
	v_cvt_f16_f32_e32 v6, v6
	v_cvt_f16_f32_e32 v10, v7
	v_cmp_le_i64_e32 vcc_lo, s[2:3], v[4:5]
	s_delay_alu instid0(VALU_DEP_3) | instskip(NEXT) | instid1(VALU_DEP_3)
	v_pack_b32_f16 v7, v9, v6
	v_pack_b32_f16 v6, v8, v10
	s_or_b32 s4, vcc_lo, s4
	global_store_b64 v[2:3], v[6:7], off offset:-6
	v_add_co_u32 v2, s0, v2, s6
	s_wait_alu 0xf1ff
	v_add_co_ci_u32_e64 v3, null, 0, v3, s0
	s_wait_alu 0xfffe
	s_and_not1_b32 exec_lo, exec_lo, s4
	s_cbranch_execnz .LBB93_24
.LBB93_25:
	s_endpgm
	.section	.rodata,"a",@progbits
	.p2align	6, 0x0
	.amdhsa_kernel _ZN2at6native12_GLOBAL__N_125multi_tensor_apply_kernelINS1_18TensorListMetadataILi1EEENS1_21BinaryOpScalarFunctorIN3c104HalfELi1ELi1ELi0EEEJSt5minusIfEfEEEvT_T0_DpT1_
		.amdhsa_group_segment_fixed_size 0
		.amdhsa_private_segment_fixed_size 0
		.amdhsa_kernarg_size 3632
		.amdhsa_user_sgpr_count 2
		.amdhsa_user_sgpr_dispatch_ptr 0
		.amdhsa_user_sgpr_queue_ptr 0
		.amdhsa_user_sgpr_kernarg_segment_ptr 1
		.amdhsa_user_sgpr_dispatch_id 0
		.amdhsa_user_sgpr_private_segment_size 0
		.amdhsa_wavefront_size32 1
		.amdhsa_uses_dynamic_stack 0
		.amdhsa_enable_private_segment 0
		.amdhsa_system_sgpr_workgroup_id_x 1
		.amdhsa_system_sgpr_workgroup_id_y 0
		.amdhsa_system_sgpr_workgroup_id_z 0
		.amdhsa_system_sgpr_workgroup_info 0
		.amdhsa_system_vgpr_workitem_id 0
		.amdhsa_next_free_vgpr 16
		.amdhsa_next_free_sgpr 25
		.amdhsa_reserve_vcc 1
		.amdhsa_float_round_mode_32 0
		.amdhsa_float_round_mode_16_64 0
		.amdhsa_float_denorm_mode_32 3
		.amdhsa_float_denorm_mode_16_64 3
		.amdhsa_fp16_overflow 0
		.amdhsa_workgroup_processor_mode 1
		.amdhsa_memory_ordered 1
		.amdhsa_forward_progress 1
		.amdhsa_inst_pref_size 11
		.amdhsa_round_robin_scheduling 0
		.amdhsa_exception_fp_ieee_invalid_op 0
		.amdhsa_exception_fp_denorm_src 0
		.amdhsa_exception_fp_ieee_div_zero 0
		.amdhsa_exception_fp_ieee_overflow 0
		.amdhsa_exception_fp_ieee_underflow 0
		.amdhsa_exception_fp_ieee_inexact 0
		.amdhsa_exception_int_div_zero 0
	.end_amdhsa_kernel
	.section	.text._ZN2at6native12_GLOBAL__N_125multi_tensor_apply_kernelINS1_18TensorListMetadataILi1EEENS1_21BinaryOpScalarFunctorIN3c104HalfELi1ELi1ELi0EEEJSt5minusIfEfEEEvT_T0_DpT1_,"axG",@progbits,_ZN2at6native12_GLOBAL__N_125multi_tensor_apply_kernelINS1_18TensorListMetadataILi1EEENS1_21BinaryOpScalarFunctorIN3c104HalfELi1ELi1ELi0EEEJSt5minusIfEfEEEvT_T0_DpT1_,comdat
.Lfunc_end93:
	.size	_ZN2at6native12_GLOBAL__N_125multi_tensor_apply_kernelINS1_18TensorListMetadataILi1EEENS1_21BinaryOpScalarFunctorIN3c104HalfELi1ELi1ELi0EEEJSt5minusIfEfEEEvT_T0_DpT1_, .Lfunc_end93-_ZN2at6native12_GLOBAL__N_125multi_tensor_apply_kernelINS1_18TensorListMetadataILi1EEENS1_21BinaryOpScalarFunctorIN3c104HalfELi1ELi1ELi0EEEJSt5minusIfEfEEEvT_T0_DpT1_
                                        ; -- End function
	.set _ZN2at6native12_GLOBAL__N_125multi_tensor_apply_kernelINS1_18TensorListMetadataILi1EEENS1_21BinaryOpScalarFunctorIN3c104HalfELi1ELi1ELi0EEEJSt5minusIfEfEEEvT_T0_DpT1_.num_vgpr, 16
	.set _ZN2at6native12_GLOBAL__N_125multi_tensor_apply_kernelINS1_18TensorListMetadataILi1EEENS1_21BinaryOpScalarFunctorIN3c104HalfELi1ELi1ELi0EEEJSt5minusIfEfEEEvT_T0_DpT1_.num_agpr, 0
	.set _ZN2at6native12_GLOBAL__N_125multi_tensor_apply_kernelINS1_18TensorListMetadataILi1EEENS1_21BinaryOpScalarFunctorIN3c104HalfELi1ELi1ELi0EEEJSt5minusIfEfEEEvT_T0_DpT1_.numbered_sgpr, 25
	.set _ZN2at6native12_GLOBAL__N_125multi_tensor_apply_kernelINS1_18TensorListMetadataILi1EEENS1_21BinaryOpScalarFunctorIN3c104HalfELi1ELi1ELi0EEEJSt5minusIfEfEEEvT_T0_DpT1_.num_named_barrier, 0
	.set _ZN2at6native12_GLOBAL__N_125multi_tensor_apply_kernelINS1_18TensorListMetadataILi1EEENS1_21BinaryOpScalarFunctorIN3c104HalfELi1ELi1ELi0EEEJSt5minusIfEfEEEvT_T0_DpT1_.private_seg_size, 0
	.set _ZN2at6native12_GLOBAL__N_125multi_tensor_apply_kernelINS1_18TensorListMetadataILi1EEENS1_21BinaryOpScalarFunctorIN3c104HalfELi1ELi1ELi0EEEJSt5minusIfEfEEEvT_T0_DpT1_.uses_vcc, 1
	.set _ZN2at6native12_GLOBAL__N_125multi_tensor_apply_kernelINS1_18TensorListMetadataILi1EEENS1_21BinaryOpScalarFunctorIN3c104HalfELi1ELi1ELi0EEEJSt5minusIfEfEEEvT_T0_DpT1_.uses_flat_scratch, 0
	.set _ZN2at6native12_GLOBAL__N_125multi_tensor_apply_kernelINS1_18TensorListMetadataILi1EEENS1_21BinaryOpScalarFunctorIN3c104HalfELi1ELi1ELi0EEEJSt5minusIfEfEEEvT_T0_DpT1_.has_dyn_sized_stack, 0
	.set _ZN2at6native12_GLOBAL__N_125multi_tensor_apply_kernelINS1_18TensorListMetadataILi1EEENS1_21BinaryOpScalarFunctorIN3c104HalfELi1ELi1ELi0EEEJSt5minusIfEfEEEvT_T0_DpT1_.has_recursion, 0
	.set _ZN2at6native12_GLOBAL__N_125multi_tensor_apply_kernelINS1_18TensorListMetadataILi1EEENS1_21BinaryOpScalarFunctorIN3c104HalfELi1ELi1ELi0EEEJSt5minusIfEfEEEvT_T0_DpT1_.has_indirect_call, 0
	.section	.AMDGPU.csdata,"",@progbits
; Kernel info:
; codeLenInByte = 1364
; TotalNumSgprs: 27
; NumVgprs: 16
; ScratchSize: 0
; MemoryBound: 0
; FloatMode: 240
; IeeeMode: 1
; LDSByteSize: 0 bytes/workgroup (compile time only)
; SGPRBlocks: 0
; VGPRBlocks: 1
; NumSGPRsForWavesPerEU: 27
; NumVGPRsForWavesPerEU: 16
; Occupancy: 16
; WaveLimiterHint : 0
; COMPUTE_PGM_RSRC2:SCRATCH_EN: 0
; COMPUTE_PGM_RSRC2:USER_SGPR: 2
; COMPUTE_PGM_RSRC2:TRAP_HANDLER: 0
; COMPUTE_PGM_RSRC2:TGID_X_EN: 1
; COMPUTE_PGM_RSRC2:TGID_Y_EN: 0
; COMPUTE_PGM_RSRC2:TGID_Z_EN: 0
; COMPUTE_PGM_RSRC2:TIDIG_COMP_CNT: 0
	.section	.text._ZN2at6native12_GLOBAL__N_125multi_tensor_apply_kernelINS1_18TensorListMetadataILi1EEENS1_21BinaryOpScalarFunctorIN3c108BFloat16ELi1ELi1ELi0EEEJSt5minusIfEfEEEvT_T0_DpT1_,"axG",@progbits,_ZN2at6native12_GLOBAL__N_125multi_tensor_apply_kernelINS1_18TensorListMetadataILi1EEENS1_21BinaryOpScalarFunctorIN3c108BFloat16ELi1ELi1ELi0EEEJSt5minusIfEfEEEvT_T0_DpT1_,comdat
	.globl	_ZN2at6native12_GLOBAL__N_125multi_tensor_apply_kernelINS1_18TensorListMetadataILi1EEENS1_21BinaryOpScalarFunctorIN3c108BFloat16ELi1ELi1ELi0EEEJSt5minusIfEfEEEvT_T0_DpT1_ ; -- Begin function _ZN2at6native12_GLOBAL__N_125multi_tensor_apply_kernelINS1_18TensorListMetadataILi1EEENS1_21BinaryOpScalarFunctorIN3c108BFloat16ELi1ELi1ELi0EEEJSt5minusIfEfEEEvT_T0_DpT1_
	.p2align	8
	.type	_ZN2at6native12_GLOBAL__N_125multi_tensor_apply_kernelINS1_18TensorListMetadataILi1EEENS1_21BinaryOpScalarFunctorIN3c108BFloat16ELi1ELi1ELi0EEEJSt5minusIfEfEEEvT_T0_DpT1_,@function
_ZN2at6native12_GLOBAL__N_125multi_tensor_apply_kernelINS1_18TensorListMetadataILi1EEENS1_21BinaryOpScalarFunctorIN3c108BFloat16ELi1ELi1ELi0EEEJSt5minusIfEfEEEvT_T0_DpT1_: ; @_ZN2at6native12_GLOBAL__N_125multi_tensor_apply_kernelINS1_18TensorListMetadataILi1EEENS1_21BinaryOpScalarFunctorIN3c108BFloat16ELi1ELi1ELi0EEEJSt5minusIfEfEEEvT_T0_DpT1_
; %bb.0:
	s_load_u8 s8, s[0:1], ttmp9 offset:0x6e0
	s_mov_b32 s2, ttmp9
	s_mov_b32 s3, 0
	s_delay_alu instid0(SALU_CYCLE_1)
	s_mul_u64 s[4:5], s[2:3], 3
	s_add_nc_u64 s[6:7], s[0:1], s[2:3]
	s_mov_b32 s13, s3
	s_add_nc_u64 s[4:5], s[6:7], s[4:5]
	s_load_b32 s4, s[4:5], 0x820
	s_wait_kmcnt 0x0
	s_lshl_b32 s2, s8, 3
	s_clause 0x2
	s_load_b64 s[6:7], s[0:1], s2 offset:0x0
	s_load_b64 s[10:11], s[0:1], s2 offset:0x370
	s_load_b32 s22, s[0:1], 0xd2c
	s_ashr_i32 s5, s4, 31
	s_delay_alu instid0(SALU_CYCLE_1)
	s_lshl_b64 s[8:9], s[4:5], 17
	s_lshl_b64 s[4:5], s[4:5], 16
	s_wait_kmcnt 0x0
	s_and_b32 s2, s6, 7
	s_and_b32 s12, s10, 3
	s_sub_nc_u64 s[10:11], s[10:11], s[4:5]
	s_or_b64 s[2:3], s[2:3], s[12:13]
	s_delay_alu instid0(SALU_CYCLE_1)
	s_cmp_eq_u64 s[2:3], 0
	s_cbranch_scc1 .LBB94_21
; %bb.1:
	v_cmp_lt_i64_e64 s2, s[10:11], 1
	s_and_b32 vcc_lo, exec_lo, s2
	s_cbranch_vccnz .LBB94_20
; %bb.2:
	s_load_b32 s2, s[0:1], 0xd3c
	v_cmp_gt_i64_e64 s12, 0x10000, s[10:11]
	v_lshlrev_b32_e32 v1, 1, v0
	s_add_nc_u64 s[4:5], s[6:7], s[8:9]
	v_cmp_gt_u64_e64 s14, 0x10000, s[10:11]
	s_mov_b32 s3, 0
	v_add_co_u32 v1, s13, s4, v1
	s_and_b32 s12, s12, exec_lo
	v_add_co_ci_u32_e64 v2, null, s5, 0, s13
	s_cselect_b32 s13, s11, 0
	s_cselect_b32 s12, s10, 0x10000
	s_wait_kmcnt 0x0
	s_and_b32 s2, s2, 0xffff
	s_and_b32 s14, s14, exec_lo
	v_add_co_u32 v5, s21, v0, s2
	s_cselect_b32 s15, s11, 0
	s_cselect_b32 s14, s10, 0x10000
	s_lshl_b32 s17, s2, 1
	v_lshlrev_b32_e32 v3, 1, v5
	s_mul_i32 s20, s2, 3
	v_add_co_u32 v9, s17, s17, v0
	v_add_co_u32 v6, s20, s20, v0
	s_delay_alu instid0(VALU_DEP_3)
	v_add_co_u32 v3, s4, s4, v3
	s_wait_alu 0xf1ff
	v_add_co_ci_u32_e64 v7, null, 0, 0, s20
	v_add_co_ci_u32_e64 v8, null, 0, 0, s21
	;; [unrolled: 1-line block ×4, first 2 shown]
	s_lshl_b32 s16, s2, 2
	s_mul_u64 s[18:19], s[2:3], 6
	s_mov_b32 s17, s3
	s_lshl_b32 s23, s2, 3
	s_mov_b64 s[20:21], 0
	s_branch .LBB94_4
.LBB94_3:                               ;   in Loop: Header=BB94_4 Depth=1
	s_wait_alu 0xfffe
	s_or_b32 exec_lo, exec_lo, s2
	s_add_nc_u64 s[20:21], s[20:21], s[16:17]
	v_add_co_u32 v1, vcc_lo, v1, s23
	s_wait_alu 0xfffe
	v_cmp_lt_i64_e64 s2, s[20:21], s[12:13]
	s_wait_alu 0xfffd
	v_add_co_ci_u32_e64 v2, null, 0, v2, vcc_lo
	v_add_co_u32 v3, vcc_lo, v3, s23
	s_wait_alu 0xfffd
	v_add_co_ci_u32_e64 v4, null, 0, v4, vcc_lo
	s_and_b32 vcc_lo, exec_lo, s2
	s_wait_alu 0xfffe
	s_cbranch_vccz .LBB94_20
.LBB94_4:                               ; =>This Inner Loop Header: Depth=1
	s_wait_alu 0xfffe
	v_add_co_u32 v11, s2, v0, s20
	s_wait_alu 0xf1ff
	v_add_co_ci_u32_e64 v12, null, 0, s21, s2
	s_delay_alu instid0(VALU_DEP_1)
	v_cmp_gt_u64_e32 vcc_lo, s[14:15], v[11:12]
	v_mov_b32_e32 v12, 0
	s_and_saveexec_b32 s2, vcc_lo
	s_cbranch_execz .LBB94_6
; %bb.5:                                ;   in Loop: Header=BB94_4 Depth=1
	global_load_u16 v11, v[1:2], off
	s_wait_loadcnt 0x0
	v_lshlrev_b32_e32 v12, 16, v11
.LBB94_6:                               ;   in Loop: Header=BB94_4 Depth=1
	s_wait_alu 0xfffe
	s_or_b32 exec_lo, exec_lo, s2
	v_add_co_u32 v13, s2, v5, s20
	s_wait_alu 0xf1ff
	v_add_co_ci_u32_e64 v14, null, s21, v8, s2
	v_mov_b32_e32 v11, 0
	s_delay_alu instid0(VALU_DEP_2)
	v_cmp_gt_u64_e64 s2, s[14:15], v[13:14]
	v_mov_b32_e32 v13, 0
	s_and_saveexec_b32 s3, s2
	s_cbranch_execz .LBB94_8
; %bb.7:                                ;   in Loop: Header=BB94_4 Depth=1
	global_load_u16 v13, v[3:4], off
	s_wait_loadcnt 0x0
	v_lshlrev_b32_e32 v13, 16, v13
.LBB94_8:                               ;   in Loop: Header=BB94_4 Depth=1
	s_wait_alu 0xfffe
	s_or_b32 exec_lo, exec_lo, s3
	v_add_co_u32 v14, s3, v9, s20
	s_wait_alu 0xf1ff
	v_add_co_ci_u32_e64 v15, null, s21, v10, s3
	s_delay_alu instid0(VALU_DEP_1)
	v_cmp_gt_u64_e64 s3, s[14:15], v[14:15]
	s_and_saveexec_b32 s5, s3
	s_cbranch_execz .LBB94_10
; %bb.9:                                ;   in Loop: Header=BB94_4 Depth=1
	v_add_co_u32 v14, s4, v1, s16
	s_wait_alu 0xf1ff
	v_add_co_ci_u32_e64 v15, null, 0, v2, s4
	global_load_u16 v11, v[14:15], off
	s_wait_loadcnt 0x0
	v_lshlrev_b32_e32 v11, 16, v11
.LBB94_10:                              ;   in Loop: Header=BB94_4 Depth=1
	s_wait_alu 0xfffe
	s_or_b32 exec_lo, exec_lo, s5
	v_add_co_u32 v14, s4, v6, s20
	s_wait_alu 0xf1ff
	v_add_co_ci_u32_e64 v15, null, s21, v7, s4
	s_delay_alu instid0(VALU_DEP_1)
	v_cmp_gt_u64_e64 s4, s[14:15], v[14:15]
	v_mov_b32_e32 v14, 0
	s_and_saveexec_b32 s24, s4
	s_cbranch_execnz .LBB94_15
; %bb.11:                               ;   in Loop: Header=BB94_4 Depth=1
	s_or_b32 exec_lo, exec_lo, s24
	s_and_saveexec_b32 s5, vcc_lo
	s_cbranch_execnz .LBB94_16
.LBB94_12:                              ;   in Loop: Header=BB94_4 Depth=1
	s_wait_alu 0xfffe
	s_or_b32 exec_lo, exec_lo, s5
	s_and_saveexec_b32 s5, s2
	s_cbranch_execnz .LBB94_17
.LBB94_13:                              ;   in Loop: Header=BB94_4 Depth=1
	s_wait_alu 0xfffe
	s_or_b32 exec_lo, exec_lo, s5
	s_and_saveexec_b32 s2, s3
	s_cbranch_execnz .LBB94_18
.LBB94_14:                              ;   in Loop: Header=BB94_4 Depth=1
	s_wait_alu 0xfffe
	s_or_b32 exec_lo, exec_lo, s2
	s_and_saveexec_b32 s2, s4
	s_cbranch_execz .LBB94_3
	s_branch .LBB94_19
.LBB94_15:                              ;   in Loop: Header=BB94_4 Depth=1
	v_add_co_u32 v14, s5, v1, s18
	s_wait_alu 0xf1ff
	v_add_co_ci_u32_e64 v15, null, s19, v2, s5
	global_load_u16 v14, v[14:15], off
	s_wait_loadcnt 0x0
	v_lshlrev_b32_e32 v14, 16, v14
	s_or_b32 exec_lo, exec_lo, s24
	s_and_saveexec_b32 s5, vcc_lo
	s_cbranch_execz .LBB94_12
.LBB94_16:                              ;   in Loop: Header=BB94_4 Depth=1
	v_subrev_f32_e32 v12, s22, v12
	s_delay_alu instid0(VALU_DEP_1) | instskip(SKIP_1) | instid1(VALU_DEP_2)
	v_bfe_u32 v15, v12, 16, 1
	v_cmp_o_f32_e32 vcc_lo, v12, v12
	v_add3_u32 v15, v12, v15, 0x7fff
	s_delay_alu instid0(VALU_DEP_1) | instskip(SKIP_1) | instid1(VALU_DEP_1)
	v_lshrrev_b32_e32 v15, 16, v15
	s_wait_alu 0xfffd
	v_cndmask_b32_e32 v12, 0x7fc0, v15, vcc_lo
	global_store_b16 v[1:2], v12, off
	s_wait_alu 0xfffe
	s_or_b32 exec_lo, exec_lo, s5
	s_and_saveexec_b32 s5, s2
	s_cbranch_execz .LBB94_13
.LBB94_17:                              ;   in Loop: Header=BB94_4 Depth=1
	v_subrev_f32_e32 v12, s22, v13
	s_delay_alu instid0(VALU_DEP_1) | instskip(SKIP_1) | instid1(VALU_DEP_2)
	v_bfe_u32 v13, v12, 16, 1
	v_cmp_o_f32_e32 vcc_lo, v12, v12
	v_add3_u32 v13, v12, v13, 0x7fff
	s_delay_alu instid0(VALU_DEP_1) | instskip(SKIP_1) | instid1(VALU_DEP_1)
	v_lshrrev_b32_e32 v13, 16, v13
	s_wait_alu 0xfffd
	v_cndmask_b32_e32 v12, 0x7fc0, v13, vcc_lo
	global_store_b16 v[3:4], v12, off
	s_wait_alu 0xfffe
	s_or_b32 exec_lo, exec_lo, s5
	s_and_saveexec_b32 s2, s3
	s_cbranch_execz .LBB94_14
.LBB94_18:                              ;   in Loop: Header=BB94_4 Depth=1
	v_subrev_f32_e32 v11, s22, v11
	s_delay_alu instid0(VALU_DEP_1) | instskip(SKIP_1) | instid1(VALU_DEP_2)
	v_bfe_u32 v12, v11, 16, 1
	v_cmp_o_f32_e32 vcc_lo, v11, v11
	v_add3_u32 v12, v11, v12, 0x7fff
	s_delay_alu instid0(VALU_DEP_1) | instskip(SKIP_1) | instid1(VALU_DEP_1)
	v_lshrrev_b32_e32 v12, 16, v12
	s_wait_alu 0xfffd
	v_cndmask_b32_e32 v13, 0x7fc0, v12, vcc_lo
	v_add_co_u32 v11, vcc_lo, v1, s16
	s_wait_alu 0xfffd
	v_add_co_ci_u32_e64 v12, null, 0, v2, vcc_lo
	global_store_b16 v[11:12], v13, off
	s_wait_alu 0xfffe
	s_or_b32 exec_lo, exec_lo, s2
	s_and_saveexec_b32 s2, s4
	s_cbranch_execz .LBB94_3
.LBB94_19:                              ;   in Loop: Header=BB94_4 Depth=1
	v_subrev_f32_e32 v11, s22, v14
	s_delay_alu instid0(VALU_DEP_1) | instskip(SKIP_1) | instid1(VALU_DEP_2)
	v_bfe_u32 v12, v11, 16, 1
	v_cmp_o_f32_e32 vcc_lo, v11, v11
	v_add3_u32 v12, v11, v12, 0x7fff
	s_delay_alu instid0(VALU_DEP_1) | instskip(SKIP_1) | instid1(VALU_DEP_1)
	v_lshrrev_b32_e32 v12, 16, v12
	s_wait_alu 0xfffd
	v_cndmask_b32_e32 v13, 0x7fc0, v12, vcc_lo
	v_add_co_u32 v11, vcc_lo, v1, s18
	s_wait_alu 0xfffd
	v_add_co_ci_u32_e64 v12, null, s19, v2, vcc_lo
	global_store_b16 v[11:12], v13, off
	s_branch .LBB94_3
.LBB94_20:
	s_cbranch_execz .LBB94_22
	s_branch .LBB94_25
.LBB94_21:
.LBB94_22:
	v_cmp_gt_i64_e64 s2, 0x10000, s[10:11]
	v_dual_mov_b32 v2, 0 :: v_dual_lshlrev_b32 v1, 2, v0
	s_mov_b32 s4, 0
	s_mov_b32 s5, exec_lo
	s_and_b32 s2, s2, exec_lo
	s_cselect_b32 s3, s11, 0
	s_cselect_b32 s2, s10, 0x10000
	s_wait_alu 0xfffe
	v_cmpx_gt_i64_e64 s[2:3], v[1:2]
	s_cbranch_execz .LBB94_25
; %bb.23:
	s_load_b32 s5, s[0:1], 0xd3c
	v_lshlrev_b32_e32 v3, 3, v0
	s_add_nc_u64 s[0:1], s[6:7], s[8:9]
	v_mov_b32_e32 v1, v2
	s_delay_alu instid0(VALU_DEP_2)
	v_add_co_u32 v2, s0, s0, v3
	s_wait_alu 0xf1ff
	v_add_co_ci_u32_e64 v3, null, s1, 0, s0
	s_wait_kmcnt 0x0
	s_and_b32 s1, s5, 0xffff
	s_wait_alu 0xfffe
	s_lshl_b32 s5, s1, 3
.LBB94_24:                              ; =>This Inner Loop Header: Depth=1
	global_load_b64 v[4:5], v[2:3], off
	v_add_co_u32 v0, vcc_lo, v0, s1
	s_wait_alu 0xfffd
	v_add_co_ci_u32_e64 v1, null, 0, v1, vcc_lo
	s_wait_loadcnt 0x0
	v_alignbit_b32 v6, v5, v4, 16
	s_delay_alu instid0(VALU_DEP_1) | instskip(NEXT) | instid1(VALU_DEP_1)
	v_and_b32_e32 v6, 0xffff0000, v6
	v_dual_subrev_f32 v6, s22, v6 :: v_dual_lshlrev_b32 v7, 16, v4
	s_delay_alu instid0(VALU_DEP_1) | instskip(SKIP_1) | instid1(VALU_DEP_3)
	v_dual_subrev_f32 v7, s22, v7 :: v_dual_and_b32 v4, 0xffff0000, v4
	v_and_b32_e32 v5, 0xffff0000, v5
	v_bfe_u32 v11, v6, 16, 1
	s_delay_alu instid0(VALU_DEP_3) | instskip(NEXT) | instid1(VALU_DEP_4)
	v_subrev_f32_e32 v4, s22, v4
	v_bfe_u32 v8, v7, 16, 1
	s_delay_alu instid0(VALU_DEP_4) | instskip(NEXT) | instid1(VALU_DEP_4)
	v_subrev_f32_e32 v5, s22, v5
	v_add3_u32 v11, v6, v11, 0x7fff
	s_delay_alu instid0(VALU_DEP_4) | instskip(NEXT) | instid1(VALU_DEP_4)
	v_bfe_u32 v9, v4, 16, 1
	v_add3_u32 v8, v7, v8, 0x7fff
	s_delay_alu instid0(VALU_DEP_4)
	v_bfe_u32 v10, v5, 16, 1
	v_cmp_o_f32_e32 vcc_lo, v4, v4
	v_lshrrev_b32_e32 v11, 16, v11
	v_add3_u32 v9, v4, v9, 0x7fff
	v_lshrrev_b32_e32 v8, 16, v8
	v_add3_u32 v10, v5, v10, 0x7fff
	s_delay_alu instid0(VALU_DEP_3) | instskip(NEXT) | instid1(VALU_DEP_2)
	v_and_b32_e32 v9, 0xffff0000, v9
	v_and_b32_e32 v10, 0xffff0000, v10
	s_wait_alu 0xfffd
	s_delay_alu instid0(VALU_DEP_2) | instskip(SKIP_4) | instid1(VALU_DEP_2)
	v_cndmask_b32_e32 v4, 0x7fc00000, v9, vcc_lo
	v_cmp_o_f32_e32 vcc_lo, v7, v7
	s_wait_alu 0xfffd
	v_cndmask_b32_e32 v7, 0x7fc0, v8, vcc_lo
	v_cmp_o_f32_e32 vcc_lo, v5, v5
	v_or_b32_e32 v9, v7, v4
	s_wait_alu 0xfffd
	v_cndmask_b32_e32 v8, 0x7fc00000, v10, vcc_lo
	v_cmp_o_f32_e32 vcc_lo, v6, v6
	v_lshlrev_b64_e32 v[4:5], 2, v[0:1]
	s_wait_alu 0xfffd
	v_cndmask_b32_e32 v6, 0x7fc0, v11, vcc_lo
	s_delay_alu instid0(VALU_DEP_2) | instskip(NEXT) | instid1(VALU_DEP_2)
	v_cmp_le_i64_e32 vcc_lo, s[2:3], v[4:5]
	v_or3_b32 v7, 0, v6, v8
	v_or3_b32 v6, v9, 0, 0
	s_or_b32 s4, vcc_lo, s4
	global_store_b64 v[2:3], v[6:7], off
	s_wait_alu 0xfffe
	v_add_co_u32 v2, s0, v2, s5
	s_wait_alu 0xf1ff
	v_add_co_ci_u32_e64 v3, null, 0, v3, s0
	s_and_not1_b32 exec_lo, exec_lo, s4
	s_cbranch_execnz .LBB94_24
.LBB94_25:
	s_endpgm
	.section	.rodata,"a",@progbits
	.p2align	6, 0x0
	.amdhsa_kernel _ZN2at6native12_GLOBAL__N_125multi_tensor_apply_kernelINS1_18TensorListMetadataILi1EEENS1_21BinaryOpScalarFunctorIN3c108BFloat16ELi1ELi1ELi0EEEJSt5minusIfEfEEEvT_T0_DpT1_
		.amdhsa_group_segment_fixed_size 0
		.amdhsa_private_segment_fixed_size 0
		.amdhsa_kernarg_size 3632
		.amdhsa_user_sgpr_count 2
		.amdhsa_user_sgpr_dispatch_ptr 0
		.amdhsa_user_sgpr_queue_ptr 0
		.amdhsa_user_sgpr_kernarg_segment_ptr 1
		.amdhsa_user_sgpr_dispatch_id 0
		.amdhsa_user_sgpr_private_segment_size 0
		.amdhsa_wavefront_size32 1
		.amdhsa_uses_dynamic_stack 0
		.amdhsa_enable_private_segment 0
		.amdhsa_system_sgpr_workgroup_id_x 1
		.amdhsa_system_sgpr_workgroup_id_y 0
		.amdhsa_system_sgpr_workgroup_id_z 0
		.amdhsa_system_sgpr_workgroup_info 0
		.amdhsa_system_vgpr_workitem_id 0
		.amdhsa_next_free_vgpr 16
		.amdhsa_next_free_sgpr 25
		.amdhsa_reserve_vcc 1
		.amdhsa_float_round_mode_32 0
		.amdhsa_float_round_mode_16_64 0
		.amdhsa_float_denorm_mode_32 3
		.amdhsa_float_denorm_mode_16_64 3
		.amdhsa_fp16_overflow 0
		.amdhsa_workgroup_processor_mode 1
		.amdhsa_memory_ordered 1
		.amdhsa_forward_progress 1
		.amdhsa_inst_pref_size 14
		.amdhsa_round_robin_scheduling 0
		.amdhsa_exception_fp_ieee_invalid_op 0
		.amdhsa_exception_fp_denorm_src 0
		.amdhsa_exception_fp_ieee_div_zero 0
		.amdhsa_exception_fp_ieee_overflow 0
		.amdhsa_exception_fp_ieee_underflow 0
		.amdhsa_exception_fp_ieee_inexact 0
		.amdhsa_exception_int_div_zero 0
	.end_amdhsa_kernel
	.section	.text._ZN2at6native12_GLOBAL__N_125multi_tensor_apply_kernelINS1_18TensorListMetadataILi1EEENS1_21BinaryOpScalarFunctorIN3c108BFloat16ELi1ELi1ELi0EEEJSt5minusIfEfEEEvT_T0_DpT1_,"axG",@progbits,_ZN2at6native12_GLOBAL__N_125multi_tensor_apply_kernelINS1_18TensorListMetadataILi1EEENS1_21BinaryOpScalarFunctorIN3c108BFloat16ELi1ELi1ELi0EEEJSt5minusIfEfEEEvT_T0_DpT1_,comdat
.Lfunc_end94:
	.size	_ZN2at6native12_GLOBAL__N_125multi_tensor_apply_kernelINS1_18TensorListMetadataILi1EEENS1_21BinaryOpScalarFunctorIN3c108BFloat16ELi1ELi1ELi0EEEJSt5minusIfEfEEEvT_T0_DpT1_, .Lfunc_end94-_ZN2at6native12_GLOBAL__N_125multi_tensor_apply_kernelINS1_18TensorListMetadataILi1EEENS1_21BinaryOpScalarFunctorIN3c108BFloat16ELi1ELi1ELi0EEEJSt5minusIfEfEEEvT_T0_DpT1_
                                        ; -- End function
	.set _ZN2at6native12_GLOBAL__N_125multi_tensor_apply_kernelINS1_18TensorListMetadataILi1EEENS1_21BinaryOpScalarFunctorIN3c108BFloat16ELi1ELi1ELi0EEEJSt5minusIfEfEEEvT_T0_DpT1_.num_vgpr, 16
	.set _ZN2at6native12_GLOBAL__N_125multi_tensor_apply_kernelINS1_18TensorListMetadataILi1EEENS1_21BinaryOpScalarFunctorIN3c108BFloat16ELi1ELi1ELi0EEEJSt5minusIfEfEEEvT_T0_DpT1_.num_agpr, 0
	.set _ZN2at6native12_GLOBAL__N_125multi_tensor_apply_kernelINS1_18TensorListMetadataILi1EEENS1_21BinaryOpScalarFunctorIN3c108BFloat16ELi1ELi1ELi0EEEJSt5minusIfEfEEEvT_T0_DpT1_.numbered_sgpr, 25
	.set _ZN2at6native12_GLOBAL__N_125multi_tensor_apply_kernelINS1_18TensorListMetadataILi1EEENS1_21BinaryOpScalarFunctorIN3c108BFloat16ELi1ELi1ELi0EEEJSt5minusIfEfEEEvT_T0_DpT1_.num_named_barrier, 0
	.set _ZN2at6native12_GLOBAL__N_125multi_tensor_apply_kernelINS1_18TensorListMetadataILi1EEENS1_21BinaryOpScalarFunctorIN3c108BFloat16ELi1ELi1ELi0EEEJSt5minusIfEfEEEvT_T0_DpT1_.private_seg_size, 0
	.set _ZN2at6native12_GLOBAL__N_125multi_tensor_apply_kernelINS1_18TensorListMetadataILi1EEENS1_21BinaryOpScalarFunctorIN3c108BFloat16ELi1ELi1ELi0EEEJSt5minusIfEfEEEvT_T0_DpT1_.uses_vcc, 1
	.set _ZN2at6native12_GLOBAL__N_125multi_tensor_apply_kernelINS1_18TensorListMetadataILi1EEENS1_21BinaryOpScalarFunctorIN3c108BFloat16ELi1ELi1ELi0EEEJSt5minusIfEfEEEvT_T0_DpT1_.uses_flat_scratch, 0
	.set _ZN2at6native12_GLOBAL__N_125multi_tensor_apply_kernelINS1_18TensorListMetadataILi1EEENS1_21BinaryOpScalarFunctorIN3c108BFloat16ELi1ELi1ELi0EEEJSt5minusIfEfEEEvT_T0_DpT1_.has_dyn_sized_stack, 0
	.set _ZN2at6native12_GLOBAL__N_125multi_tensor_apply_kernelINS1_18TensorListMetadataILi1EEENS1_21BinaryOpScalarFunctorIN3c108BFloat16ELi1ELi1ELi0EEEJSt5minusIfEfEEEvT_T0_DpT1_.has_recursion, 0
	.set _ZN2at6native12_GLOBAL__N_125multi_tensor_apply_kernelINS1_18TensorListMetadataILi1EEENS1_21BinaryOpScalarFunctorIN3c108BFloat16ELi1ELi1ELi0EEEJSt5minusIfEfEEEvT_T0_DpT1_.has_indirect_call, 0
	.section	.AMDGPU.csdata,"",@progbits
; Kernel info:
; codeLenInByte = 1680
; TotalNumSgprs: 27
; NumVgprs: 16
; ScratchSize: 0
; MemoryBound: 0
; FloatMode: 240
; IeeeMode: 1
; LDSByteSize: 0 bytes/workgroup (compile time only)
; SGPRBlocks: 0
; VGPRBlocks: 1
; NumSGPRsForWavesPerEU: 27
; NumVGPRsForWavesPerEU: 16
; Occupancy: 16
; WaveLimiterHint : 0
; COMPUTE_PGM_RSRC2:SCRATCH_EN: 0
; COMPUTE_PGM_RSRC2:USER_SGPR: 2
; COMPUTE_PGM_RSRC2:TRAP_HANDLER: 0
; COMPUTE_PGM_RSRC2:TGID_X_EN: 1
; COMPUTE_PGM_RSRC2:TGID_Y_EN: 0
; COMPUTE_PGM_RSRC2:TGID_Z_EN: 0
; COMPUTE_PGM_RSRC2:TIDIG_COMP_CNT: 0
	.section	.text._ZN2at6native12_GLOBAL__N_125multi_tensor_apply_kernelINS1_18TensorListMetadataILi2EEENS1_21BinaryOpScalarFunctorIhLi2ELi1ELi1EEEJSt5minusIhEhEEEvT_T0_DpT1_,"axG",@progbits,_ZN2at6native12_GLOBAL__N_125multi_tensor_apply_kernelINS1_18TensorListMetadataILi2EEENS1_21BinaryOpScalarFunctorIhLi2ELi1ELi1EEEJSt5minusIhEhEEEvT_T0_DpT1_,comdat
	.globl	_ZN2at6native12_GLOBAL__N_125multi_tensor_apply_kernelINS1_18TensorListMetadataILi2EEENS1_21BinaryOpScalarFunctorIhLi2ELi1ELi1EEEJSt5minusIhEhEEEvT_T0_DpT1_ ; -- Begin function _ZN2at6native12_GLOBAL__N_125multi_tensor_apply_kernelINS1_18TensorListMetadataILi2EEENS1_21BinaryOpScalarFunctorIhLi2ELi1ELi1EEEJSt5minusIhEhEEEvT_T0_DpT1_
	.p2align	8
	.type	_ZN2at6native12_GLOBAL__N_125multi_tensor_apply_kernelINS1_18TensorListMetadataILi2EEENS1_21BinaryOpScalarFunctorIhLi2ELi1ELi1EEEJSt5minusIhEhEEEvT_T0_DpT1_,@function
_ZN2at6native12_GLOBAL__N_125multi_tensor_apply_kernelINS1_18TensorListMetadataILi2EEENS1_21BinaryOpScalarFunctorIhLi2ELi1ELi1EEEJSt5minusIhEhEEEvT_T0_DpT1_: ; @_ZN2at6native12_GLOBAL__N_125multi_tensor_apply_kernelINS1_18TensorListMetadataILi2EEENS1_21BinaryOpScalarFunctorIhLi2ELi1ELi1EEEJSt5minusIhEhEEEvT_T0_DpT1_
; %bb.0:
	s_load_u8 s6, s[0:1], ttmp9 offset:0x600
	s_mov_b32 s2, ttmp9
	s_mov_b32 s3, 0
	s_delay_alu instid0(SALU_CYCLE_1) | instskip(SKIP_1) | instid1(SALU_CYCLE_1)
	s_mul_u64 s[4:5], s[2:3], 3
	s_add_nc_u64 s[2:3], s[0:1], s[2:3]
	s_add_nc_u64 s[2:3], s[2:3], s[4:5]
	s_load_b32 s2, s[2:3], 0x740
	s_wait_kmcnt 0x0
	s_lshl_b32 s3, s6, 3
	s_clause 0x3
	s_load_b64 s[4:5], s[0:1], s3 offset:0x400
	s_load_b64 s[6:7], s[0:1], s3 offset:0x0
	;; [unrolled: 1-line block ×3, first 2 shown]
	s_load_b32 s22, s[0:1], 0xc48
	s_ashr_i32 s3, s2, 31
	s_delay_alu instid0(SALU_CYCLE_1) | instskip(SKIP_4) | instid1(SALU_CYCLE_1)
	s_lshl_b64 s[10:11], s[2:3], 16
	s_wait_kmcnt 0x0
	s_sub_nc_u64 s[12:13], s[4:5], s[10:11]
	s_add_nc_u64 s[2:3], s[6:7], s[10:11]
	s_or_b32 s3, s4, s8
	s_or_b32 s2, s3, s2
	s_delay_alu instid0(SALU_CYCLE_1) | instskip(NEXT) | instid1(SALU_CYCLE_1)
	s_and_b32 s2, s2, 3
	s_cmp_eq_u32 s2, 0
	s_mov_b32 s2, -1
	s_cbranch_scc1 .LBB95_21
; %bb.1:
	v_cmp_lt_i64_e64 s2, s[12:13], 1
	s_and_b32 vcc_lo, exec_lo, s2
	s_cbranch_vccnz .LBB95_20
; %bb.2:
	s_load_b32 s2, s[0:1], 0xc5c
	v_cmp_gt_i64_e64 s4, 0x10000, s[12:13]
	v_cmp_gt_u64_e64 s16, 0x10000, s[12:13]
	s_mov_b32 s3, 0
	v_add_co_u32 v15, s5, s10, v0
	s_delay_alu instid0(VALU_DEP_1)
	v_add_co_ci_u32_e64 v16, null, s11, 0, s5
	s_and_b32 s4, s4, exec_lo
	s_cselect_b32 s15, s13, 0
	s_cselect_b32 s14, s12, 0x10000
	s_mov_b32 s5, s3
	v_add_co_u32 v1, vcc_lo, s6, v15
	s_delay_alu instid0(VALU_DEP_1)
	v_add_co_ci_u32_e64 v2, null, s7, v16, vcc_lo
	v_add_co_u32 v3, vcc_lo, s8, v15
	s_wait_alu 0xfffd
	v_add_co_ci_u32_e64 v4, null, s9, v16, vcc_lo
	s_wait_kmcnt 0x0
	s_and_b32 s19, s2, 0xffff
	s_and_b32 s2, s16, exec_lo
	s_mul_i32 s4, s19, 3
	s_cselect_b32 s17, s13, 0
	s_wait_alu 0xfffe
	s_add_nc_u64 s[20:21], s[10:11], s[4:5]
	s_cselect_b32 s16, s12, 0x10000
	s_lshl_b32 s2, s19, 1
	v_add_co_u32 v7, s5, s20, v0
	s_wait_alu 0xf1ff
	v_add_co_ci_u32_e64 v8, null, s21, 0, s5
	s_add_nc_u64 s[20:21], s[10:11], s[2:3]
	v_add_co_u32 v5, vcc_lo, s6, v7
	s_wait_alu 0xfffe
	v_add_co_u32 v13, s5, s20, v0
	s_wait_alu 0xf1ff
	v_add_co_ci_u32_e64 v14, null, s21, 0, s5
	s_wait_alu 0xfffd
	v_add_co_ci_u32_e64 v6, null, s7, v8, vcc_lo
	v_add_co_u32 v7, vcc_lo, s8, v7
	s_wait_alu 0xfffd
	v_add_co_ci_u32_e64 v8, null, s9, v8, vcc_lo
	v_add_co_u32 v11, vcc_lo, s6, v13
	;; [unrolled: 3-line block ×4, first 2 shown]
	s_wait_alu 0xfffd
	v_add_co_ci_u32_e64 v20, null, 0, v16, vcc_lo
	v_add_co_u32 v15, s2, s2, v0
	s_delay_alu instid0(VALU_DEP_3)
	v_add_co_u32 v17, vcc_lo, s6, v19
	v_add_co_u32 v9, s4, s4, v0
	s_wait_alu 0xf1ff
	v_add_co_ci_u32_e64 v16, null, 0, 0, s2
	s_wait_alu 0xfffd
	v_add_co_ci_u32_e64 v18, null, s7, v20, vcc_lo
	v_add_co_u32 v19, vcc_lo, s8, v19
	v_add_co_u32 v21, s2, v0, s19
	v_add_co_ci_u32_e64 v10, null, 0, 0, s4
	s_wait_alu 0xfffd
	v_add_co_ci_u32_e64 v20, null, s9, v20, vcc_lo
	s_wait_alu 0xf1ff
	v_add_co_ci_u32_e64 v22, null, 0, 0, s2
	s_lshl_b32 s18, s19, 2
	s_mov_b32 s19, s3
	s_mov_b64 s[20:21], 0
	s_lshr_b32 s23, s22, 16
	s_branch .LBB95_4
.LBB95_3:                               ;   in Loop: Header=BB95_4 Depth=1
	s_wait_alu 0xfffe
	s_or_b32 exec_lo, exec_lo, s2
	s_add_nc_u64 s[20:21], s[20:21], s[18:19]
	s_wait_alu 0xfffe
	v_cmp_lt_i64_e64 s2, s[20:21], s[14:15]
	s_and_b32 vcc_lo, exec_lo, s2
	s_wait_alu 0xfffe
	s_cbranch_vccz .LBB95_20
.LBB95_4:                               ; =>This Inner Loop Header: Depth=1
	s_wait_loadcnt 0x0
	s_wait_alu 0xfffe
	v_add_co_u32 v23, s2, v0, s20
	s_wait_alu 0xf1ff
	v_add_co_ci_u32_e64 v24, null, 0, s21, s2
	s_delay_alu instid0(VALU_DEP_1)
	v_cmp_gt_u64_e32 vcc_lo, s[16:17], v[23:24]
	v_mov_b32_e32 v24, 0
	s_and_saveexec_b32 s3, vcc_lo
	s_cbranch_execz .LBB95_6
; %bb.5:                                ;   in Loop: Header=BB95_4 Depth=1
	v_add_co_u32 v23, s2, v1, s20
	s_wait_alu 0xf1ff
	v_add_co_ci_u32_e64 v24, null, s21, v2, s2
	global_load_u8 v24, v[23:24], off
.LBB95_6:                               ;   in Loop: Header=BB95_4 Depth=1
	s_wait_alu 0xfffe
	s_or_b32 exec_lo, exec_lo, s3
	v_add_co_u32 v25, s2, v21, s20
	s_wait_alu 0xf1ff
	v_add_co_ci_u32_e64 v26, null, s21, v22, s2
	v_mov_b32_e32 v23, 0
	s_delay_alu instid0(VALU_DEP_2)
	v_cmp_gt_u64_e64 s2, s[16:17], v[25:26]
	v_mov_b32_e32 v25, 0
	s_and_saveexec_b32 s4, s2
	s_cbranch_execz .LBB95_8
; %bb.7:                                ;   in Loop: Header=BB95_4 Depth=1
	v_add_co_u32 v25, s3, v17, s20
	s_wait_alu 0xf1ff
	v_add_co_ci_u32_e64 v26, null, s21, v18, s3
	global_load_u8 v25, v[25:26], off
.LBB95_8:                               ;   in Loop: Header=BB95_4 Depth=1
	s_wait_alu 0xfffe
	s_or_b32 exec_lo, exec_lo, s4
	v_add_co_u32 v26, s3, v15, s20
	s_wait_alu 0xf1ff
	v_add_co_ci_u32_e64 v27, null, s21, v16, s3
	s_delay_alu instid0(VALU_DEP_1)
	v_cmp_gt_u64_e64 s3, s[16:17], v[26:27]
	s_and_saveexec_b32 s5, s3
	s_cbranch_execz .LBB95_10
; %bb.9:                                ;   in Loop: Header=BB95_4 Depth=1
	v_add_co_u32 v26, s4, v11, s20
	s_wait_alu 0xf1ff
	v_add_co_ci_u32_e64 v27, null, s21, v12, s4
	global_load_u8 v23, v[26:27], off
.LBB95_10:                              ;   in Loop: Header=BB95_4 Depth=1
	s_wait_alu 0xfffe
	s_or_b32 exec_lo, exec_lo, s5
	v_add_co_u32 v26, s4, v9, s20
	s_wait_alu 0xf1ff
	v_add_co_ci_u32_e64 v27, null, s21, v10, s4
	s_delay_alu instid0(VALU_DEP_1)
	v_cmp_gt_u64_e64 s4, s[16:17], v[26:27]
	v_mov_b32_e32 v26, 0
	s_and_saveexec_b32 s24, s4
	s_cbranch_execnz .LBB95_15
; %bb.11:                               ;   in Loop: Header=BB95_4 Depth=1
	s_or_b32 exec_lo, exec_lo, s24
	s_and_saveexec_b32 s5, vcc_lo
	s_cbranch_execnz .LBB95_16
.LBB95_12:                              ;   in Loop: Header=BB95_4 Depth=1
	s_wait_alu 0xfffe
	s_or_b32 exec_lo, exec_lo, s5
	s_and_saveexec_b32 s5, s2
	s_cbranch_execnz .LBB95_17
.LBB95_13:                              ;   in Loop: Header=BB95_4 Depth=1
	s_wait_alu 0xfffe
	s_or_b32 exec_lo, exec_lo, s5
	s_and_saveexec_b32 s2, s3
	s_cbranch_execnz .LBB95_18
.LBB95_14:                              ;   in Loop: Header=BB95_4 Depth=1
	s_wait_alu 0xfffe
	s_or_b32 exec_lo, exec_lo, s2
	s_and_saveexec_b32 s2, s4
	s_cbranch_execz .LBB95_3
	s_branch .LBB95_19
.LBB95_15:                              ;   in Loop: Header=BB95_4 Depth=1
	v_add_co_u32 v26, s5, v5, s20
	s_wait_alu 0xf1ff
	v_add_co_ci_u32_e64 v27, null, s21, v6, s5
	global_load_u8 v26, v[26:27], off
	s_or_b32 exec_lo, exec_lo, s24
	s_and_saveexec_b32 s5, vcc_lo
	s_cbranch_execz .LBB95_12
.LBB95_16:                              ;   in Loop: Header=BB95_4 Depth=1
	v_add_co_u32 v27, vcc_lo, v3, s20
	s_wait_loadcnt 0x0
	v_sub_nc_u16 v24, v24, s23
	s_wait_alu 0xfffd
	v_add_co_ci_u32_e64 v28, null, s21, v4, vcc_lo
	global_store_b8 v[27:28], v24, off
	s_wait_alu 0xfffe
	s_or_b32 exec_lo, exec_lo, s5
	s_and_saveexec_b32 s5, s2
	s_cbranch_execz .LBB95_13
.LBB95_17:                              ;   in Loop: Header=BB95_4 Depth=1
	s_wait_loadcnt 0x0
	v_add_co_u32 v24, vcc_lo, v19, s20
	v_sub_nc_u16 v27, v25, s23
	s_wait_alu 0xfffd
	v_add_co_ci_u32_e64 v25, null, s21, v20, vcc_lo
	global_store_b8 v[24:25], v27, off
	s_wait_alu 0xfffe
	s_or_b32 exec_lo, exec_lo, s5
	s_and_saveexec_b32 s2, s3
	s_cbranch_execz .LBB95_14
.LBB95_18:                              ;   in Loop: Header=BB95_4 Depth=1
	s_wait_loadcnt 0x0
	v_sub_nc_u16 v25, v23, s23
	v_add_co_u32 v23, vcc_lo, v13, s20
	s_wait_alu 0xfffd
	v_add_co_ci_u32_e64 v24, null, s21, v14, vcc_lo
	global_store_b8 v[23:24], v25, off
	s_wait_alu 0xfffe
	s_or_b32 exec_lo, exec_lo, s2
	s_and_saveexec_b32 s2, s4
	s_cbranch_execz .LBB95_3
.LBB95_19:                              ;   in Loop: Header=BB95_4 Depth=1
	s_wait_loadcnt 0x0
	v_add_co_u32 v23, vcc_lo, v7, s20
	v_sub_nc_u16 v25, v26, s23
	s_wait_alu 0xfffd
	v_add_co_ci_u32_e64 v24, null, s21, v8, vcc_lo
	global_store_b8 v[23:24], v25, off
	s_branch .LBB95_3
.LBB95_20:
	s_mov_b32 s2, 0
.LBB95_21:
	s_wait_alu 0xfffe
	s_and_not1_b32 vcc_lo, exec_lo, s2
	s_wait_alu 0xfffe
	s_cbranch_vccnz .LBB95_25
; %bb.22:
	v_cmp_gt_i64_e64 s2, 0x10000, s[12:13]
	v_dual_mov_b32 v3, 0 :: v_dual_lshlrev_b32 v2, 2, v0
	s_mov_b32 s4, 0
	s_mov_b32 s5, exec_lo
	s_and_b32 s2, s2, exec_lo
	s_cselect_b32 s3, s13, 0
	s_cselect_b32 s2, s12, 0x10000
	s_wait_alu 0xfffe
	v_cmpx_gt_i64_e64 s[2:3], v[2:3]
	s_cbranch_execz .LBB95_25
; %bb.23:
	s_load_b32 s0, s[0:1], 0xc5c
	v_add_co_u32 v2, s1, s10, v2
	v_mov_b32_e32 v1, v3
	v_add_co_ci_u32_e64 v3, null, s11, 0, s1
	s_lshr_b32 s10, s22, 16
	s_wait_kmcnt 0x0
	s_and_b32 s1, s0, 0xffff
	s_wait_alu 0xfffe
	s_lshl_b32 s5, s1, 2
.LBB95_24:                              ; =>This Inner Loop Header: Depth=1
	v_add_co_u32 v4, vcc_lo, s6, v2
	s_wait_alu 0xfffd
	v_add_co_ci_u32_e64 v5, null, s7, v3, vcc_lo
	v_add_co_u32 v0, vcc_lo, v0, s1
	s_wait_alu 0xfffd
	v_add_co_ci_u32_e64 v1, null, 0, v1, vcc_lo
	global_load_b32 v4, v[4:5], off
	s_wait_loadcnt 0x0
	v_lshrrev_b32_e32 v5, 8, v4
	v_lshrrev_b32_e32 v6, 24, v4
	;; [unrolled: 1-line block ×3, first 2 shown]
	v_sub_nc_u16 v4, v4, s10
	s_delay_alu instid0(VALU_DEP_4) | instskip(NEXT) | instid1(VALU_DEP_4)
	v_sub_nc_u16 v5, v5, s10
	v_sub_nc_u16 v6, v6, s10
	s_delay_alu instid0(VALU_DEP_4) | instskip(NEXT) | instid1(VALU_DEP_4)
	v_sub_nc_u16 v7, v7, s10
	v_and_b32_e32 v8, 0xff, v4
	v_add_co_u32 v4, vcc_lo, s8, v2
	v_lshlrev_b16 v5, 8, v5
	v_lshlrev_b16 v9, 8, v6
	v_and_b32_e32 v10, 0xff, v7
	v_lshlrev_b64_e32 v[6:7], 2, v[0:1]
	s_wait_alu 0xfffe
	v_add_co_u32 v2, s0, v2, s5
	v_or_b32_e32 v8, v8, v5
	v_or_b32_e32 v9, v10, v9
	s_wait_alu 0xfffd
	v_add_co_ci_u32_e64 v5, null, s9, v3, vcc_lo
	v_cmp_le_i64_e32 vcc_lo, s[2:3], v[6:7]
	v_and_b32_e32 v8, 0xffff, v8
	v_lshlrev_b32_e32 v9, 16, v9
	s_wait_alu 0xf1ff
	v_add_co_ci_u32_e64 v3, null, 0, v3, s0
	s_or_b32 s4, vcc_lo, s4
	v_or_b32_e32 v6, v8, v9
	global_store_b32 v[4:5], v6, off
	s_wait_alu 0xfffe
	s_and_not1_b32 exec_lo, exec_lo, s4
	s_cbranch_execnz .LBB95_24
.LBB95_25:
	s_endpgm
	.section	.rodata,"a",@progbits
	.p2align	6, 0x0
	.amdhsa_kernel _ZN2at6native12_GLOBAL__N_125multi_tensor_apply_kernelINS1_18TensorListMetadataILi2EEENS1_21BinaryOpScalarFunctorIhLi2ELi1ELi1EEEJSt5minusIhEhEEEvT_T0_DpT1_
		.amdhsa_group_segment_fixed_size 0
		.amdhsa_private_segment_fixed_size 0
		.amdhsa_kernarg_size 3408
		.amdhsa_user_sgpr_count 2
		.amdhsa_user_sgpr_dispatch_ptr 0
		.amdhsa_user_sgpr_queue_ptr 0
		.amdhsa_user_sgpr_kernarg_segment_ptr 1
		.amdhsa_user_sgpr_dispatch_id 0
		.amdhsa_user_sgpr_private_segment_size 0
		.amdhsa_wavefront_size32 1
		.amdhsa_uses_dynamic_stack 0
		.amdhsa_enable_private_segment 0
		.amdhsa_system_sgpr_workgroup_id_x 1
		.amdhsa_system_sgpr_workgroup_id_y 0
		.amdhsa_system_sgpr_workgroup_id_z 0
		.amdhsa_system_sgpr_workgroup_info 0
		.amdhsa_system_vgpr_workitem_id 0
		.amdhsa_next_free_vgpr 29
		.amdhsa_next_free_sgpr 25
		.amdhsa_reserve_vcc 1
		.amdhsa_float_round_mode_32 0
		.amdhsa_float_round_mode_16_64 0
		.amdhsa_float_denorm_mode_32 3
		.amdhsa_float_denorm_mode_16_64 3
		.amdhsa_fp16_overflow 0
		.amdhsa_workgroup_processor_mode 1
		.amdhsa_memory_ordered 1
		.amdhsa_forward_progress 1
		.amdhsa_inst_pref_size 13
		.amdhsa_round_robin_scheduling 0
		.amdhsa_exception_fp_ieee_invalid_op 0
		.amdhsa_exception_fp_denorm_src 0
		.amdhsa_exception_fp_ieee_div_zero 0
		.amdhsa_exception_fp_ieee_overflow 0
		.amdhsa_exception_fp_ieee_underflow 0
		.amdhsa_exception_fp_ieee_inexact 0
		.amdhsa_exception_int_div_zero 0
	.end_amdhsa_kernel
	.section	.text._ZN2at6native12_GLOBAL__N_125multi_tensor_apply_kernelINS1_18TensorListMetadataILi2EEENS1_21BinaryOpScalarFunctorIhLi2ELi1ELi1EEEJSt5minusIhEhEEEvT_T0_DpT1_,"axG",@progbits,_ZN2at6native12_GLOBAL__N_125multi_tensor_apply_kernelINS1_18TensorListMetadataILi2EEENS1_21BinaryOpScalarFunctorIhLi2ELi1ELi1EEEJSt5minusIhEhEEEvT_T0_DpT1_,comdat
.Lfunc_end95:
	.size	_ZN2at6native12_GLOBAL__N_125multi_tensor_apply_kernelINS1_18TensorListMetadataILi2EEENS1_21BinaryOpScalarFunctorIhLi2ELi1ELi1EEEJSt5minusIhEhEEEvT_T0_DpT1_, .Lfunc_end95-_ZN2at6native12_GLOBAL__N_125multi_tensor_apply_kernelINS1_18TensorListMetadataILi2EEENS1_21BinaryOpScalarFunctorIhLi2ELi1ELi1EEEJSt5minusIhEhEEEvT_T0_DpT1_
                                        ; -- End function
	.set _ZN2at6native12_GLOBAL__N_125multi_tensor_apply_kernelINS1_18TensorListMetadataILi2EEENS1_21BinaryOpScalarFunctorIhLi2ELi1ELi1EEEJSt5minusIhEhEEEvT_T0_DpT1_.num_vgpr, 29
	.set _ZN2at6native12_GLOBAL__N_125multi_tensor_apply_kernelINS1_18TensorListMetadataILi2EEENS1_21BinaryOpScalarFunctorIhLi2ELi1ELi1EEEJSt5minusIhEhEEEvT_T0_DpT1_.num_agpr, 0
	.set _ZN2at6native12_GLOBAL__N_125multi_tensor_apply_kernelINS1_18TensorListMetadataILi2EEENS1_21BinaryOpScalarFunctorIhLi2ELi1ELi1EEEJSt5minusIhEhEEEvT_T0_DpT1_.numbered_sgpr, 25
	.set _ZN2at6native12_GLOBAL__N_125multi_tensor_apply_kernelINS1_18TensorListMetadataILi2EEENS1_21BinaryOpScalarFunctorIhLi2ELi1ELi1EEEJSt5minusIhEhEEEvT_T0_DpT1_.num_named_barrier, 0
	.set _ZN2at6native12_GLOBAL__N_125multi_tensor_apply_kernelINS1_18TensorListMetadataILi2EEENS1_21BinaryOpScalarFunctorIhLi2ELi1ELi1EEEJSt5minusIhEhEEEvT_T0_DpT1_.private_seg_size, 0
	.set _ZN2at6native12_GLOBAL__N_125multi_tensor_apply_kernelINS1_18TensorListMetadataILi2EEENS1_21BinaryOpScalarFunctorIhLi2ELi1ELi1EEEJSt5minusIhEhEEEvT_T0_DpT1_.uses_vcc, 1
	.set _ZN2at6native12_GLOBAL__N_125multi_tensor_apply_kernelINS1_18TensorListMetadataILi2EEENS1_21BinaryOpScalarFunctorIhLi2ELi1ELi1EEEJSt5minusIhEhEEEvT_T0_DpT1_.uses_flat_scratch, 0
	.set _ZN2at6native12_GLOBAL__N_125multi_tensor_apply_kernelINS1_18TensorListMetadataILi2EEENS1_21BinaryOpScalarFunctorIhLi2ELi1ELi1EEEJSt5minusIhEhEEEvT_T0_DpT1_.has_dyn_sized_stack, 0
	.set _ZN2at6native12_GLOBAL__N_125multi_tensor_apply_kernelINS1_18TensorListMetadataILi2EEENS1_21BinaryOpScalarFunctorIhLi2ELi1ELi1EEEJSt5minusIhEhEEEvT_T0_DpT1_.has_recursion, 0
	.set _ZN2at6native12_GLOBAL__N_125multi_tensor_apply_kernelINS1_18TensorListMetadataILi2EEENS1_21BinaryOpScalarFunctorIhLi2ELi1ELi1EEEJSt5minusIhEhEEEvT_T0_DpT1_.has_indirect_call, 0
	.section	.AMDGPU.csdata,"",@progbits
; Kernel info:
; codeLenInByte = 1632
; TotalNumSgprs: 27
; NumVgprs: 29
; ScratchSize: 0
; MemoryBound: 0
; FloatMode: 240
; IeeeMode: 1
; LDSByteSize: 0 bytes/workgroup (compile time only)
; SGPRBlocks: 0
; VGPRBlocks: 3
; NumSGPRsForWavesPerEU: 27
; NumVGPRsForWavesPerEU: 29
; Occupancy: 16
; WaveLimiterHint : 0
; COMPUTE_PGM_RSRC2:SCRATCH_EN: 0
; COMPUTE_PGM_RSRC2:USER_SGPR: 2
; COMPUTE_PGM_RSRC2:TRAP_HANDLER: 0
; COMPUTE_PGM_RSRC2:TGID_X_EN: 1
; COMPUTE_PGM_RSRC2:TGID_Y_EN: 0
; COMPUTE_PGM_RSRC2:TGID_Z_EN: 0
; COMPUTE_PGM_RSRC2:TIDIG_COMP_CNT: 0
	.section	.text._ZN2at6native12_GLOBAL__N_125multi_tensor_apply_kernelINS1_18TensorListMetadataILi2EEENS1_21BinaryOpScalarFunctorIaLi2ELi1ELi1EEEJSt5minusIaEaEEEvT_T0_DpT1_,"axG",@progbits,_ZN2at6native12_GLOBAL__N_125multi_tensor_apply_kernelINS1_18TensorListMetadataILi2EEENS1_21BinaryOpScalarFunctorIaLi2ELi1ELi1EEEJSt5minusIaEaEEEvT_T0_DpT1_,comdat
	.globl	_ZN2at6native12_GLOBAL__N_125multi_tensor_apply_kernelINS1_18TensorListMetadataILi2EEENS1_21BinaryOpScalarFunctorIaLi2ELi1ELi1EEEJSt5minusIaEaEEEvT_T0_DpT1_ ; -- Begin function _ZN2at6native12_GLOBAL__N_125multi_tensor_apply_kernelINS1_18TensorListMetadataILi2EEENS1_21BinaryOpScalarFunctorIaLi2ELi1ELi1EEEJSt5minusIaEaEEEvT_T0_DpT1_
	.p2align	8
	.type	_ZN2at6native12_GLOBAL__N_125multi_tensor_apply_kernelINS1_18TensorListMetadataILi2EEENS1_21BinaryOpScalarFunctorIaLi2ELi1ELi1EEEJSt5minusIaEaEEEvT_T0_DpT1_,@function
_ZN2at6native12_GLOBAL__N_125multi_tensor_apply_kernelINS1_18TensorListMetadataILi2EEENS1_21BinaryOpScalarFunctorIaLi2ELi1ELi1EEEJSt5minusIaEaEEEvT_T0_DpT1_: ; @_ZN2at6native12_GLOBAL__N_125multi_tensor_apply_kernelINS1_18TensorListMetadataILi2EEENS1_21BinaryOpScalarFunctorIaLi2ELi1ELi1EEEJSt5minusIaEaEEEvT_T0_DpT1_
; %bb.0:
	s_load_u8 s6, s[0:1], ttmp9 offset:0x600
	s_mov_b32 s2, ttmp9
	s_mov_b32 s3, 0
	s_delay_alu instid0(SALU_CYCLE_1) | instskip(SKIP_1) | instid1(SALU_CYCLE_1)
	s_mul_u64 s[4:5], s[2:3], 3
	s_add_nc_u64 s[2:3], s[0:1], s[2:3]
	s_add_nc_u64 s[2:3], s[2:3], s[4:5]
	s_load_b32 s2, s[2:3], 0x740
	s_wait_kmcnt 0x0
	s_lshl_b32 s3, s6, 3
	s_clause 0x3
	s_load_b64 s[4:5], s[0:1], s3 offset:0x400
	s_load_b64 s[6:7], s[0:1], s3 offset:0x0
	;; [unrolled: 1-line block ×3, first 2 shown]
	s_load_b32 s22, s[0:1], 0xc48
	s_ashr_i32 s3, s2, 31
	s_delay_alu instid0(SALU_CYCLE_1) | instskip(SKIP_4) | instid1(SALU_CYCLE_1)
	s_lshl_b64 s[10:11], s[2:3], 16
	s_wait_kmcnt 0x0
	s_sub_nc_u64 s[12:13], s[4:5], s[10:11]
	s_add_nc_u64 s[2:3], s[6:7], s[10:11]
	s_or_b32 s3, s4, s8
	s_or_b32 s2, s3, s2
	s_delay_alu instid0(SALU_CYCLE_1) | instskip(NEXT) | instid1(SALU_CYCLE_1)
	s_and_b32 s2, s2, 3
	s_cmp_eq_u32 s2, 0
	s_mov_b32 s2, -1
	s_cbranch_scc1 .LBB96_21
; %bb.1:
	v_cmp_lt_i64_e64 s2, s[12:13], 1
	s_and_b32 vcc_lo, exec_lo, s2
	s_cbranch_vccnz .LBB96_20
; %bb.2:
	s_load_b32 s2, s[0:1], 0xc5c
	v_cmp_gt_i64_e64 s4, 0x10000, s[12:13]
	v_cmp_gt_u64_e64 s16, 0x10000, s[12:13]
	s_mov_b32 s3, 0
	v_add_co_u32 v15, s5, s10, v0
	s_delay_alu instid0(VALU_DEP_1)
	v_add_co_ci_u32_e64 v16, null, s11, 0, s5
	s_and_b32 s4, s4, exec_lo
	s_cselect_b32 s15, s13, 0
	s_cselect_b32 s14, s12, 0x10000
	s_mov_b32 s5, s3
	v_add_co_u32 v1, vcc_lo, s6, v15
	s_delay_alu instid0(VALU_DEP_1)
	v_add_co_ci_u32_e64 v2, null, s7, v16, vcc_lo
	v_add_co_u32 v3, vcc_lo, s8, v15
	s_wait_alu 0xfffd
	v_add_co_ci_u32_e64 v4, null, s9, v16, vcc_lo
	s_wait_kmcnt 0x0
	s_and_b32 s19, s2, 0xffff
	s_and_b32 s2, s16, exec_lo
	s_mul_i32 s4, s19, 3
	s_cselect_b32 s17, s13, 0
	s_wait_alu 0xfffe
	s_add_nc_u64 s[20:21], s[10:11], s[4:5]
	s_cselect_b32 s16, s12, 0x10000
	s_lshl_b32 s2, s19, 1
	v_add_co_u32 v7, s5, s20, v0
	s_wait_alu 0xf1ff
	v_add_co_ci_u32_e64 v8, null, s21, 0, s5
	s_add_nc_u64 s[20:21], s[10:11], s[2:3]
	v_add_co_u32 v5, vcc_lo, s6, v7
	s_wait_alu 0xfffe
	v_add_co_u32 v13, s5, s20, v0
	s_wait_alu 0xf1ff
	v_add_co_ci_u32_e64 v14, null, s21, 0, s5
	s_wait_alu 0xfffd
	v_add_co_ci_u32_e64 v6, null, s7, v8, vcc_lo
	v_add_co_u32 v7, vcc_lo, s8, v7
	s_wait_alu 0xfffd
	v_add_co_ci_u32_e64 v8, null, s9, v8, vcc_lo
	v_add_co_u32 v11, vcc_lo, s6, v13
	;; [unrolled: 3-line block ×4, first 2 shown]
	s_wait_alu 0xfffd
	v_add_co_ci_u32_e64 v20, null, 0, v16, vcc_lo
	v_add_co_u32 v15, s2, s2, v0
	s_delay_alu instid0(VALU_DEP_3)
	v_add_co_u32 v17, vcc_lo, s6, v19
	v_add_co_u32 v9, s4, s4, v0
	s_wait_alu 0xf1ff
	v_add_co_ci_u32_e64 v16, null, 0, 0, s2
	s_wait_alu 0xfffd
	v_add_co_ci_u32_e64 v18, null, s7, v20, vcc_lo
	v_add_co_u32 v19, vcc_lo, s8, v19
	v_add_co_u32 v21, s2, v0, s19
	v_add_co_ci_u32_e64 v10, null, 0, 0, s4
	s_wait_alu 0xfffd
	v_add_co_ci_u32_e64 v20, null, s9, v20, vcc_lo
	s_wait_alu 0xf1ff
	v_add_co_ci_u32_e64 v22, null, 0, 0, s2
	s_lshl_b32 s18, s19, 2
	s_mov_b32 s19, s3
	s_mov_b64 s[20:21], 0
	s_lshr_b32 s23, s22, 16
	s_branch .LBB96_4
.LBB96_3:                               ;   in Loop: Header=BB96_4 Depth=1
	s_wait_alu 0xfffe
	s_or_b32 exec_lo, exec_lo, s2
	s_add_nc_u64 s[20:21], s[20:21], s[18:19]
	s_wait_alu 0xfffe
	v_cmp_lt_i64_e64 s2, s[20:21], s[14:15]
	s_and_b32 vcc_lo, exec_lo, s2
	s_wait_alu 0xfffe
	s_cbranch_vccz .LBB96_20
.LBB96_4:                               ; =>This Inner Loop Header: Depth=1
	s_wait_loadcnt 0x0
	s_wait_alu 0xfffe
	v_add_co_u32 v23, s2, v0, s20
	s_wait_alu 0xf1ff
	v_add_co_ci_u32_e64 v24, null, 0, s21, s2
	s_delay_alu instid0(VALU_DEP_1)
	v_cmp_gt_u64_e32 vcc_lo, s[16:17], v[23:24]
	v_mov_b32_e32 v24, 0
	s_and_saveexec_b32 s3, vcc_lo
	s_cbranch_execz .LBB96_6
; %bb.5:                                ;   in Loop: Header=BB96_4 Depth=1
	v_add_co_u32 v23, s2, v1, s20
	s_wait_alu 0xf1ff
	v_add_co_ci_u32_e64 v24, null, s21, v2, s2
	global_load_u8 v24, v[23:24], off
.LBB96_6:                               ;   in Loop: Header=BB96_4 Depth=1
	s_wait_alu 0xfffe
	s_or_b32 exec_lo, exec_lo, s3
	v_add_co_u32 v25, s2, v21, s20
	s_wait_alu 0xf1ff
	v_add_co_ci_u32_e64 v26, null, s21, v22, s2
	v_mov_b32_e32 v23, 0
	s_delay_alu instid0(VALU_DEP_2)
	v_cmp_gt_u64_e64 s2, s[16:17], v[25:26]
	v_mov_b32_e32 v25, 0
	s_and_saveexec_b32 s4, s2
	s_cbranch_execz .LBB96_8
; %bb.7:                                ;   in Loop: Header=BB96_4 Depth=1
	v_add_co_u32 v25, s3, v17, s20
	s_wait_alu 0xf1ff
	v_add_co_ci_u32_e64 v26, null, s21, v18, s3
	global_load_u8 v25, v[25:26], off
.LBB96_8:                               ;   in Loop: Header=BB96_4 Depth=1
	s_wait_alu 0xfffe
	s_or_b32 exec_lo, exec_lo, s4
	v_add_co_u32 v26, s3, v15, s20
	s_wait_alu 0xf1ff
	v_add_co_ci_u32_e64 v27, null, s21, v16, s3
	s_delay_alu instid0(VALU_DEP_1)
	v_cmp_gt_u64_e64 s3, s[16:17], v[26:27]
	s_and_saveexec_b32 s5, s3
	s_cbranch_execz .LBB96_10
; %bb.9:                                ;   in Loop: Header=BB96_4 Depth=1
	v_add_co_u32 v26, s4, v11, s20
	s_wait_alu 0xf1ff
	v_add_co_ci_u32_e64 v27, null, s21, v12, s4
	global_load_u8 v23, v[26:27], off
.LBB96_10:                              ;   in Loop: Header=BB96_4 Depth=1
	s_wait_alu 0xfffe
	s_or_b32 exec_lo, exec_lo, s5
	v_add_co_u32 v26, s4, v9, s20
	s_wait_alu 0xf1ff
	v_add_co_ci_u32_e64 v27, null, s21, v10, s4
	s_delay_alu instid0(VALU_DEP_1)
	v_cmp_gt_u64_e64 s4, s[16:17], v[26:27]
	v_mov_b32_e32 v26, 0
	s_and_saveexec_b32 s24, s4
	s_cbranch_execnz .LBB96_15
; %bb.11:                               ;   in Loop: Header=BB96_4 Depth=1
	s_or_b32 exec_lo, exec_lo, s24
	s_and_saveexec_b32 s5, vcc_lo
	s_cbranch_execnz .LBB96_16
.LBB96_12:                              ;   in Loop: Header=BB96_4 Depth=1
	s_wait_alu 0xfffe
	s_or_b32 exec_lo, exec_lo, s5
	s_and_saveexec_b32 s5, s2
	s_cbranch_execnz .LBB96_17
.LBB96_13:                              ;   in Loop: Header=BB96_4 Depth=1
	s_wait_alu 0xfffe
	s_or_b32 exec_lo, exec_lo, s5
	s_and_saveexec_b32 s2, s3
	s_cbranch_execnz .LBB96_18
.LBB96_14:                              ;   in Loop: Header=BB96_4 Depth=1
	s_wait_alu 0xfffe
	s_or_b32 exec_lo, exec_lo, s2
	s_and_saveexec_b32 s2, s4
	s_cbranch_execz .LBB96_3
	s_branch .LBB96_19
.LBB96_15:                              ;   in Loop: Header=BB96_4 Depth=1
	v_add_co_u32 v26, s5, v5, s20
	s_wait_alu 0xf1ff
	v_add_co_ci_u32_e64 v27, null, s21, v6, s5
	global_load_u8 v26, v[26:27], off
	s_or_b32 exec_lo, exec_lo, s24
	s_and_saveexec_b32 s5, vcc_lo
	s_cbranch_execz .LBB96_12
.LBB96_16:                              ;   in Loop: Header=BB96_4 Depth=1
	v_add_co_u32 v27, vcc_lo, v3, s20
	s_wait_loadcnt 0x0
	v_sub_nc_u16 v24, v24, s23
	s_wait_alu 0xfffd
	v_add_co_ci_u32_e64 v28, null, s21, v4, vcc_lo
	global_store_b8 v[27:28], v24, off
	s_wait_alu 0xfffe
	s_or_b32 exec_lo, exec_lo, s5
	s_and_saveexec_b32 s5, s2
	s_cbranch_execz .LBB96_13
.LBB96_17:                              ;   in Loop: Header=BB96_4 Depth=1
	s_wait_loadcnt 0x0
	v_add_co_u32 v24, vcc_lo, v19, s20
	v_sub_nc_u16 v27, v25, s23
	s_wait_alu 0xfffd
	v_add_co_ci_u32_e64 v25, null, s21, v20, vcc_lo
	global_store_b8 v[24:25], v27, off
	s_wait_alu 0xfffe
	s_or_b32 exec_lo, exec_lo, s5
	s_and_saveexec_b32 s2, s3
	s_cbranch_execz .LBB96_14
.LBB96_18:                              ;   in Loop: Header=BB96_4 Depth=1
	s_wait_loadcnt 0x0
	v_sub_nc_u16 v25, v23, s23
	v_add_co_u32 v23, vcc_lo, v13, s20
	s_wait_alu 0xfffd
	v_add_co_ci_u32_e64 v24, null, s21, v14, vcc_lo
	global_store_b8 v[23:24], v25, off
	s_wait_alu 0xfffe
	s_or_b32 exec_lo, exec_lo, s2
	s_and_saveexec_b32 s2, s4
	s_cbranch_execz .LBB96_3
.LBB96_19:                              ;   in Loop: Header=BB96_4 Depth=1
	s_wait_loadcnt 0x0
	v_add_co_u32 v23, vcc_lo, v7, s20
	v_sub_nc_u16 v25, v26, s23
	s_wait_alu 0xfffd
	v_add_co_ci_u32_e64 v24, null, s21, v8, vcc_lo
	global_store_b8 v[23:24], v25, off
	s_branch .LBB96_3
.LBB96_20:
	s_mov_b32 s2, 0
.LBB96_21:
	s_wait_alu 0xfffe
	s_and_not1_b32 vcc_lo, exec_lo, s2
	s_wait_alu 0xfffe
	s_cbranch_vccnz .LBB96_25
; %bb.22:
	v_cmp_gt_i64_e64 s2, 0x10000, s[12:13]
	v_dual_mov_b32 v3, 0 :: v_dual_lshlrev_b32 v2, 2, v0
	s_mov_b32 s4, 0
	s_mov_b32 s5, exec_lo
	s_and_b32 s2, s2, exec_lo
	s_cselect_b32 s3, s13, 0
	s_cselect_b32 s2, s12, 0x10000
	s_wait_alu 0xfffe
	v_cmpx_gt_i64_e64 s[2:3], v[2:3]
	s_cbranch_execz .LBB96_25
; %bb.23:
	s_load_b32 s0, s[0:1], 0xc5c
	v_add_co_u32 v2, s1, s10, v2
	v_mov_b32_e32 v1, v3
	v_add_co_ci_u32_e64 v3, null, s11, 0, s1
	s_lshr_b32 s10, s22, 16
	s_wait_kmcnt 0x0
	s_and_b32 s1, s0, 0xffff
	s_wait_alu 0xfffe
	s_lshl_b32 s5, s1, 2
.LBB96_24:                              ; =>This Inner Loop Header: Depth=1
	v_add_co_u32 v4, vcc_lo, s6, v2
	s_wait_alu 0xfffd
	v_add_co_ci_u32_e64 v5, null, s7, v3, vcc_lo
	v_add_co_u32 v0, vcc_lo, v0, s1
	s_wait_alu 0xfffd
	v_add_co_ci_u32_e64 v1, null, 0, v1, vcc_lo
	global_load_b32 v4, v[4:5], off
	s_wait_loadcnt 0x0
	v_lshrrev_b32_e32 v5, 8, v4
	v_lshrrev_b32_e32 v6, 24, v4
	v_lshrrev_b32_e32 v7, 16, v4
	v_sub_nc_u16 v4, v4, s10
	s_delay_alu instid0(VALU_DEP_4) | instskip(NEXT) | instid1(VALU_DEP_4)
	v_sub_nc_u16 v5, v5, s10
	v_sub_nc_u16 v6, v6, s10
	s_delay_alu instid0(VALU_DEP_4) | instskip(NEXT) | instid1(VALU_DEP_4)
	v_sub_nc_u16 v7, v7, s10
	v_and_b32_e32 v8, 0xff, v4
	v_add_co_u32 v4, vcc_lo, s8, v2
	v_lshlrev_b16 v5, 8, v5
	v_lshlrev_b16 v9, 8, v6
	v_and_b32_e32 v10, 0xff, v7
	v_lshlrev_b64_e32 v[6:7], 2, v[0:1]
	s_wait_alu 0xfffe
	v_add_co_u32 v2, s0, v2, s5
	v_or_b32_e32 v8, v8, v5
	v_or_b32_e32 v9, v10, v9
	s_wait_alu 0xfffd
	v_add_co_ci_u32_e64 v5, null, s9, v3, vcc_lo
	v_cmp_le_i64_e32 vcc_lo, s[2:3], v[6:7]
	v_and_b32_e32 v8, 0xffff, v8
	v_lshlrev_b32_e32 v9, 16, v9
	s_wait_alu 0xf1ff
	v_add_co_ci_u32_e64 v3, null, 0, v3, s0
	s_or_b32 s4, vcc_lo, s4
	v_or_b32_e32 v6, v8, v9
	global_store_b32 v[4:5], v6, off
	s_wait_alu 0xfffe
	s_and_not1_b32 exec_lo, exec_lo, s4
	s_cbranch_execnz .LBB96_24
.LBB96_25:
	s_endpgm
	.section	.rodata,"a",@progbits
	.p2align	6, 0x0
	.amdhsa_kernel _ZN2at6native12_GLOBAL__N_125multi_tensor_apply_kernelINS1_18TensorListMetadataILi2EEENS1_21BinaryOpScalarFunctorIaLi2ELi1ELi1EEEJSt5minusIaEaEEEvT_T0_DpT1_
		.amdhsa_group_segment_fixed_size 0
		.amdhsa_private_segment_fixed_size 0
		.amdhsa_kernarg_size 3408
		.amdhsa_user_sgpr_count 2
		.amdhsa_user_sgpr_dispatch_ptr 0
		.amdhsa_user_sgpr_queue_ptr 0
		.amdhsa_user_sgpr_kernarg_segment_ptr 1
		.amdhsa_user_sgpr_dispatch_id 0
		.amdhsa_user_sgpr_private_segment_size 0
		.amdhsa_wavefront_size32 1
		.amdhsa_uses_dynamic_stack 0
		.amdhsa_enable_private_segment 0
		.amdhsa_system_sgpr_workgroup_id_x 1
		.amdhsa_system_sgpr_workgroup_id_y 0
		.amdhsa_system_sgpr_workgroup_id_z 0
		.amdhsa_system_sgpr_workgroup_info 0
		.amdhsa_system_vgpr_workitem_id 0
		.amdhsa_next_free_vgpr 29
		.amdhsa_next_free_sgpr 25
		.amdhsa_reserve_vcc 1
		.amdhsa_float_round_mode_32 0
		.amdhsa_float_round_mode_16_64 0
		.amdhsa_float_denorm_mode_32 3
		.amdhsa_float_denorm_mode_16_64 3
		.amdhsa_fp16_overflow 0
		.amdhsa_workgroup_processor_mode 1
		.amdhsa_memory_ordered 1
		.amdhsa_forward_progress 1
		.amdhsa_inst_pref_size 13
		.amdhsa_round_robin_scheduling 0
		.amdhsa_exception_fp_ieee_invalid_op 0
		.amdhsa_exception_fp_denorm_src 0
		.amdhsa_exception_fp_ieee_div_zero 0
		.amdhsa_exception_fp_ieee_overflow 0
		.amdhsa_exception_fp_ieee_underflow 0
		.amdhsa_exception_fp_ieee_inexact 0
		.amdhsa_exception_int_div_zero 0
	.end_amdhsa_kernel
	.section	.text._ZN2at6native12_GLOBAL__N_125multi_tensor_apply_kernelINS1_18TensorListMetadataILi2EEENS1_21BinaryOpScalarFunctorIaLi2ELi1ELi1EEEJSt5minusIaEaEEEvT_T0_DpT1_,"axG",@progbits,_ZN2at6native12_GLOBAL__N_125multi_tensor_apply_kernelINS1_18TensorListMetadataILi2EEENS1_21BinaryOpScalarFunctorIaLi2ELi1ELi1EEEJSt5minusIaEaEEEvT_T0_DpT1_,comdat
.Lfunc_end96:
	.size	_ZN2at6native12_GLOBAL__N_125multi_tensor_apply_kernelINS1_18TensorListMetadataILi2EEENS1_21BinaryOpScalarFunctorIaLi2ELi1ELi1EEEJSt5minusIaEaEEEvT_T0_DpT1_, .Lfunc_end96-_ZN2at6native12_GLOBAL__N_125multi_tensor_apply_kernelINS1_18TensorListMetadataILi2EEENS1_21BinaryOpScalarFunctorIaLi2ELi1ELi1EEEJSt5minusIaEaEEEvT_T0_DpT1_
                                        ; -- End function
	.set _ZN2at6native12_GLOBAL__N_125multi_tensor_apply_kernelINS1_18TensorListMetadataILi2EEENS1_21BinaryOpScalarFunctorIaLi2ELi1ELi1EEEJSt5minusIaEaEEEvT_T0_DpT1_.num_vgpr, 29
	.set _ZN2at6native12_GLOBAL__N_125multi_tensor_apply_kernelINS1_18TensorListMetadataILi2EEENS1_21BinaryOpScalarFunctorIaLi2ELi1ELi1EEEJSt5minusIaEaEEEvT_T0_DpT1_.num_agpr, 0
	.set _ZN2at6native12_GLOBAL__N_125multi_tensor_apply_kernelINS1_18TensorListMetadataILi2EEENS1_21BinaryOpScalarFunctorIaLi2ELi1ELi1EEEJSt5minusIaEaEEEvT_T0_DpT1_.numbered_sgpr, 25
	.set _ZN2at6native12_GLOBAL__N_125multi_tensor_apply_kernelINS1_18TensorListMetadataILi2EEENS1_21BinaryOpScalarFunctorIaLi2ELi1ELi1EEEJSt5minusIaEaEEEvT_T0_DpT1_.num_named_barrier, 0
	.set _ZN2at6native12_GLOBAL__N_125multi_tensor_apply_kernelINS1_18TensorListMetadataILi2EEENS1_21BinaryOpScalarFunctorIaLi2ELi1ELi1EEEJSt5minusIaEaEEEvT_T0_DpT1_.private_seg_size, 0
	.set _ZN2at6native12_GLOBAL__N_125multi_tensor_apply_kernelINS1_18TensorListMetadataILi2EEENS1_21BinaryOpScalarFunctorIaLi2ELi1ELi1EEEJSt5minusIaEaEEEvT_T0_DpT1_.uses_vcc, 1
	.set _ZN2at6native12_GLOBAL__N_125multi_tensor_apply_kernelINS1_18TensorListMetadataILi2EEENS1_21BinaryOpScalarFunctorIaLi2ELi1ELi1EEEJSt5minusIaEaEEEvT_T0_DpT1_.uses_flat_scratch, 0
	.set _ZN2at6native12_GLOBAL__N_125multi_tensor_apply_kernelINS1_18TensorListMetadataILi2EEENS1_21BinaryOpScalarFunctorIaLi2ELi1ELi1EEEJSt5minusIaEaEEEvT_T0_DpT1_.has_dyn_sized_stack, 0
	.set _ZN2at6native12_GLOBAL__N_125multi_tensor_apply_kernelINS1_18TensorListMetadataILi2EEENS1_21BinaryOpScalarFunctorIaLi2ELi1ELi1EEEJSt5minusIaEaEEEvT_T0_DpT1_.has_recursion, 0
	.set _ZN2at6native12_GLOBAL__N_125multi_tensor_apply_kernelINS1_18TensorListMetadataILi2EEENS1_21BinaryOpScalarFunctorIaLi2ELi1ELi1EEEJSt5minusIaEaEEEvT_T0_DpT1_.has_indirect_call, 0
	.section	.AMDGPU.csdata,"",@progbits
; Kernel info:
; codeLenInByte = 1632
; TotalNumSgprs: 27
; NumVgprs: 29
; ScratchSize: 0
; MemoryBound: 0
; FloatMode: 240
; IeeeMode: 1
; LDSByteSize: 0 bytes/workgroup (compile time only)
; SGPRBlocks: 0
; VGPRBlocks: 3
; NumSGPRsForWavesPerEU: 27
; NumVGPRsForWavesPerEU: 29
; Occupancy: 16
; WaveLimiterHint : 0
; COMPUTE_PGM_RSRC2:SCRATCH_EN: 0
; COMPUTE_PGM_RSRC2:USER_SGPR: 2
; COMPUTE_PGM_RSRC2:TRAP_HANDLER: 0
; COMPUTE_PGM_RSRC2:TGID_X_EN: 1
; COMPUTE_PGM_RSRC2:TGID_Y_EN: 0
; COMPUTE_PGM_RSRC2:TGID_Z_EN: 0
; COMPUTE_PGM_RSRC2:TIDIG_COMP_CNT: 0
	.section	.text._ZN2at6native12_GLOBAL__N_125multi_tensor_apply_kernelINS1_18TensorListMetadataILi2EEENS1_21BinaryOpScalarFunctorIiLi2ELi1ELi1EEEJSt5minusIiEiEEEvT_T0_DpT1_,"axG",@progbits,_ZN2at6native12_GLOBAL__N_125multi_tensor_apply_kernelINS1_18TensorListMetadataILi2EEENS1_21BinaryOpScalarFunctorIiLi2ELi1ELi1EEEJSt5minusIiEiEEEvT_T0_DpT1_,comdat
	.globl	_ZN2at6native12_GLOBAL__N_125multi_tensor_apply_kernelINS1_18TensorListMetadataILi2EEENS1_21BinaryOpScalarFunctorIiLi2ELi1ELi1EEEJSt5minusIiEiEEEvT_T0_DpT1_ ; -- Begin function _ZN2at6native12_GLOBAL__N_125multi_tensor_apply_kernelINS1_18TensorListMetadataILi2EEENS1_21BinaryOpScalarFunctorIiLi2ELi1ELi1EEEJSt5minusIiEiEEEvT_T0_DpT1_
	.p2align	8
	.type	_ZN2at6native12_GLOBAL__N_125multi_tensor_apply_kernelINS1_18TensorListMetadataILi2EEENS1_21BinaryOpScalarFunctorIiLi2ELi1ELi1EEEJSt5minusIiEiEEEvT_T0_DpT1_,@function
_ZN2at6native12_GLOBAL__N_125multi_tensor_apply_kernelINS1_18TensorListMetadataILi2EEENS1_21BinaryOpScalarFunctorIiLi2ELi1ELi1EEEJSt5minusIiEiEEEvT_T0_DpT1_: ; @_ZN2at6native12_GLOBAL__N_125multi_tensor_apply_kernelINS1_18TensorListMetadataILi2EEENS1_21BinaryOpScalarFunctorIiLi2ELi1ELi1EEEJSt5minusIiEiEEEvT_T0_DpT1_
; %bb.0:
	s_load_u8 s8, s[0:1], ttmp9 offset:0x600
	s_mov_b32 s2, ttmp9
	s_mov_b32 s3, 0
	s_delay_alu instid0(SALU_CYCLE_1)
	s_mul_u64 s[4:5], s[2:3], 3
	s_add_nc_u64 s[6:7], s[0:1], s[2:3]
	s_mov_b32 s15, s3
	s_add_nc_u64 s[4:5], s[6:7], s[4:5]
	s_mov_b32 s17, s3
	s_load_b32 s4, s[4:5], 0x740
	s_wait_kmcnt 0x0
	s_lshl_b32 s2, s8, 3
	s_clause 0x3
	s_load_b64 s[6:7], s[0:1], s2 offset:0x0
	s_load_b64 s[8:9], s[0:1], s2 offset:0x200
	s_load_b64 s[12:13], s[0:1], s2 offset:0x400
	s_load_b32 s22, s[0:1], 0xc4c
	s_ashr_i32 s5, s4, 31
	s_delay_alu instid0(SALU_CYCLE_1)
	s_lshl_b64 s[10:11], s[4:5], 18
	s_lshl_b64 s[4:5], s[4:5], 16
	s_wait_kmcnt 0x0
	s_add_nc_u64 s[18:19], s[6:7], s[10:11]
	s_and_b32 s14, s8, 15
	s_and_b32 s16, s12, 3
	;; [unrolled: 1-line block ×3, first 2 shown]
	s_or_b64 s[14:15], s[14:15], s[16:17]
	s_sub_nc_u64 s[12:13], s[12:13], s[4:5]
	s_or_b64 s[2:3], s[14:15], s[2:3]
	s_delay_alu instid0(SALU_CYCLE_1)
	s_cmp_eq_u64 s[2:3], 0
	s_mov_b32 s2, -1
	s_cbranch_scc1 .LBB97_21
; %bb.1:
	v_cmp_lt_i64_e64 s2, s[12:13], 1
	s_and_b32 vcc_lo, exec_lo, s2
	s_cbranch_vccnz .LBB97_20
; %bb.2:
	s_load_b32 s2, s[0:1], 0xc5c
	v_cmp_gt_i64_e64 s3, 0x10000, s[12:13]
	v_dual_mov_b32 v10, 0 :: v_dual_lshlrev_b32 v9, 2, v0
	v_cmp_gt_u64_e64 s4, 0x10000, s[12:13]
	s_mov_b32 s15, 0
	s_mov_b64 s[20:21], 0
	s_and_b32 s3, s3, exec_lo
	v_add_co_u32 v3, s3, s8, v9
	v_add_co_u32 v1, s5, s6, v9
	s_cselect_b32 s17, s13, 0
	s_cselect_b32 s16, s12, 0x10000
	v_add_co_ci_u32_e64 v4, null, s9, 0, s3
	v_add_co_ci_u32_e64 v2, null, s7, 0, s5
	s_wait_kmcnt 0x0
	s_and_b32 s2, s2, 0xffff
	s_and_b32 s3, s4, exec_lo
	s_cselect_b32 s19, s13, 0
	s_cselect_b32 s18, s12, 0x10000
	s_wait_alu 0xfffe
	s_mul_i32 s4, s2, 3
	s_lshl_b32 s5, s2, 3
	v_mad_co_u64_u32 v[7:8], null, s2, 12, v[9:10]
	s_wait_alu 0xfffe
	v_add_co_u32 v14, s5, s5, v9
	v_add_co_u32 v9, s4, s4, v0
	s_wait_alu 0xf1ff
	v_add_co_ci_u32_e64 v10, null, 0, 0, s4
	v_add_co_u32 v13, s4, v0, s2
	s_lshl_b32 s3, s2, 1
	v_add_co_u32 v5, vcc_lo, s6, v7
	v_lshlrev_b32_e32 v21, 2, v13
	v_add_co_ci_u32_e64 v15, null, 0, 0, s5
	v_add_co_ci_u32_e64 v6, null, s7, v8, vcc_lo
	v_add_co_u32 v7, vcc_lo, s8, v7
	s_wait_alu 0xfffe
	v_add_co_u32 v17, s3, s3, v0
	s_wait_alu 0xfffd
	v_add_co_ci_u32_e64 v8, null, s9, v8, vcc_lo
	v_add_co_u32 v11, vcc_lo, s6, v14
	s_wait_alu 0xf1ff
	v_add_co_ci_u32_e64 v18, null, 0, 0, s3
	v_add_co_u32 v19, s3, s6, v21
	s_wait_alu 0xfffd
	v_add_co_ci_u32_e64 v12, null, s7, v15, vcc_lo
	v_add_co_u32 v14, vcc_lo, s8, v14
	s_wait_alu 0xf1ff
	v_add_co_ci_u32_e64 v20, null, s7, 0, s3
	v_add_co_u32 v21, s3, s8, v21
	s_wait_alu 0xfffd
	v_add_co_ci_u32_e64 v15, null, s9, v15, vcc_lo
	v_add_co_ci_u32_e64 v16, null, 0, 0, s4
	s_wait_alu 0xf1ff
	v_add_co_ci_u32_e64 v22, null, s9, 0, s3
	s_lshl_b32 s14, s2, 2
	s_lshl_b32 s23, s2, 4
	s_branch .LBB97_4
.LBB97_3:                               ;   in Loop: Header=BB97_4 Depth=1
	s_wait_alu 0xfffe
	s_or_b32 exec_lo, exec_lo, s2
	v_add_co_u32 v1, vcc_lo, v1, s23
	s_wait_alu 0xfffd
	v_add_co_ci_u32_e64 v2, null, 0, v2, vcc_lo
	v_add_co_u32 v3, vcc_lo, v3, s23
	s_wait_alu 0xfffd
	v_add_co_ci_u32_e64 v4, null, 0, v4, vcc_lo
	;; [unrolled: 3-line block ×5, first 2 shown]
	v_add_co_u32 v14, vcc_lo, v14, s23
	s_add_nc_u64 s[20:21], s[20:21], s[14:15]
	s_wait_alu 0xfffd
	v_add_co_ci_u32_e64 v15, null, 0, v15, vcc_lo
	v_add_co_u32 v19, vcc_lo, v19, s23
	s_wait_alu 0xfffe
	v_cmp_lt_i64_e64 s2, s[20:21], s[16:17]
	s_wait_alu 0xfffd
	v_add_co_ci_u32_e64 v20, null, 0, v20, vcc_lo
	v_add_co_u32 v21, vcc_lo, v21, s23
	s_wait_alu 0xfffd
	v_add_co_ci_u32_e64 v22, null, 0, v22, vcc_lo
	s_and_b32 vcc_lo, exec_lo, s2
	s_wait_alu 0xfffe
	s_cbranch_vccz .LBB97_20
.LBB97_4:                               ; =>This Inner Loop Header: Depth=1
	s_wait_loadcnt 0x0
	v_add_co_u32 v23, s2, v0, s20
	s_wait_alu 0xf1ff
	v_add_co_ci_u32_e64 v24, null, 0, s21, s2
	s_delay_alu instid0(VALU_DEP_1)
	v_cmp_gt_u64_e32 vcc_lo, s[18:19], v[23:24]
	v_mov_b32_e32 v24, 0
	s_and_saveexec_b32 s3, vcc_lo
	s_cbranch_execz .LBB97_6
; %bb.5:                                ;   in Loop: Header=BB97_4 Depth=1
	v_add_co_u32 v23, s2, v1, s10
	s_wait_alu 0xf1ff
	v_add_co_ci_u32_e64 v24, null, s11, v2, s2
	global_load_b32 v24, v[23:24], off
.LBB97_6:                               ;   in Loop: Header=BB97_4 Depth=1
	s_wait_alu 0xfffe
	s_or_b32 exec_lo, exec_lo, s3
	v_add_co_u32 v25, s2, v13, s20
	s_wait_alu 0xf1ff
	v_add_co_ci_u32_e64 v26, null, s21, v16, s2
	v_mov_b32_e32 v23, 0
	s_delay_alu instid0(VALU_DEP_2)
	v_cmp_gt_u64_e64 s2, s[18:19], v[25:26]
	v_mov_b32_e32 v25, 0
	s_and_saveexec_b32 s4, s2
	s_cbranch_execz .LBB97_8
; %bb.7:                                ;   in Loop: Header=BB97_4 Depth=1
	v_add_co_u32 v25, s3, v19, s10
	s_wait_alu 0xf1ff
	v_add_co_ci_u32_e64 v26, null, s11, v20, s3
	global_load_b32 v25, v[25:26], off
.LBB97_8:                               ;   in Loop: Header=BB97_4 Depth=1
	s_wait_alu 0xfffe
	s_or_b32 exec_lo, exec_lo, s4
	v_add_co_u32 v26, s3, v17, s20
	s_wait_alu 0xf1ff
	v_add_co_ci_u32_e64 v27, null, s21, v18, s3
	s_delay_alu instid0(VALU_DEP_1)
	v_cmp_gt_u64_e64 s3, s[18:19], v[26:27]
	s_and_saveexec_b32 s5, s3
	s_cbranch_execz .LBB97_10
; %bb.9:                                ;   in Loop: Header=BB97_4 Depth=1
	v_add_co_u32 v26, s4, v11, s10
	s_wait_alu 0xf1ff
	v_add_co_ci_u32_e64 v27, null, s11, v12, s4
	global_load_b32 v23, v[26:27], off
.LBB97_10:                              ;   in Loop: Header=BB97_4 Depth=1
	s_wait_alu 0xfffe
	s_or_b32 exec_lo, exec_lo, s5
	v_add_co_u32 v26, s4, v9, s20
	s_wait_alu 0xf1ff
	v_add_co_ci_u32_e64 v27, null, s21, v10, s4
	s_delay_alu instid0(VALU_DEP_1)
	v_cmp_gt_u64_e64 s4, s[18:19], v[26:27]
	v_mov_b32_e32 v26, 0
	s_and_saveexec_b32 s24, s4
	s_cbranch_execnz .LBB97_15
; %bb.11:                               ;   in Loop: Header=BB97_4 Depth=1
	s_or_b32 exec_lo, exec_lo, s24
	s_and_saveexec_b32 s5, vcc_lo
	s_cbranch_execnz .LBB97_16
.LBB97_12:                              ;   in Loop: Header=BB97_4 Depth=1
	s_wait_alu 0xfffe
	s_or_b32 exec_lo, exec_lo, s5
	s_and_saveexec_b32 s5, s2
	s_cbranch_execnz .LBB97_17
.LBB97_13:                              ;   in Loop: Header=BB97_4 Depth=1
	s_wait_alu 0xfffe
	s_or_b32 exec_lo, exec_lo, s5
	s_and_saveexec_b32 s2, s3
	s_cbranch_execnz .LBB97_18
.LBB97_14:                              ;   in Loop: Header=BB97_4 Depth=1
	s_wait_alu 0xfffe
	s_or_b32 exec_lo, exec_lo, s2
	s_and_saveexec_b32 s2, s4
	s_cbranch_execz .LBB97_3
	s_branch .LBB97_19
.LBB97_15:                              ;   in Loop: Header=BB97_4 Depth=1
	v_add_co_u32 v26, s5, v5, s10
	s_wait_alu 0xf1ff
	v_add_co_ci_u32_e64 v27, null, s11, v6, s5
	global_load_b32 v26, v[26:27], off
	s_or_b32 exec_lo, exec_lo, s24
	s_and_saveexec_b32 s5, vcc_lo
	s_cbranch_execz .LBB97_12
.LBB97_16:                              ;   in Loop: Header=BB97_4 Depth=1
	v_add_co_u32 v27, vcc_lo, v3, s10
	s_wait_loadcnt 0x0
	v_subrev_nc_u32_e32 v24, s22, v24
	s_wait_alu 0xfffd
	v_add_co_ci_u32_e64 v28, null, s11, v4, vcc_lo
	global_store_b32 v[27:28], v24, off
	s_wait_alu 0xfffe
	s_or_b32 exec_lo, exec_lo, s5
	s_and_saveexec_b32 s5, s2
	s_cbranch_execz .LBB97_13
.LBB97_17:                              ;   in Loop: Header=BB97_4 Depth=1
	s_wait_loadcnt 0x0
	v_add_co_u32 v24, vcc_lo, v21, s10
	v_subrev_nc_u32_e32 v27, s22, v25
	s_wait_alu 0xfffd
	v_add_co_ci_u32_e64 v25, null, s11, v22, vcc_lo
	global_store_b32 v[24:25], v27, off
	s_wait_alu 0xfffe
	s_or_b32 exec_lo, exec_lo, s5
	s_and_saveexec_b32 s2, s3
	s_cbranch_execz .LBB97_14
.LBB97_18:                              ;   in Loop: Header=BB97_4 Depth=1
	s_wait_loadcnt 0x0
	v_subrev_nc_u32_e32 v25, s22, v23
	v_add_co_u32 v23, vcc_lo, v14, s10
	s_wait_alu 0xfffd
	v_add_co_ci_u32_e64 v24, null, s11, v15, vcc_lo
	global_store_b32 v[23:24], v25, off
	s_wait_alu 0xfffe
	s_or_b32 exec_lo, exec_lo, s2
	s_and_saveexec_b32 s2, s4
	s_cbranch_execz .LBB97_3
.LBB97_19:                              ;   in Loop: Header=BB97_4 Depth=1
	s_wait_loadcnt 0x0
	v_add_co_u32 v23, vcc_lo, v7, s10
	v_subrev_nc_u32_e32 v25, s22, v26
	s_wait_alu 0xfffd
	v_add_co_ci_u32_e64 v24, null, s11, v8, vcc_lo
	global_store_b32 v[23:24], v25, off
	s_branch .LBB97_3
.LBB97_20:
	s_mov_b32 s2, 0
.LBB97_21:
	s_wait_alu 0xfffe
	s_and_not1_b32 vcc_lo, exec_lo, s2
	s_wait_alu 0xfffe
	s_cbranch_vccnz .LBB97_25
; %bb.22:
	v_cmp_gt_i64_e64 s2, 0x10000, s[12:13]
	v_dual_mov_b32 v2, 0 :: v_dual_lshlrev_b32 v1, 2, v0
	s_mov_b32 s4, 0
	s_mov_b32 s5, exec_lo
	s_and_b32 s2, s2, exec_lo
	s_cselect_b32 s3, s13, 0
	s_cselect_b32 s2, s12, 0x10000
	s_wait_alu 0xfffe
	v_cmpx_gt_i64_e64 s[2:3], v[1:2]
	s_cbranch_execz .LBB97_25
; %bb.23:
	s_load_b32 s0, s[0:1], 0xc5c
	v_lshlrev_b32_e32 v3, 4, v0
	v_mov_b32_e32 v1, v2
	s_delay_alu instid0(VALU_DEP_2) | instskip(NEXT) | instid1(VALU_DEP_1)
	v_add_co_u32 v2, s1, s10, v3
	v_add_co_ci_u32_e64 v3, null, s11, 0, s1
	s_wait_kmcnt 0x0
	s_and_b32 s1, s0, 0xffff
	s_wait_alu 0xfffe
	s_lshl_b32 s5, s1, 4
.LBB97_24:                              ; =>This Inner Loop Header: Depth=1
	v_add_co_u32 v4, vcc_lo, s6, v2
	s_wait_alu 0xfffd
	v_add_co_ci_u32_e64 v5, null, s7, v3, vcc_lo
	v_add_co_u32 v0, vcc_lo, v0, s1
	s_wait_alu 0xfffd
	v_add_co_ci_u32_e64 v1, null, 0, v1, vcc_lo
	global_load_b128 v[4:7], v[4:5], off
	v_add_co_u32 v8, vcc_lo, s8, v2
	v_lshlrev_b64_e32 v[10:11], 2, v[0:1]
	s_wait_alu 0xfffd
	v_add_co_ci_u32_e64 v9, null, s9, v3, vcc_lo
	s_wait_alu 0xfffe
	v_add_co_u32 v2, vcc_lo, v2, s5
	s_wait_alu 0xfffd
	v_add_co_ci_u32_e64 v3, null, 0, v3, vcc_lo
	v_cmp_le_i64_e64 s0, s[2:3], v[10:11]
	s_or_b32 s4, s0, s4
	s_wait_loadcnt 0x0
	v_subrev_nc_u32_e32 v4, s22, v4
	v_subrev_nc_u32_e32 v5, s22, v5
	v_subrev_nc_u32_e32 v6, s22, v6
	v_subrev_nc_u32_e32 v7, s22, v7
	global_store_b128 v[8:9], v[4:7], off
	s_wait_alu 0xfffe
	s_and_not1_b32 exec_lo, exec_lo, s4
	s_cbranch_execnz .LBB97_24
.LBB97_25:
	s_endpgm
	.section	.rodata,"a",@progbits
	.p2align	6, 0x0
	.amdhsa_kernel _ZN2at6native12_GLOBAL__N_125multi_tensor_apply_kernelINS1_18TensorListMetadataILi2EEENS1_21BinaryOpScalarFunctorIiLi2ELi1ELi1EEEJSt5minusIiEiEEEvT_T0_DpT1_
		.amdhsa_group_segment_fixed_size 0
		.amdhsa_private_segment_fixed_size 0
		.amdhsa_kernarg_size 3408
		.amdhsa_user_sgpr_count 2
		.amdhsa_user_sgpr_dispatch_ptr 0
		.amdhsa_user_sgpr_queue_ptr 0
		.amdhsa_user_sgpr_kernarg_segment_ptr 1
		.amdhsa_user_sgpr_dispatch_id 0
		.amdhsa_user_sgpr_private_segment_size 0
		.amdhsa_wavefront_size32 1
		.amdhsa_uses_dynamic_stack 0
		.amdhsa_enable_private_segment 0
		.amdhsa_system_sgpr_workgroup_id_x 1
		.amdhsa_system_sgpr_workgroup_id_y 0
		.amdhsa_system_sgpr_workgroup_id_z 0
		.amdhsa_system_sgpr_workgroup_info 0
		.amdhsa_system_vgpr_workitem_id 0
		.amdhsa_next_free_vgpr 29
		.amdhsa_next_free_sgpr 25
		.amdhsa_reserve_vcc 1
		.amdhsa_float_round_mode_32 0
		.amdhsa_float_round_mode_16_64 0
		.amdhsa_float_denorm_mode_32 3
		.amdhsa_float_denorm_mode_16_64 3
		.amdhsa_fp16_overflow 0
		.amdhsa_workgroup_processor_mode 1
		.amdhsa_memory_ordered 1
		.amdhsa_forward_progress 1
		.amdhsa_inst_pref_size 13
		.amdhsa_round_robin_scheduling 0
		.amdhsa_exception_fp_ieee_invalid_op 0
		.amdhsa_exception_fp_denorm_src 0
		.amdhsa_exception_fp_ieee_div_zero 0
		.amdhsa_exception_fp_ieee_overflow 0
		.amdhsa_exception_fp_ieee_underflow 0
		.amdhsa_exception_fp_ieee_inexact 0
		.amdhsa_exception_int_div_zero 0
	.end_amdhsa_kernel
	.section	.text._ZN2at6native12_GLOBAL__N_125multi_tensor_apply_kernelINS1_18TensorListMetadataILi2EEENS1_21BinaryOpScalarFunctorIiLi2ELi1ELi1EEEJSt5minusIiEiEEEvT_T0_DpT1_,"axG",@progbits,_ZN2at6native12_GLOBAL__N_125multi_tensor_apply_kernelINS1_18TensorListMetadataILi2EEENS1_21BinaryOpScalarFunctorIiLi2ELi1ELi1EEEJSt5minusIiEiEEEvT_T0_DpT1_,comdat
.Lfunc_end97:
	.size	_ZN2at6native12_GLOBAL__N_125multi_tensor_apply_kernelINS1_18TensorListMetadataILi2EEENS1_21BinaryOpScalarFunctorIiLi2ELi1ELi1EEEJSt5minusIiEiEEEvT_T0_DpT1_, .Lfunc_end97-_ZN2at6native12_GLOBAL__N_125multi_tensor_apply_kernelINS1_18TensorListMetadataILi2EEENS1_21BinaryOpScalarFunctorIiLi2ELi1ELi1EEEJSt5minusIiEiEEEvT_T0_DpT1_
                                        ; -- End function
	.set _ZN2at6native12_GLOBAL__N_125multi_tensor_apply_kernelINS1_18TensorListMetadataILi2EEENS1_21BinaryOpScalarFunctorIiLi2ELi1ELi1EEEJSt5minusIiEiEEEvT_T0_DpT1_.num_vgpr, 29
	.set _ZN2at6native12_GLOBAL__N_125multi_tensor_apply_kernelINS1_18TensorListMetadataILi2EEENS1_21BinaryOpScalarFunctorIiLi2ELi1ELi1EEEJSt5minusIiEiEEEvT_T0_DpT1_.num_agpr, 0
	.set _ZN2at6native12_GLOBAL__N_125multi_tensor_apply_kernelINS1_18TensorListMetadataILi2EEENS1_21BinaryOpScalarFunctorIiLi2ELi1ELi1EEEJSt5minusIiEiEEEvT_T0_DpT1_.numbered_sgpr, 25
	.set _ZN2at6native12_GLOBAL__N_125multi_tensor_apply_kernelINS1_18TensorListMetadataILi2EEENS1_21BinaryOpScalarFunctorIiLi2ELi1ELi1EEEJSt5minusIiEiEEEvT_T0_DpT1_.num_named_barrier, 0
	.set _ZN2at6native12_GLOBAL__N_125multi_tensor_apply_kernelINS1_18TensorListMetadataILi2EEENS1_21BinaryOpScalarFunctorIiLi2ELi1ELi1EEEJSt5minusIiEiEEEvT_T0_DpT1_.private_seg_size, 0
	.set _ZN2at6native12_GLOBAL__N_125multi_tensor_apply_kernelINS1_18TensorListMetadataILi2EEENS1_21BinaryOpScalarFunctorIiLi2ELi1ELi1EEEJSt5minusIiEiEEEvT_T0_DpT1_.uses_vcc, 1
	.set _ZN2at6native12_GLOBAL__N_125multi_tensor_apply_kernelINS1_18TensorListMetadataILi2EEENS1_21BinaryOpScalarFunctorIiLi2ELi1ELi1EEEJSt5minusIiEiEEEvT_T0_DpT1_.uses_flat_scratch, 0
	.set _ZN2at6native12_GLOBAL__N_125multi_tensor_apply_kernelINS1_18TensorListMetadataILi2EEENS1_21BinaryOpScalarFunctorIiLi2ELi1ELi1EEEJSt5minusIiEiEEEvT_T0_DpT1_.has_dyn_sized_stack, 0
	.set _ZN2at6native12_GLOBAL__N_125multi_tensor_apply_kernelINS1_18TensorListMetadataILi2EEENS1_21BinaryOpScalarFunctorIiLi2ELi1ELi1EEEJSt5minusIiEiEEEvT_T0_DpT1_.has_recursion, 0
	.set _ZN2at6native12_GLOBAL__N_125multi_tensor_apply_kernelINS1_18TensorListMetadataILi2EEENS1_21BinaryOpScalarFunctorIiLi2ELi1ELi1EEEJSt5minusIiEiEEEvT_T0_DpT1_.has_indirect_call, 0
	.section	.AMDGPU.csdata,"",@progbits
; Kernel info:
; codeLenInByte = 1640
; TotalNumSgprs: 27
; NumVgprs: 29
; ScratchSize: 0
; MemoryBound: 0
; FloatMode: 240
; IeeeMode: 1
; LDSByteSize: 0 bytes/workgroup (compile time only)
; SGPRBlocks: 0
; VGPRBlocks: 3
; NumSGPRsForWavesPerEU: 27
; NumVGPRsForWavesPerEU: 29
; Occupancy: 16
; WaveLimiterHint : 0
; COMPUTE_PGM_RSRC2:SCRATCH_EN: 0
; COMPUTE_PGM_RSRC2:USER_SGPR: 2
; COMPUTE_PGM_RSRC2:TRAP_HANDLER: 0
; COMPUTE_PGM_RSRC2:TGID_X_EN: 1
; COMPUTE_PGM_RSRC2:TGID_Y_EN: 0
; COMPUTE_PGM_RSRC2:TGID_Z_EN: 0
; COMPUTE_PGM_RSRC2:TIDIG_COMP_CNT: 0
	.section	.text._ZN2at6native12_GLOBAL__N_125multi_tensor_apply_kernelINS1_18TensorListMetadataILi2EEENS1_21BinaryOpScalarFunctorIlLi2ELi1ELi1EEEJSt5minusIlElEEEvT_T0_DpT1_,"axG",@progbits,_ZN2at6native12_GLOBAL__N_125multi_tensor_apply_kernelINS1_18TensorListMetadataILi2EEENS1_21BinaryOpScalarFunctorIlLi2ELi1ELi1EEEJSt5minusIlElEEEvT_T0_DpT1_,comdat
	.globl	_ZN2at6native12_GLOBAL__N_125multi_tensor_apply_kernelINS1_18TensorListMetadataILi2EEENS1_21BinaryOpScalarFunctorIlLi2ELi1ELi1EEEJSt5minusIlElEEEvT_T0_DpT1_ ; -- Begin function _ZN2at6native12_GLOBAL__N_125multi_tensor_apply_kernelINS1_18TensorListMetadataILi2EEENS1_21BinaryOpScalarFunctorIlLi2ELi1ELi1EEEJSt5minusIlElEEEvT_T0_DpT1_
	.p2align	8
	.type	_ZN2at6native12_GLOBAL__N_125multi_tensor_apply_kernelINS1_18TensorListMetadataILi2EEENS1_21BinaryOpScalarFunctorIlLi2ELi1ELi1EEEJSt5minusIlElEEEvT_T0_DpT1_,@function
_ZN2at6native12_GLOBAL__N_125multi_tensor_apply_kernelINS1_18TensorListMetadataILi2EEENS1_21BinaryOpScalarFunctorIlLi2ELi1ELi1EEEJSt5minusIlElEEEvT_T0_DpT1_: ; @_ZN2at6native12_GLOBAL__N_125multi_tensor_apply_kernelINS1_18TensorListMetadataILi2EEENS1_21BinaryOpScalarFunctorIlLi2ELi1ELi1EEEJSt5minusIlElEEEvT_T0_DpT1_
; %bb.0:
	s_load_u8 s8, s[0:1], ttmp9 offset:0x600
	s_mov_b32 s2, ttmp9
	s_mov_b32 s3, 0
	s_delay_alu instid0(SALU_CYCLE_1)
	s_mul_u64 s[4:5], s[2:3], 3
	s_add_nc_u64 s[6:7], s[0:1], s[2:3]
	s_mov_b32 s17, s3
	s_add_nc_u64 s[4:5], s[6:7], s[4:5]
	s_mov_b32 s19, s3
	s_load_b32 s4, s[4:5], 0x740
	s_wait_kmcnt 0x0
	s_lshl_b32 s2, s8, 3
	s_clause 0x3
	s_load_b64 s[6:7], s[0:1], s2 offset:0x0
	s_load_b64 s[8:9], s[0:1], s2 offset:0x200
	;; [unrolled: 1-line block ×3, first 2 shown]
	s_load_b64 s[10:11], s[0:1], 0xc50
	s_ashr_i32 s5, s4, 31
	s_delay_alu instid0(SALU_CYCLE_1)
	s_lshl_b64 s[12:13], s[4:5], 19
	s_lshl_b64 s[4:5], s[4:5], 16
	s_wait_kmcnt 0x0
	s_add_nc_u64 s[20:21], s[6:7], s[12:13]
	s_and_b32 s16, s8, 31
	s_and_b32 s18, s14, 3
	;; [unrolled: 1-line block ×3, first 2 shown]
	s_or_b64 s[16:17], s[16:17], s[18:19]
	s_sub_nc_u64 s[14:15], s[14:15], s[4:5]
	s_or_b64 s[2:3], s[16:17], s[2:3]
	s_delay_alu instid0(SALU_CYCLE_1)
	s_cmp_eq_u64 s[2:3], 0
	s_mov_b32 s2, -1
	s_cbranch_scc1 .LBB98_21
; %bb.1:
	v_cmp_lt_i64_e64 s2, s[14:15], 1
	s_and_b32 vcc_lo, exec_lo, s2
	s_cbranch_vccnz .LBB98_20
; %bb.2:
	s_load_b32 s2, s[0:1], 0xc64
	v_cmp_gt_i64_e64 s3, 0x10000, s[14:15]
	v_dual_mov_b32 v2, 0 :: v_dual_lshlrev_b32 v1, 3, v0
	v_cmp_gt_u64_e64 s4, 0x10000, s[14:15]
	s_mov_b32 s17, 0
	s_mov_b64 s[22:23], 0
	s_and_b32 s3, s3, exec_lo
	s_cselect_b32 s19, s15, 0
	s_cselect_b32 s18, s14, 0x10000
	v_add_co_u32 v11, s3, s8, v1
	v_add_co_u32 v9, s5, s6, v1
	v_add_co_ci_u32_e64 v12, null, s9, 0, s3
	v_add_co_ci_u32_e64 v10, null, s7, 0, s5
	s_wait_kmcnt 0x0
	s_and_b32 s2, s2, 0xffff
	s_and_b32 s3, s4, exec_lo
	s_wait_alu 0xfffe
	v_mad_co_u64_u32 v[2:3], null, s2, 24, v[1:2]
	s_cselect_b32 s21, s15, 0
	s_cselect_b32 s20, s14, 0x10000
	s_mul_i32 s4, s2, 3
	s_lshl_b32 s5, s2, 4
	s_wait_alu 0xfffe
	v_add_co_u32 v17, s4, s4, v0
	v_add_co_u32 v13, vcc_lo, s6, v2
	v_add_co_u32 v1, s5, s5, v1
	v_add_co_ci_u32_e64 v14, null, s7, v3, vcc_lo
	v_add_co_u32 v15, vcc_lo, s8, v2
	s_wait_alu 0xf1ff
	v_add_co_ci_u32_e64 v2, null, 0, 0, s5
	v_add_co_ci_u32_e64 v18, null, 0, 0, s4
	v_add_co_u32 v21, s4, v0, s2
	s_wait_alu 0xfffd
	v_add_co_ci_u32_e64 v16, null, s9, v3, vcc_lo
	v_add_co_u32 v19, vcc_lo, s6, v1
	s_wait_alu 0xfffd
	v_add_co_ci_u32_e64 v20, null, s7, v2, vcc_lo
	v_add_co_u32 v22, vcc_lo, s8, v1
	v_lshlrev_b32_e32 v1, 3, v21
	s_lshl_b32 s3, s2, 1
	s_wait_alu 0xfffd
	v_add_co_ci_u32_e64 v23, null, s9, v2, vcc_lo
	s_wait_alu 0xfffe
	v_add_co_u32 v25, s3, s3, v0
	s_wait_alu 0xf1ff
	v_add_co_ci_u32_e64 v26, null, 0, 0, s3
	v_add_co_u32 v27, s3, s6, v1
	s_wait_alu 0xf1ff
	v_add_co_ci_u32_e64 v28, null, s7, 0, s3
	v_add_co_u32 v29, s3, s8, v1
	v_add_co_ci_u32_e64 v24, null, 0, 0, s4
	s_wait_alu 0xf1ff
	v_add_co_ci_u32_e64 v30, null, s9, 0, s3
	s_lshl_b32 s16, s2, 2
	s_lshl_b32 s24, s2, 5
	s_branch .LBB98_4
.LBB98_3:                               ;   in Loop: Header=BB98_4 Depth=1
	s_wait_alu 0xfffe
	s_or_b32 exec_lo, exec_lo, s2
	v_add_co_u32 v9, vcc_lo, v9, s24
	s_wait_alu 0xfffd
	v_add_co_ci_u32_e64 v10, null, 0, v10, vcc_lo
	v_add_co_u32 v11, vcc_lo, v11, s24
	s_wait_alu 0xfffd
	v_add_co_ci_u32_e64 v12, null, 0, v12, vcc_lo
	;; [unrolled: 3-line block ×5, first 2 shown]
	v_add_co_u32 v22, vcc_lo, v22, s24
	s_add_nc_u64 s[22:23], s[22:23], s[16:17]
	s_wait_alu 0xfffd
	v_add_co_ci_u32_e64 v23, null, 0, v23, vcc_lo
	v_add_co_u32 v27, vcc_lo, v27, s24
	s_wait_alu 0xfffe
	v_cmp_lt_i64_e64 s2, s[22:23], s[18:19]
	s_wait_alu 0xfffd
	v_add_co_ci_u32_e64 v28, null, 0, v28, vcc_lo
	v_add_co_u32 v29, vcc_lo, v29, s24
	s_wait_alu 0xfffd
	v_add_co_ci_u32_e64 v30, null, 0, v30, vcc_lo
	s_and_b32 vcc_lo, exec_lo, s2
	s_wait_alu 0xfffe
	s_cbranch_vccz .LBB98_20
.LBB98_4:                               ; =>This Inner Loop Header: Depth=1
	s_wait_loadcnt 0x0
	v_add_co_u32 v3, s2, v0, s22
	s_wait_alu 0xf1ff
	v_add_co_ci_u32_e64 v4, null, 0, s23, s2
	v_mov_b32_e32 v1, 0
	v_dual_mov_b32 v2, 0 :: v_dual_mov_b32 v5, 0
	s_delay_alu instid0(VALU_DEP_3)
	v_cmp_gt_u64_e32 vcc_lo, s[20:21], v[3:4]
	v_mov_b32_e32 v6, 0
	s_and_saveexec_b32 s3, vcc_lo
	s_cbranch_execz .LBB98_6
; %bb.5:                                ;   in Loop: Header=BB98_4 Depth=1
	v_add_co_u32 v3, s2, v9, s12
	s_wait_alu 0xf1ff
	v_add_co_ci_u32_e64 v4, null, s13, v10, s2
	global_load_b64 v[5:6], v[3:4], off
.LBB98_6:                               ;   in Loop: Header=BB98_4 Depth=1
	s_wait_alu 0xfffe
	s_or_b32 exec_lo, exec_lo, s3
	v_add_co_u32 v3, s2, v21, s22
	s_wait_alu 0xf1ff
	v_add_co_ci_u32_e64 v4, null, s23, v24, s2
	s_delay_alu instid0(VALU_DEP_1)
	v_cmp_gt_u64_e64 s2, s[20:21], v[3:4]
	s_and_saveexec_b32 s4, s2
	s_cbranch_execz .LBB98_8
; %bb.7:                                ;   in Loop: Header=BB98_4 Depth=1
	v_add_co_u32 v1, s3, v27, s12
	s_wait_alu 0xf1ff
	v_add_co_ci_u32_e64 v2, null, s13, v28, s3
	global_load_b64 v[1:2], v[1:2], off
.LBB98_8:                               ;   in Loop: Header=BB98_4 Depth=1
	s_wait_alu 0xfffe
	s_or_b32 exec_lo, exec_lo, s4
	v_add_co_u32 v7, s3, v25, s22
	s_wait_alu 0xf1ff
	v_add_co_ci_u32_e64 v8, null, s23, v26, s3
	v_mov_b32_e32 v3, 0
	v_mov_b32_e32 v4, 0
	s_delay_alu instid0(VALU_DEP_3)
	v_cmp_gt_u64_e64 s3, s[20:21], v[7:8]
	v_mov_b32_e32 v7, 0
	v_mov_b32_e32 v8, 0
	s_and_saveexec_b32 s5, s3
	s_cbranch_execz .LBB98_10
; %bb.9:                                ;   in Loop: Header=BB98_4 Depth=1
	v_add_co_u32 v7, s4, v19, s12
	s_wait_alu 0xf1ff
	v_add_co_ci_u32_e64 v8, null, s13, v20, s4
	global_load_b64 v[7:8], v[7:8], off
.LBB98_10:                              ;   in Loop: Header=BB98_4 Depth=1
	s_wait_alu 0xfffe
	s_or_b32 exec_lo, exec_lo, s5
	v_add_co_u32 v31, s4, v17, s22
	s_wait_alu 0xf1ff
	v_add_co_ci_u32_e64 v32, null, s23, v18, s4
	s_delay_alu instid0(VALU_DEP_1)
	v_cmp_gt_u64_e64 s4, s[20:21], v[31:32]
	s_and_saveexec_b32 s25, s4
	s_cbranch_execnz .LBB98_15
; %bb.11:                               ;   in Loop: Header=BB98_4 Depth=1
	s_wait_alu 0xfffe
	s_or_b32 exec_lo, exec_lo, s25
	s_and_saveexec_b32 s5, vcc_lo
	s_cbranch_execnz .LBB98_16
.LBB98_12:                              ;   in Loop: Header=BB98_4 Depth=1
	s_wait_alu 0xfffe
	s_or_b32 exec_lo, exec_lo, s5
	s_and_saveexec_b32 s5, s2
	s_cbranch_execnz .LBB98_17
.LBB98_13:                              ;   in Loop: Header=BB98_4 Depth=1
	s_wait_alu 0xfffe
	s_or_b32 exec_lo, exec_lo, s5
	s_and_saveexec_b32 s2, s3
	s_cbranch_execnz .LBB98_18
.LBB98_14:                              ;   in Loop: Header=BB98_4 Depth=1
	s_wait_alu 0xfffe
	s_or_b32 exec_lo, exec_lo, s2
	s_and_saveexec_b32 s2, s4
	s_cbranch_execz .LBB98_3
	s_branch .LBB98_19
.LBB98_15:                              ;   in Loop: Header=BB98_4 Depth=1
	v_add_co_u32 v3, s5, v13, s12
	s_wait_alu 0xf1ff
	v_add_co_ci_u32_e64 v4, null, s13, v14, s5
	global_load_b64 v[3:4], v[3:4], off
	s_wait_alu 0xfffe
	s_or_b32 exec_lo, exec_lo, s25
	s_and_saveexec_b32 s5, vcc_lo
	s_cbranch_execz .LBB98_12
.LBB98_16:                              ;   in Loop: Header=BB98_4 Depth=1
	s_wait_loadcnt 0x0
	v_sub_co_u32 v5, vcc_lo, v5, s10
	s_wait_alu 0xfffd
	v_subrev_co_ci_u32_e64 v6, null, s11, v6, vcc_lo
	v_add_co_u32 v31, vcc_lo, v11, s12
	s_wait_alu 0xfffd
	v_add_co_ci_u32_e64 v32, null, s13, v12, vcc_lo
	global_store_b64 v[31:32], v[5:6], off
	s_wait_alu 0xfffe
	s_or_b32 exec_lo, exec_lo, s5
	s_and_saveexec_b32 s5, s2
	s_cbranch_execz .LBB98_13
.LBB98_17:                              ;   in Loop: Header=BB98_4 Depth=1
	s_wait_loadcnt 0x0
	v_sub_co_u32 v1, vcc_lo, v1, s10
	s_wait_alu 0xfffd
	v_subrev_co_ci_u32_e64 v2, null, s11, v2, vcc_lo
	v_add_co_u32 v5, vcc_lo, v29, s12
	s_wait_alu 0xfffd
	v_add_co_ci_u32_e64 v6, null, s13, v30, vcc_lo
	global_store_b64 v[5:6], v[1:2], off
	s_wait_alu 0xfffe
	s_or_b32 exec_lo, exec_lo, s5
	s_and_saveexec_b32 s2, s3
	s_cbranch_execz .LBB98_14
.LBB98_18:                              ;   in Loop: Header=BB98_4 Depth=1
	s_wait_loadcnt 0x0
	v_sub_co_u32 v1, vcc_lo, v7, s10
	s_wait_alu 0xfffd
	v_subrev_co_ci_u32_e64 v2, null, s11, v8, vcc_lo
	v_add_co_u32 v5, vcc_lo, v22, s12
	s_wait_alu 0xfffd
	v_add_co_ci_u32_e64 v6, null, s13, v23, vcc_lo
	global_store_b64 v[5:6], v[1:2], off
	s_wait_alu 0xfffe
	s_or_b32 exec_lo, exec_lo, s2
	s_and_saveexec_b32 s2, s4
	s_cbranch_execz .LBB98_3
.LBB98_19:                              ;   in Loop: Header=BB98_4 Depth=1
	s_wait_loadcnt 0x0
	v_sub_co_u32 v1, vcc_lo, v3, s10
	s_wait_alu 0xfffd
	v_subrev_co_ci_u32_e64 v2, null, s11, v4, vcc_lo
	v_add_co_u32 v3, vcc_lo, v15, s12
	s_wait_alu 0xfffd
	v_add_co_ci_u32_e64 v4, null, s13, v16, vcc_lo
	global_store_b64 v[3:4], v[1:2], off
	s_branch .LBB98_3
.LBB98_20:
	s_mov_b32 s2, 0
.LBB98_21:
	s_wait_alu 0xfffe
	s_and_not1_b32 vcc_lo, exec_lo, s2
	s_wait_alu 0xfffe
	s_cbranch_vccnz .LBB98_25
; %bb.22:
	v_cmp_gt_i64_e64 s2, 0x10000, s[14:15]
	s_wait_loadcnt 0x0
	v_dual_mov_b32 v2, 0 :: v_dual_lshlrev_b32 v1, 2, v0
	s_mov_b32 s4, 0
	s_mov_b32 s5, exec_lo
	s_and_b32 s2, s2, exec_lo
	s_cselect_b32 s3, s15, 0
	s_cselect_b32 s2, s14, 0x10000
	s_wait_alu 0xfffe
	v_cmpx_gt_i64_e64 s[2:3], v[1:2]
	s_cbranch_execz .LBB98_25
; %bb.23:
	s_load_b32 s0, s[0:1], 0xc64
	v_lshlrev_b32_e32 v3, 5, v0
	v_mov_b32_e32 v1, v2
	s_delay_alu instid0(VALU_DEP_2) | instskip(NEXT) | instid1(VALU_DEP_1)
	v_add_co_u32 v2, s1, s12, v3
	v_add_co_ci_u32_e64 v3, null, s13, 0, s1
	s_wait_kmcnt 0x0
	s_and_b32 s5, s0, 0xffff
	s_wait_alu 0xfffe
	s_lshl_b32 s12, s5, 5
.LBB98_24:                              ; =>This Inner Loop Header: Depth=1
	v_add_co_u32 v8, vcc_lo, s6, v2
	s_wait_alu 0xfffd
	v_add_co_ci_u32_e64 v9, null, s7, v3, vcc_lo
	v_add_co_u32 v0, vcc_lo, v0, s5
	s_wait_alu 0xfffd
	v_add_co_ci_u32_e64 v1, null, 0, v1, vcc_lo
	s_clause 0x1
	global_load_b128 v[4:7], v[8:9], off
	global_load_b128 v[8:11], v[8:9], off offset:16
	v_add_co_u32 v12, vcc_lo, s8, v2
	v_lshlrev_b64_e32 v[14:15], 2, v[0:1]
	s_wait_alu 0xfffd
	v_add_co_ci_u32_e64 v13, null, s9, v3, vcc_lo
	s_wait_alu 0xfffe
	v_add_co_u32 v2, vcc_lo, v2, s12
	s_wait_alu 0xfffd
	v_add_co_ci_u32_e64 v3, null, 0, v3, vcc_lo
	v_cmp_le_i64_e64 s0, s[2:3], v[14:15]
	s_or_b32 s4, s0, s4
	s_wait_loadcnt 0x1
	v_sub_co_u32 v4, s1, v4, s10
	s_wait_alu 0xf1ff
	v_subrev_co_ci_u32_e64 v5, null, s11, v5, s1
	v_sub_co_u32 v6, s1, v6, s10
	s_wait_alu 0xf1ff
	v_subrev_co_ci_u32_e64 v7, null, s11, v7, s1
	s_wait_loadcnt 0x0
	v_sub_co_u32 v8, s1, v8, s10
	s_wait_alu 0xf1ff
	v_subrev_co_ci_u32_e64 v9, null, s11, v9, s1
	v_sub_co_u32 v10, s1, v10, s10
	s_wait_alu 0xf1ff
	v_subrev_co_ci_u32_e64 v11, null, s11, v11, s1
	s_clause 0x1
	global_store_b128 v[12:13], v[4:7], off
	global_store_b128 v[12:13], v[8:11], off offset:16
	s_wait_alu 0xfffe
	s_and_not1_b32 exec_lo, exec_lo, s4
	s_cbranch_execnz .LBB98_24
.LBB98_25:
	s_endpgm
	.section	.rodata,"a",@progbits
	.p2align	6, 0x0
	.amdhsa_kernel _ZN2at6native12_GLOBAL__N_125multi_tensor_apply_kernelINS1_18TensorListMetadataILi2EEENS1_21BinaryOpScalarFunctorIlLi2ELi1ELi1EEEJSt5minusIlElEEEvT_T0_DpT1_
		.amdhsa_group_segment_fixed_size 0
		.amdhsa_private_segment_fixed_size 0
		.amdhsa_kernarg_size 3416
		.amdhsa_user_sgpr_count 2
		.amdhsa_user_sgpr_dispatch_ptr 0
		.amdhsa_user_sgpr_queue_ptr 0
		.amdhsa_user_sgpr_kernarg_segment_ptr 1
		.amdhsa_user_sgpr_dispatch_id 0
		.amdhsa_user_sgpr_private_segment_size 0
		.amdhsa_wavefront_size32 1
		.amdhsa_uses_dynamic_stack 0
		.amdhsa_enable_private_segment 0
		.amdhsa_system_sgpr_workgroup_id_x 1
		.amdhsa_system_sgpr_workgroup_id_y 0
		.amdhsa_system_sgpr_workgroup_id_z 0
		.amdhsa_system_sgpr_workgroup_info 0
		.amdhsa_system_vgpr_workitem_id 0
		.amdhsa_next_free_vgpr 33
		.amdhsa_next_free_sgpr 26
		.amdhsa_reserve_vcc 1
		.amdhsa_float_round_mode_32 0
		.amdhsa_float_round_mode_16_64 0
		.amdhsa_float_denorm_mode_32 3
		.amdhsa_float_denorm_mode_16_64 3
		.amdhsa_fp16_overflow 0
		.amdhsa_workgroup_processor_mode 1
		.amdhsa_memory_ordered 1
		.amdhsa_forward_progress 1
		.amdhsa_inst_pref_size 15
		.amdhsa_round_robin_scheduling 0
		.amdhsa_exception_fp_ieee_invalid_op 0
		.amdhsa_exception_fp_denorm_src 0
		.amdhsa_exception_fp_ieee_div_zero 0
		.amdhsa_exception_fp_ieee_overflow 0
		.amdhsa_exception_fp_ieee_underflow 0
		.amdhsa_exception_fp_ieee_inexact 0
		.amdhsa_exception_int_div_zero 0
	.end_amdhsa_kernel
	.section	.text._ZN2at6native12_GLOBAL__N_125multi_tensor_apply_kernelINS1_18TensorListMetadataILi2EEENS1_21BinaryOpScalarFunctorIlLi2ELi1ELi1EEEJSt5minusIlElEEEvT_T0_DpT1_,"axG",@progbits,_ZN2at6native12_GLOBAL__N_125multi_tensor_apply_kernelINS1_18TensorListMetadataILi2EEENS1_21BinaryOpScalarFunctorIlLi2ELi1ELi1EEEJSt5minusIlElEEEvT_T0_DpT1_,comdat
.Lfunc_end98:
	.size	_ZN2at6native12_GLOBAL__N_125multi_tensor_apply_kernelINS1_18TensorListMetadataILi2EEENS1_21BinaryOpScalarFunctorIlLi2ELi1ELi1EEEJSt5minusIlElEEEvT_T0_DpT1_, .Lfunc_end98-_ZN2at6native12_GLOBAL__N_125multi_tensor_apply_kernelINS1_18TensorListMetadataILi2EEENS1_21BinaryOpScalarFunctorIlLi2ELi1ELi1EEEJSt5minusIlElEEEvT_T0_DpT1_
                                        ; -- End function
	.set _ZN2at6native12_GLOBAL__N_125multi_tensor_apply_kernelINS1_18TensorListMetadataILi2EEENS1_21BinaryOpScalarFunctorIlLi2ELi1ELi1EEEJSt5minusIlElEEEvT_T0_DpT1_.num_vgpr, 33
	.set _ZN2at6native12_GLOBAL__N_125multi_tensor_apply_kernelINS1_18TensorListMetadataILi2EEENS1_21BinaryOpScalarFunctorIlLi2ELi1ELi1EEEJSt5minusIlElEEEvT_T0_DpT1_.num_agpr, 0
	.set _ZN2at6native12_GLOBAL__N_125multi_tensor_apply_kernelINS1_18TensorListMetadataILi2EEENS1_21BinaryOpScalarFunctorIlLi2ELi1ELi1EEEJSt5minusIlElEEEvT_T0_DpT1_.numbered_sgpr, 26
	.set _ZN2at6native12_GLOBAL__N_125multi_tensor_apply_kernelINS1_18TensorListMetadataILi2EEENS1_21BinaryOpScalarFunctorIlLi2ELi1ELi1EEEJSt5minusIlElEEEvT_T0_DpT1_.num_named_barrier, 0
	.set _ZN2at6native12_GLOBAL__N_125multi_tensor_apply_kernelINS1_18TensorListMetadataILi2EEENS1_21BinaryOpScalarFunctorIlLi2ELi1ELi1EEEJSt5minusIlElEEEvT_T0_DpT1_.private_seg_size, 0
	.set _ZN2at6native12_GLOBAL__N_125multi_tensor_apply_kernelINS1_18TensorListMetadataILi2EEENS1_21BinaryOpScalarFunctorIlLi2ELi1ELi1EEEJSt5minusIlElEEEvT_T0_DpT1_.uses_vcc, 1
	.set _ZN2at6native12_GLOBAL__N_125multi_tensor_apply_kernelINS1_18TensorListMetadataILi2EEENS1_21BinaryOpScalarFunctorIlLi2ELi1ELi1EEEJSt5minusIlElEEEvT_T0_DpT1_.uses_flat_scratch, 0
	.set _ZN2at6native12_GLOBAL__N_125multi_tensor_apply_kernelINS1_18TensorListMetadataILi2EEENS1_21BinaryOpScalarFunctorIlLi2ELi1ELi1EEEJSt5minusIlElEEEvT_T0_DpT1_.has_dyn_sized_stack, 0
	.set _ZN2at6native12_GLOBAL__N_125multi_tensor_apply_kernelINS1_18TensorListMetadataILi2EEENS1_21BinaryOpScalarFunctorIlLi2ELi1ELi1EEEJSt5minusIlElEEEvT_T0_DpT1_.has_recursion, 0
	.set _ZN2at6native12_GLOBAL__N_125multi_tensor_apply_kernelINS1_18TensorListMetadataILi2EEENS1_21BinaryOpScalarFunctorIlLi2ELi1ELi1EEEJSt5minusIlElEEEvT_T0_DpT1_.has_indirect_call, 0
	.section	.AMDGPU.csdata,"",@progbits
; Kernel info:
; codeLenInByte = 1832
; TotalNumSgprs: 28
; NumVgprs: 33
; ScratchSize: 0
; MemoryBound: 0
; FloatMode: 240
; IeeeMode: 1
; LDSByteSize: 0 bytes/workgroup (compile time only)
; SGPRBlocks: 0
; VGPRBlocks: 4
; NumSGPRsForWavesPerEU: 28
; NumVGPRsForWavesPerEU: 33
; Occupancy: 16
; WaveLimiterHint : 0
; COMPUTE_PGM_RSRC2:SCRATCH_EN: 0
; COMPUTE_PGM_RSRC2:USER_SGPR: 2
; COMPUTE_PGM_RSRC2:TRAP_HANDLER: 0
; COMPUTE_PGM_RSRC2:TGID_X_EN: 1
; COMPUTE_PGM_RSRC2:TGID_Y_EN: 0
; COMPUTE_PGM_RSRC2:TGID_Z_EN: 0
; COMPUTE_PGM_RSRC2:TIDIG_COMP_CNT: 0
	.section	.text._ZN2at6native12_GLOBAL__N_125multi_tensor_apply_kernelINS1_18TensorListMetadataILi2EEENS1_21BinaryOpScalarFunctorIsLi2ELi1ELi1EEEJSt5minusIsEsEEEvT_T0_DpT1_,"axG",@progbits,_ZN2at6native12_GLOBAL__N_125multi_tensor_apply_kernelINS1_18TensorListMetadataILi2EEENS1_21BinaryOpScalarFunctorIsLi2ELi1ELi1EEEJSt5minusIsEsEEEvT_T0_DpT1_,comdat
	.globl	_ZN2at6native12_GLOBAL__N_125multi_tensor_apply_kernelINS1_18TensorListMetadataILi2EEENS1_21BinaryOpScalarFunctorIsLi2ELi1ELi1EEEJSt5minusIsEsEEEvT_T0_DpT1_ ; -- Begin function _ZN2at6native12_GLOBAL__N_125multi_tensor_apply_kernelINS1_18TensorListMetadataILi2EEENS1_21BinaryOpScalarFunctorIsLi2ELi1ELi1EEEJSt5minusIsEsEEEvT_T0_DpT1_
	.p2align	8
	.type	_ZN2at6native12_GLOBAL__N_125multi_tensor_apply_kernelINS1_18TensorListMetadataILi2EEENS1_21BinaryOpScalarFunctorIsLi2ELi1ELi1EEEJSt5minusIsEsEEEvT_T0_DpT1_,@function
_ZN2at6native12_GLOBAL__N_125multi_tensor_apply_kernelINS1_18TensorListMetadataILi2EEENS1_21BinaryOpScalarFunctorIsLi2ELi1ELi1EEEJSt5minusIsEsEEEvT_T0_DpT1_: ; @_ZN2at6native12_GLOBAL__N_125multi_tensor_apply_kernelINS1_18TensorListMetadataILi2EEENS1_21BinaryOpScalarFunctorIsLi2ELi1ELi1EEEJSt5minusIsEsEEEvT_T0_DpT1_
; %bb.0:
	s_load_u8 s8, s[0:1], ttmp9 offset:0x600
	s_mov_b32 s2, ttmp9
	s_mov_b32 s3, 0
	s_delay_alu instid0(SALU_CYCLE_1)
	s_mul_u64 s[4:5], s[2:3], 3
	s_add_nc_u64 s[6:7], s[0:1], s[2:3]
	s_mov_b32 s15, s3
	s_add_nc_u64 s[4:5], s[6:7], s[4:5]
	s_mov_b32 s17, s3
	s_load_b32 s4, s[4:5], 0x740
	s_wait_kmcnt 0x0
	s_lshl_b32 s2, s8, 3
	s_clause 0x3
	s_load_b32 s14, s[0:1], 0xc48
	s_load_b64 s[6:7], s[0:1], s2 offset:0x0
	s_load_b64 s[8:9], s[0:1], s2 offset:0x200
	;; [unrolled: 1-line block ×3, first 2 shown]
	s_ashr_i32 s5, s4, 31
	s_delay_alu instid0(SALU_CYCLE_1)
	s_lshl_b64 s[10:11], s[4:5], 17
	s_lshl_b64 s[4:5], s[4:5], 16
	s_wait_kmcnt 0x0
	s_lshr_b32 s22, s14, 16
	s_add_nc_u64 s[18:19], s[6:7], s[10:11]
	s_and_b32 s14, s8, 7
	s_and_b32 s16, s12, 3
	s_and_b32 s2, s18, 7
	s_or_b64 s[14:15], s[14:15], s[16:17]
	s_sub_nc_u64 s[12:13], s[12:13], s[4:5]
	s_or_b64 s[2:3], s[14:15], s[2:3]
	s_delay_alu instid0(SALU_CYCLE_1)
	s_cmp_eq_u64 s[2:3], 0
	s_mov_b32 s2, -1
	s_cbranch_scc1 .LBB99_21
; %bb.1:
	v_cmp_lt_i64_e64 s2, s[12:13], 1
	s_and_b32 vcc_lo, exec_lo, s2
	s_cbranch_vccnz .LBB99_20
; %bb.2:
	s_load_b32 s2, s[0:1], 0xc5c
	v_cmp_gt_i64_e64 s3, 0x10000, s[12:13]
	v_dual_mov_b32 v10, 0 :: v_dual_lshlrev_b32 v9, 1, v0
	v_cmp_gt_u64_e64 s4, 0x10000, s[12:13]
	s_mov_b32 s19, 0
	s_mov_b64 s[20:21], 0
	s_and_b32 s3, s3, exec_lo
	v_add_co_u32 v1, s5, s6, v9
	s_cselect_b32 s15, s13, 0
	s_cselect_b32 s14, s12, 0x10000
	v_add_co_ci_u32_e64 v2, null, s7, 0, s5
	v_add_co_u32 v3, s5, s8, v9
	s_wait_alu 0xf1ff
	v_add_co_ci_u32_e64 v4, null, s9, 0, s5
	s_wait_kmcnt 0x0
	s_and_b32 s2, s2, 0xffff
	s_and_b32 s3, s4, exec_lo
	s_cselect_b32 s17, s13, 0
	s_cselect_b32 s16, s12, 0x10000
	s_mul_i32 s4, s2, 3
	s_lshl_b32 s18, s2, 2
	v_mad_co_u64_u32 v[7:8], null, s2, 6, v[9:10]
	v_add_co_u32 v14, s5, s18, v9
	s_wait_alu 0xfffe
	v_add_co_u32 v9, s4, s4, v0
	s_wait_alu 0xf1ff
	v_add_co_ci_u32_e64 v10, null, 0, 0, s4
	v_add_co_u32 v13, s4, v0, s2
	s_lshl_b32 s3, s2, 1
	v_add_co_u32 v5, vcc_lo, s6, v7
	v_lshlrev_b32_e32 v21, 1, v13
	v_add_co_ci_u32_e64 v15, null, 0, 0, s5
	v_add_co_ci_u32_e64 v6, null, s7, v8, vcc_lo
	v_add_co_u32 v7, vcc_lo, s8, v7
	s_wait_alu 0xfffe
	v_add_co_u32 v17, s3, s3, v0
	s_wait_alu 0xfffd
	v_add_co_ci_u32_e64 v8, null, s9, v8, vcc_lo
	v_add_co_u32 v11, vcc_lo, s6, v14
	s_wait_alu 0xf1ff
	v_add_co_ci_u32_e64 v18, null, 0, 0, s3
	v_add_co_u32 v19, s3, s6, v21
	s_wait_alu 0xfffd
	v_add_co_ci_u32_e64 v12, null, s7, v15, vcc_lo
	v_add_co_u32 v14, vcc_lo, s8, v14
	s_wait_alu 0xf1ff
	v_add_co_ci_u32_e64 v20, null, s7, 0, s3
	v_add_co_u32 v21, s3, s8, v21
	s_wait_alu 0xfffd
	v_add_co_ci_u32_e64 v15, null, s9, v15, vcc_lo
	v_add_co_ci_u32_e64 v16, null, 0, 0, s4
	s_wait_alu 0xf1ff
	v_add_co_ci_u32_e64 v22, null, s9, 0, s3
	s_lshl_b32 s23, s2, 3
	s_branch .LBB99_4
.LBB99_3:                               ;   in Loop: Header=BB99_4 Depth=1
	s_wait_alu 0xfffe
	s_or_b32 exec_lo, exec_lo, s2
	v_add_co_u32 v1, vcc_lo, v1, s23
	s_wait_alu 0xfffd
	v_add_co_ci_u32_e64 v2, null, 0, v2, vcc_lo
	v_add_co_u32 v3, vcc_lo, v3, s23
	s_wait_alu 0xfffd
	v_add_co_ci_u32_e64 v4, null, 0, v4, vcc_lo
	;; [unrolled: 3-line block ×5, first 2 shown]
	v_add_co_u32 v14, vcc_lo, v14, s23
	s_add_nc_u64 s[20:21], s[20:21], s[18:19]
	s_wait_alu 0xfffd
	v_add_co_ci_u32_e64 v15, null, 0, v15, vcc_lo
	v_add_co_u32 v19, vcc_lo, v19, s23
	s_wait_alu 0xfffe
	v_cmp_lt_i64_e64 s2, s[20:21], s[14:15]
	s_wait_alu 0xfffd
	v_add_co_ci_u32_e64 v20, null, 0, v20, vcc_lo
	v_add_co_u32 v21, vcc_lo, v21, s23
	s_wait_alu 0xfffd
	v_add_co_ci_u32_e64 v22, null, 0, v22, vcc_lo
	s_and_b32 vcc_lo, exec_lo, s2
	s_wait_alu 0xfffe
	s_cbranch_vccz .LBB99_20
.LBB99_4:                               ; =>This Inner Loop Header: Depth=1
	s_wait_loadcnt 0x0
	v_add_co_u32 v23, s2, v0, s20
	s_wait_alu 0xf1ff
	v_add_co_ci_u32_e64 v24, null, 0, s21, s2
	s_delay_alu instid0(VALU_DEP_1)
	v_cmp_gt_u64_e32 vcc_lo, s[16:17], v[23:24]
	v_mov_b32_e32 v24, 0
	s_and_saveexec_b32 s3, vcc_lo
	s_cbranch_execz .LBB99_6
; %bb.5:                                ;   in Loop: Header=BB99_4 Depth=1
	v_add_co_u32 v23, s2, v1, s10
	s_wait_alu 0xf1ff
	v_add_co_ci_u32_e64 v24, null, s11, v2, s2
	global_load_u16 v24, v[23:24], off
.LBB99_6:                               ;   in Loop: Header=BB99_4 Depth=1
	s_wait_alu 0xfffe
	s_or_b32 exec_lo, exec_lo, s3
	v_add_co_u32 v25, s2, v13, s20
	s_wait_alu 0xf1ff
	v_add_co_ci_u32_e64 v26, null, s21, v16, s2
	v_mov_b32_e32 v23, 0
	s_delay_alu instid0(VALU_DEP_2)
	v_cmp_gt_u64_e64 s2, s[16:17], v[25:26]
	v_mov_b32_e32 v25, 0
	s_and_saveexec_b32 s4, s2
	s_cbranch_execz .LBB99_8
; %bb.7:                                ;   in Loop: Header=BB99_4 Depth=1
	v_add_co_u32 v25, s3, v19, s10
	s_wait_alu 0xf1ff
	v_add_co_ci_u32_e64 v26, null, s11, v20, s3
	global_load_u16 v25, v[25:26], off
.LBB99_8:                               ;   in Loop: Header=BB99_4 Depth=1
	s_wait_alu 0xfffe
	s_or_b32 exec_lo, exec_lo, s4
	v_add_co_u32 v26, s3, v17, s20
	s_wait_alu 0xf1ff
	v_add_co_ci_u32_e64 v27, null, s21, v18, s3
	s_delay_alu instid0(VALU_DEP_1)
	v_cmp_gt_u64_e64 s3, s[16:17], v[26:27]
	s_and_saveexec_b32 s5, s3
	s_cbranch_execz .LBB99_10
; %bb.9:                                ;   in Loop: Header=BB99_4 Depth=1
	v_add_co_u32 v26, s4, v11, s10
	s_wait_alu 0xf1ff
	v_add_co_ci_u32_e64 v27, null, s11, v12, s4
	global_load_u16 v23, v[26:27], off
.LBB99_10:                              ;   in Loop: Header=BB99_4 Depth=1
	s_wait_alu 0xfffe
	s_or_b32 exec_lo, exec_lo, s5
	v_add_co_u32 v26, s4, v9, s20
	s_wait_alu 0xf1ff
	v_add_co_ci_u32_e64 v27, null, s21, v10, s4
	s_delay_alu instid0(VALU_DEP_1)
	v_cmp_gt_u64_e64 s4, s[16:17], v[26:27]
	v_mov_b32_e32 v26, 0
	s_and_saveexec_b32 s24, s4
	s_cbranch_execnz .LBB99_15
; %bb.11:                               ;   in Loop: Header=BB99_4 Depth=1
	s_or_b32 exec_lo, exec_lo, s24
	s_and_saveexec_b32 s5, vcc_lo
	s_cbranch_execnz .LBB99_16
.LBB99_12:                              ;   in Loop: Header=BB99_4 Depth=1
	s_wait_alu 0xfffe
	s_or_b32 exec_lo, exec_lo, s5
	s_and_saveexec_b32 s5, s2
	s_cbranch_execnz .LBB99_17
.LBB99_13:                              ;   in Loop: Header=BB99_4 Depth=1
	s_wait_alu 0xfffe
	s_or_b32 exec_lo, exec_lo, s5
	s_and_saveexec_b32 s2, s3
	s_cbranch_execnz .LBB99_18
.LBB99_14:                              ;   in Loop: Header=BB99_4 Depth=1
	s_wait_alu 0xfffe
	s_or_b32 exec_lo, exec_lo, s2
	s_and_saveexec_b32 s2, s4
	s_cbranch_execz .LBB99_3
	s_branch .LBB99_19
.LBB99_15:                              ;   in Loop: Header=BB99_4 Depth=1
	v_add_co_u32 v26, s5, v5, s10
	s_wait_alu 0xf1ff
	v_add_co_ci_u32_e64 v27, null, s11, v6, s5
	global_load_u16 v26, v[26:27], off
	s_or_b32 exec_lo, exec_lo, s24
	s_and_saveexec_b32 s5, vcc_lo
	s_cbranch_execz .LBB99_12
.LBB99_16:                              ;   in Loop: Header=BB99_4 Depth=1
	v_add_co_u32 v27, vcc_lo, v3, s10
	s_wait_loadcnt 0x0
	v_sub_nc_u16 v24, v24, s22
	s_wait_alu 0xfffd
	v_add_co_ci_u32_e64 v28, null, s11, v4, vcc_lo
	global_store_b16 v[27:28], v24, off
	s_wait_alu 0xfffe
	s_or_b32 exec_lo, exec_lo, s5
	s_and_saveexec_b32 s5, s2
	s_cbranch_execz .LBB99_13
.LBB99_17:                              ;   in Loop: Header=BB99_4 Depth=1
	s_wait_loadcnt 0x0
	v_add_co_u32 v24, vcc_lo, v21, s10
	v_sub_nc_u16 v27, v25, s22
	s_wait_alu 0xfffd
	v_add_co_ci_u32_e64 v25, null, s11, v22, vcc_lo
	global_store_b16 v[24:25], v27, off
	s_wait_alu 0xfffe
	s_or_b32 exec_lo, exec_lo, s5
	s_and_saveexec_b32 s2, s3
	s_cbranch_execz .LBB99_14
.LBB99_18:                              ;   in Loop: Header=BB99_4 Depth=1
	s_wait_loadcnt 0x0
	v_sub_nc_u16 v25, v23, s22
	v_add_co_u32 v23, vcc_lo, v14, s10
	s_wait_alu 0xfffd
	v_add_co_ci_u32_e64 v24, null, s11, v15, vcc_lo
	global_store_b16 v[23:24], v25, off
	s_wait_alu 0xfffe
	s_or_b32 exec_lo, exec_lo, s2
	s_and_saveexec_b32 s2, s4
	s_cbranch_execz .LBB99_3
.LBB99_19:                              ;   in Loop: Header=BB99_4 Depth=1
	s_wait_loadcnt 0x0
	v_add_co_u32 v23, vcc_lo, v7, s10
	v_sub_nc_u16 v25, v26, s22
	s_wait_alu 0xfffd
	v_add_co_ci_u32_e64 v24, null, s11, v8, vcc_lo
	global_store_b16 v[23:24], v25, off
	s_branch .LBB99_3
.LBB99_20:
	s_mov_b32 s2, 0
.LBB99_21:
	s_wait_alu 0xfffe
	s_and_not1_b32 vcc_lo, exec_lo, s2
	s_wait_alu 0xfffe
	s_cbranch_vccnz .LBB99_25
; %bb.22:
	v_cmp_gt_i64_e64 s2, 0x10000, s[12:13]
	v_dual_mov_b32 v2, 0 :: v_dual_lshlrev_b32 v1, 2, v0
	s_mov_b32 s4, 0
	s_mov_b32 s5, exec_lo
	s_and_b32 s2, s2, exec_lo
	s_cselect_b32 s3, s13, 0
	s_cselect_b32 s2, s12, 0x10000
	s_wait_alu 0xfffe
	v_cmpx_gt_i64_e64 s[2:3], v[1:2]
	s_cbranch_execz .LBB99_25
; %bb.23:
	s_load_b32 s0, s[0:1], 0xc5c
	v_lshlrev_b32_e32 v3, 3, v0
	v_mov_b32_e32 v1, v2
	s_delay_alu instid0(VALU_DEP_2) | instskip(NEXT) | instid1(VALU_DEP_1)
	v_add_co_u32 v2, s1, s10, v3
	v_add_co_ci_u32_e64 v3, null, s11, 0, s1
	s_wait_kmcnt 0x0
	s_and_b32 s1, s0, 0xffff
	s_wait_alu 0xfffe
	s_lshl_b32 s5, s1, 3
.LBB99_24:                              ; =>This Inner Loop Header: Depth=1
	v_add_co_u32 v4, vcc_lo, s6, v2
	s_wait_alu 0xfffd
	v_add_co_ci_u32_e64 v5, null, s7, v3, vcc_lo
	v_add_co_u32 v0, vcc_lo, v0, s1
	s_wait_alu 0xfffd
	v_add_co_ci_u32_e64 v1, null, 0, v1, vcc_lo
	global_load_b64 v[4:5], v[4:5], off
	v_add_co_u32 v6, vcc_lo, s8, v2
	v_lshlrev_b64_e32 v[8:9], 2, v[0:1]
	s_wait_alu 0xfffd
	v_add_co_ci_u32_e64 v7, null, s9, v3, vcc_lo
	s_wait_alu 0xfffe
	v_add_co_u32 v2, vcc_lo, v2, s5
	s_wait_alu 0xfffd
	v_add_co_ci_u32_e64 v3, null, 0, v3, vcc_lo
	v_cmp_le_i64_e64 s0, s[2:3], v[8:9]
	s_or_b32 s4, s0, s4
	s_wait_loadcnt 0x0
	v_lshrrev_b32_e32 v10, 16, v5
	v_lshrrev_b32_e32 v11, 16, v4
	v_sub_nc_u16 v4, v4, s22
	v_sub_nc_u16 v5, v5, s22
	s_delay_alu instid0(VALU_DEP_4) | instskip(NEXT) | instid1(VALU_DEP_4)
	v_sub_nc_u16 v10, v10, s22
	v_sub_nc_u16 v11, v11, s22
	s_delay_alu instid0(VALU_DEP_2) | instskip(NEXT) | instid1(VALU_DEP_2)
	v_perm_b32 v5, v10, v5, 0x5040100
	v_perm_b32 v4, v11, v4, 0x5040100
	global_store_b64 v[6:7], v[4:5], off
	s_wait_alu 0xfffe
	s_and_not1_b32 exec_lo, exec_lo, s4
	s_cbranch_execnz .LBB99_24
.LBB99_25:
	s_endpgm
	.section	.rodata,"a",@progbits
	.p2align	6, 0x0
	.amdhsa_kernel _ZN2at6native12_GLOBAL__N_125multi_tensor_apply_kernelINS1_18TensorListMetadataILi2EEENS1_21BinaryOpScalarFunctorIsLi2ELi1ELi1EEEJSt5minusIsEsEEEvT_T0_DpT1_
		.amdhsa_group_segment_fixed_size 0
		.amdhsa_private_segment_fixed_size 0
		.amdhsa_kernarg_size 3408
		.amdhsa_user_sgpr_count 2
		.amdhsa_user_sgpr_dispatch_ptr 0
		.amdhsa_user_sgpr_queue_ptr 0
		.amdhsa_user_sgpr_kernarg_segment_ptr 1
		.amdhsa_user_sgpr_dispatch_id 0
		.amdhsa_user_sgpr_private_segment_size 0
		.amdhsa_wavefront_size32 1
		.amdhsa_uses_dynamic_stack 0
		.amdhsa_enable_private_segment 0
		.amdhsa_system_sgpr_workgroup_id_x 1
		.amdhsa_system_sgpr_workgroup_id_y 0
		.amdhsa_system_sgpr_workgroup_id_z 0
		.amdhsa_system_sgpr_workgroup_info 0
		.amdhsa_system_vgpr_workitem_id 0
		.amdhsa_next_free_vgpr 29
		.amdhsa_next_free_sgpr 25
		.amdhsa_reserve_vcc 1
		.amdhsa_float_round_mode_32 0
		.amdhsa_float_round_mode_16_64 0
		.amdhsa_float_denorm_mode_32 3
		.amdhsa_float_denorm_mode_16_64 3
		.amdhsa_fp16_overflow 0
		.amdhsa_workgroup_processor_mode 1
		.amdhsa_memory_ordered 1
		.amdhsa_forward_progress 1
		.amdhsa_inst_pref_size 14
		.amdhsa_round_robin_scheduling 0
		.amdhsa_exception_fp_ieee_invalid_op 0
		.amdhsa_exception_fp_denorm_src 0
		.amdhsa_exception_fp_ieee_div_zero 0
		.amdhsa_exception_fp_ieee_overflow 0
		.amdhsa_exception_fp_ieee_underflow 0
		.amdhsa_exception_fp_ieee_inexact 0
		.amdhsa_exception_int_div_zero 0
	.end_amdhsa_kernel
	.section	.text._ZN2at6native12_GLOBAL__N_125multi_tensor_apply_kernelINS1_18TensorListMetadataILi2EEENS1_21BinaryOpScalarFunctorIsLi2ELi1ELi1EEEJSt5minusIsEsEEEvT_T0_DpT1_,"axG",@progbits,_ZN2at6native12_GLOBAL__N_125multi_tensor_apply_kernelINS1_18TensorListMetadataILi2EEENS1_21BinaryOpScalarFunctorIsLi2ELi1ELi1EEEJSt5minusIsEsEEEvT_T0_DpT1_,comdat
.Lfunc_end99:
	.size	_ZN2at6native12_GLOBAL__N_125multi_tensor_apply_kernelINS1_18TensorListMetadataILi2EEENS1_21BinaryOpScalarFunctorIsLi2ELi1ELi1EEEJSt5minusIsEsEEEvT_T0_DpT1_, .Lfunc_end99-_ZN2at6native12_GLOBAL__N_125multi_tensor_apply_kernelINS1_18TensorListMetadataILi2EEENS1_21BinaryOpScalarFunctorIsLi2ELi1ELi1EEEJSt5minusIsEsEEEvT_T0_DpT1_
                                        ; -- End function
	.set _ZN2at6native12_GLOBAL__N_125multi_tensor_apply_kernelINS1_18TensorListMetadataILi2EEENS1_21BinaryOpScalarFunctorIsLi2ELi1ELi1EEEJSt5minusIsEsEEEvT_T0_DpT1_.num_vgpr, 29
	.set _ZN2at6native12_GLOBAL__N_125multi_tensor_apply_kernelINS1_18TensorListMetadataILi2EEENS1_21BinaryOpScalarFunctorIsLi2ELi1ELi1EEEJSt5minusIsEsEEEvT_T0_DpT1_.num_agpr, 0
	.set _ZN2at6native12_GLOBAL__N_125multi_tensor_apply_kernelINS1_18TensorListMetadataILi2EEENS1_21BinaryOpScalarFunctorIsLi2ELi1ELi1EEEJSt5minusIsEsEEEvT_T0_DpT1_.numbered_sgpr, 25
	.set _ZN2at6native12_GLOBAL__N_125multi_tensor_apply_kernelINS1_18TensorListMetadataILi2EEENS1_21BinaryOpScalarFunctorIsLi2ELi1ELi1EEEJSt5minusIsEsEEEvT_T0_DpT1_.num_named_barrier, 0
	.set _ZN2at6native12_GLOBAL__N_125multi_tensor_apply_kernelINS1_18TensorListMetadataILi2EEENS1_21BinaryOpScalarFunctorIsLi2ELi1ELi1EEEJSt5minusIsEsEEEvT_T0_DpT1_.private_seg_size, 0
	.set _ZN2at6native12_GLOBAL__N_125multi_tensor_apply_kernelINS1_18TensorListMetadataILi2EEENS1_21BinaryOpScalarFunctorIsLi2ELi1ELi1EEEJSt5minusIsEsEEEvT_T0_DpT1_.uses_vcc, 1
	.set _ZN2at6native12_GLOBAL__N_125multi_tensor_apply_kernelINS1_18TensorListMetadataILi2EEENS1_21BinaryOpScalarFunctorIsLi2ELi1ELi1EEEJSt5minusIsEsEEEvT_T0_DpT1_.uses_flat_scratch, 0
	.set _ZN2at6native12_GLOBAL__N_125multi_tensor_apply_kernelINS1_18TensorListMetadataILi2EEENS1_21BinaryOpScalarFunctorIsLi2ELi1ELi1EEEJSt5minusIsEsEEEvT_T0_DpT1_.has_dyn_sized_stack, 0
	.set _ZN2at6native12_GLOBAL__N_125multi_tensor_apply_kernelINS1_18TensorListMetadataILi2EEENS1_21BinaryOpScalarFunctorIsLi2ELi1ELi1EEEJSt5minusIsEsEEEvT_T0_DpT1_.has_recursion, 0
	.set _ZN2at6native12_GLOBAL__N_125multi_tensor_apply_kernelINS1_18TensorListMetadataILi2EEENS1_21BinaryOpScalarFunctorIsLi2ELi1ELi1EEEJSt5minusIsEsEEEvT_T0_DpT1_.has_indirect_call, 0
	.section	.AMDGPU.csdata,"",@progbits
; Kernel info:
; codeLenInByte = 1712
; TotalNumSgprs: 27
; NumVgprs: 29
; ScratchSize: 0
; MemoryBound: 0
; FloatMode: 240
; IeeeMode: 1
; LDSByteSize: 0 bytes/workgroup (compile time only)
; SGPRBlocks: 0
; VGPRBlocks: 3
; NumSGPRsForWavesPerEU: 27
; NumVGPRsForWavesPerEU: 29
; Occupancy: 16
; WaveLimiterHint : 0
; COMPUTE_PGM_RSRC2:SCRATCH_EN: 0
; COMPUTE_PGM_RSRC2:USER_SGPR: 2
; COMPUTE_PGM_RSRC2:TRAP_HANDLER: 0
; COMPUTE_PGM_RSRC2:TGID_X_EN: 1
; COMPUTE_PGM_RSRC2:TGID_Y_EN: 0
; COMPUTE_PGM_RSRC2:TGID_Z_EN: 0
; COMPUTE_PGM_RSRC2:TIDIG_COMP_CNT: 0
	.section	.text._ZN2at6native12_GLOBAL__N_125multi_tensor_apply_kernelINS1_18TensorListMetadataILi2EEENS1_21BinaryOpScalarFunctorIdLi2ELi1ELi1EEEJSt5minusIdEdEEEvT_T0_DpT1_,"axG",@progbits,_ZN2at6native12_GLOBAL__N_125multi_tensor_apply_kernelINS1_18TensorListMetadataILi2EEENS1_21BinaryOpScalarFunctorIdLi2ELi1ELi1EEEJSt5minusIdEdEEEvT_T0_DpT1_,comdat
	.globl	_ZN2at6native12_GLOBAL__N_125multi_tensor_apply_kernelINS1_18TensorListMetadataILi2EEENS1_21BinaryOpScalarFunctorIdLi2ELi1ELi1EEEJSt5minusIdEdEEEvT_T0_DpT1_ ; -- Begin function _ZN2at6native12_GLOBAL__N_125multi_tensor_apply_kernelINS1_18TensorListMetadataILi2EEENS1_21BinaryOpScalarFunctorIdLi2ELi1ELi1EEEJSt5minusIdEdEEEvT_T0_DpT1_
	.p2align	8
	.type	_ZN2at6native12_GLOBAL__N_125multi_tensor_apply_kernelINS1_18TensorListMetadataILi2EEENS1_21BinaryOpScalarFunctorIdLi2ELi1ELi1EEEJSt5minusIdEdEEEvT_T0_DpT1_,@function
_ZN2at6native12_GLOBAL__N_125multi_tensor_apply_kernelINS1_18TensorListMetadataILi2EEENS1_21BinaryOpScalarFunctorIdLi2ELi1ELi1EEEJSt5minusIdEdEEEvT_T0_DpT1_: ; @_ZN2at6native12_GLOBAL__N_125multi_tensor_apply_kernelINS1_18TensorListMetadataILi2EEENS1_21BinaryOpScalarFunctorIdLi2ELi1ELi1EEEJSt5minusIdEdEEEvT_T0_DpT1_
; %bb.0:
	s_load_u8 s8, s[0:1], ttmp9 offset:0x600
	s_mov_b32 s2, ttmp9
	s_mov_b32 s3, 0
	s_delay_alu instid0(SALU_CYCLE_1)
	s_mul_u64 s[4:5], s[2:3], 3
	s_add_nc_u64 s[6:7], s[0:1], s[2:3]
	s_mov_b32 s17, s3
	s_add_nc_u64 s[4:5], s[6:7], s[4:5]
	s_mov_b32 s19, s3
	s_load_b32 s4, s[4:5], 0x740
	s_wait_kmcnt 0x0
	s_lshl_b32 s2, s8, 3
	s_clause 0x3
	s_load_b64 s[6:7], s[0:1], s2 offset:0x0
	s_load_b64 s[8:9], s[0:1], s2 offset:0x200
	;; [unrolled: 1-line block ×3, first 2 shown]
	s_load_b64 s[10:11], s[0:1], 0xc50
	s_ashr_i32 s5, s4, 31
	s_delay_alu instid0(SALU_CYCLE_1)
	s_lshl_b64 s[12:13], s[4:5], 19
	s_lshl_b64 s[4:5], s[4:5], 16
	s_wait_kmcnt 0x0
	s_add_nc_u64 s[20:21], s[6:7], s[12:13]
	s_and_b32 s16, s8, 31
	s_and_b32 s18, s14, 3
	;; [unrolled: 1-line block ×3, first 2 shown]
	s_or_b64 s[16:17], s[16:17], s[18:19]
	s_sub_nc_u64 s[14:15], s[14:15], s[4:5]
	s_or_b64 s[2:3], s[16:17], s[2:3]
	s_delay_alu instid0(SALU_CYCLE_1)
	s_cmp_eq_u64 s[2:3], 0
	s_mov_b32 s2, -1
	s_cbranch_scc1 .LBB100_21
; %bb.1:
	v_cmp_lt_i64_e64 s2, s[14:15], 1
	s_and_b32 vcc_lo, exec_lo, s2
	s_cbranch_vccnz .LBB100_20
; %bb.2:
	s_load_b32 s2, s[0:1], 0xc64
	v_cmp_gt_i64_e64 s3, 0x10000, s[14:15]
	v_dual_mov_b32 v2, 0 :: v_dual_lshlrev_b32 v1, 3, v0
	v_cmp_gt_u64_e64 s4, 0x10000, s[14:15]
	s_mov_b32 s17, 0
	s_mov_b64 s[22:23], 0
	s_and_b32 s3, s3, exec_lo
	s_cselect_b32 s19, s15, 0
	s_cselect_b32 s18, s14, 0x10000
	v_add_co_u32 v11, s3, s8, v1
	v_add_co_u32 v9, s5, s6, v1
	v_add_co_ci_u32_e64 v12, null, s9, 0, s3
	v_add_co_ci_u32_e64 v10, null, s7, 0, s5
	s_wait_kmcnt 0x0
	s_and_b32 s2, s2, 0xffff
	s_and_b32 s3, s4, exec_lo
	s_wait_alu 0xfffe
	v_mad_co_u64_u32 v[2:3], null, s2, 24, v[1:2]
	s_cselect_b32 s21, s15, 0
	s_cselect_b32 s20, s14, 0x10000
	s_mul_i32 s4, s2, 3
	s_lshl_b32 s5, s2, 4
	s_wait_alu 0xfffe
	v_add_co_u32 v17, s4, s4, v0
	v_add_co_u32 v13, vcc_lo, s6, v2
	v_add_co_u32 v1, s5, s5, v1
	v_add_co_ci_u32_e64 v14, null, s7, v3, vcc_lo
	v_add_co_u32 v15, vcc_lo, s8, v2
	s_wait_alu 0xf1ff
	v_add_co_ci_u32_e64 v2, null, 0, 0, s5
	v_add_co_ci_u32_e64 v18, null, 0, 0, s4
	v_add_co_u32 v21, s4, v0, s2
	s_wait_alu 0xfffd
	v_add_co_ci_u32_e64 v16, null, s9, v3, vcc_lo
	v_add_co_u32 v19, vcc_lo, s6, v1
	s_wait_alu 0xfffd
	v_add_co_ci_u32_e64 v20, null, s7, v2, vcc_lo
	v_add_co_u32 v22, vcc_lo, s8, v1
	v_lshlrev_b32_e32 v1, 3, v21
	s_lshl_b32 s3, s2, 1
	s_wait_alu 0xfffd
	v_add_co_ci_u32_e64 v23, null, s9, v2, vcc_lo
	s_wait_alu 0xfffe
	v_add_co_u32 v25, s3, s3, v0
	s_wait_alu 0xf1ff
	v_add_co_ci_u32_e64 v26, null, 0, 0, s3
	v_add_co_u32 v27, s3, s6, v1
	s_wait_alu 0xf1ff
	v_add_co_ci_u32_e64 v28, null, s7, 0, s3
	v_add_co_u32 v29, s3, s8, v1
	v_add_co_ci_u32_e64 v24, null, 0, 0, s4
	s_wait_alu 0xf1ff
	v_add_co_ci_u32_e64 v30, null, s9, 0, s3
	s_lshl_b32 s16, s2, 2
	s_lshl_b32 s24, s2, 5
	s_branch .LBB100_4
.LBB100_3:                              ;   in Loop: Header=BB100_4 Depth=1
	s_wait_alu 0xfffe
	s_or_b32 exec_lo, exec_lo, s2
	v_add_co_u32 v9, vcc_lo, v9, s24
	s_wait_alu 0xfffd
	v_add_co_ci_u32_e64 v10, null, 0, v10, vcc_lo
	v_add_co_u32 v11, vcc_lo, v11, s24
	s_wait_alu 0xfffd
	v_add_co_ci_u32_e64 v12, null, 0, v12, vcc_lo
	;; [unrolled: 3-line block ×5, first 2 shown]
	v_add_co_u32 v22, vcc_lo, v22, s24
	s_add_nc_u64 s[22:23], s[22:23], s[16:17]
	s_wait_alu 0xfffd
	v_add_co_ci_u32_e64 v23, null, 0, v23, vcc_lo
	v_add_co_u32 v27, vcc_lo, v27, s24
	s_wait_alu 0xfffe
	v_cmp_lt_i64_e64 s2, s[22:23], s[18:19]
	s_wait_alu 0xfffd
	v_add_co_ci_u32_e64 v28, null, 0, v28, vcc_lo
	v_add_co_u32 v29, vcc_lo, v29, s24
	s_wait_alu 0xfffd
	v_add_co_ci_u32_e64 v30, null, 0, v30, vcc_lo
	s_and_b32 vcc_lo, exec_lo, s2
	s_wait_alu 0xfffe
	s_cbranch_vccz .LBB100_20
.LBB100_4:                              ; =>This Inner Loop Header: Depth=1
	s_wait_loadcnt 0x0
	v_add_co_u32 v3, s2, v0, s22
	s_wait_alu 0xf1ff
	v_add_co_ci_u32_e64 v4, null, 0, s23, s2
	v_mov_b32_e32 v1, 0
	v_mov_b32_e32 v2, 0
	s_delay_alu instid0(VALU_DEP_3)
	v_cmp_gt_u64_e32 vcc_lo, s[20:21], v[3:4]
	v_mov_b32_e32 v3, 0
	v_mov_b32_e32 v4, 0
	s_and_saveexec_b32 s3, vcc_lo
	s_cbranch_execz .LBB100_6
; %bb.5:                                ;   in Loop: Header=BB100_4 Depth=1
	v_add_co_u32 v3, s2, v9, s12
	s_wait_alu 0xf1ff
	v_add_co_ci_u32_e64 v4, null, s13, v10, s2
	global_load_b64 v[3:4], v[3:4], off
.LBB100_6:                              ;   in Loop: Header=BB100_4 Depth=1
	s_wait_alu 0xfffe
	s_or_b32 exec_lo, exec_lo, s3
	v_add_co_u32 v5, s2, v21, s22
	s_wait_alu 0xf1ff
	v_add_co_ci_u32_e64 v6, null, s23, v24, s2
	s_delay_alu instid0(VALU_DEP_1)
	v_cmp_gt_u64_e64 s2, s[20:21], v[5:6]
	s_and_saveexec_b32 s4, s2
	s_cbranch_execz .LBB100_8
; %bb.7:                                ;   in Loop: Header=BB100_4 Depth=1
	v_add_co_u32 v1, s3, v27, s12
	s_wait_alu 0xf1ff
	v_add_co_ci_u32_e64 v2, null, s13, v28, s3
	global_load_b64 v[1:2], v[1:2], off
.LBB100_8:                              ;   in Loop: Header=BB100_4 Depth=1
	s_wait_alu 0xfffe
	s_or_b32 exec_lo, exec_lo, s4
	v_add_co_u32 v7, s3, v25, s22
	s_wait_alu 0xf1ff
	v_add_co_ci_u32_e64 v8, null, s23, v26, s3
	v_mov_b32_e32 v5, 0
	v_mov_b32_e32 v6, 0
	s_delay_alu instid0(VALU_DEP_3)
	v_cmp_gt_u64_e64 s3, s[20:21], v[7:8]
	v_mov_b32_e32 v7, 0
	v_mov_b32_e32 v8, 0
	s_and_saveexec_b32 s5, s3
	s_cbranch_execz .LBB100_10
; %bb.9:                                ;   in Loop: Header=BB100_4 Depth=1
	v_add_co_u32 v7, s4, v19, s12
	s_wait_alu 0xf1ff
	v_add_co_ci_u32_e64 v8, null, s13, v20, s4
	global_load_b64 v[7:8], v[7:8], off
.LBB100_10:                             ;   in Loop: Header=BB100_4 Depth=1
	s_wait_alu 0xfffe
	s_or_b32 exec_lo, exec_lo, s5
	v_add_co_u32 v31, s4, v17, s22
	s_wait_alu 0xf1ff
	v_add_co_ci_u32_e64 v32, null, s23, v18, s4
	s_delay_alu instid0(VALU_DEP_1)
	v_cmp_gt_u64_e64 s4, s[20:21], v[31:32]
	s_and_saveexec_b32 s25, s4
	s_cbranch_execnz .LBB100_15
; %bb.11:                               ;   in Loop: Header=BB100_4 Depth=1
	s_wait_alu 0xfffe
	s_or_b32 exec_lo, exec_lo, s25
	s_and_saveexec_b32 s5, vcc_lo
	s_cbranch_execnz .LBB100_16
.LBB100_12:                             ;   in Loop: Header=BB100_4 Depth=1
	s_wait_alu 0xfffe
	s_or_b32 exec_lo, exec_lo, s5
	s_and_saveexec_b32 s5, s2
	s_cbranch_execnz .LBB100_17
.LBB100_13:                             ;   in Loop: Header=BB100_4 Depth=1
	s_wait_alu 0xfffe
	s_or_b32 exec_lo, exec_lo, s5
	s_and_saveexec_b32 s2, s3
	s_cbranch_execnz .LBB100_18
.LBB100_14:                             ;   in Loop: Header=BB100_4 Depth=1
	s_wait_alu 0xfffe
	s_or_b32 exec_lo, exec_lo, s2
	s_and_saveexec_b32 s2, s4
	s_cbranch_execz .LBB100_3
	s_branch .LBB100_19
.LBB100_15:                             ;   in Loop: Header=BB100_4 Depth=1
	v_add_co_u32 v5, s5, v13, s12
	s_wait_alu 0xf1ff
	v_add_co_ci_u32_e64 v6, null, s13, v14, s5
	global_load_b64 v[5:6], v[5:6], off
	s_wait_alu 0xfffe
	s_or_b32 exec_lo, exec_lo, s25
	s_and_saveexec_b32 s5, vcc_lo
	s_cbranch_execz .LBB100_12
.LBB100_16:                             ;   in Loop: Header=BB100_4 Depth=1
	s_wait_loadcnt 0x0
	v_add_f64_e64 v[3:4], v[3:4], -s[10:11]
	v_add_co_u32 v31, vcc_lo, v11, s12
	s_wait_alu 0xfffd
	v_add_co_ci_u32_e64 v32, null, s13, v12, vcc_lo
	global_store_b64 v[31:32], v[3:4], off
	s_wait_alu 0xfffe
	s_or_b32 exec_lo, exec_lo, s5
	s_and_saveexec_b32 s5, s2
	s_cbranch_execz .LBB100_13
.LBB100_17:                             ;   in Loop: Header=BB100_4 Depth=1
	s_wait_loadcnt 0x0
	v_add_f64_e64 v[1:2], v[1:2], -s[10:11]
	v_add_co_u32 v3, vcc_lo, v29, s12
	s_wait_alu 0xfffd
	v_add_co_ci_u32_e64 v4, null, s13, v30, vcc_lo
	global_store_b64 v[3:4], v[1:2], off
	s_wait_alu 0xfffe
	s_or_b32 exec_lo, exec_lo, s5
	s_and_saveexec_b32 s2, s3
	s_cbranch_execz .LBB100_14
.LBB100_18:                             ;   in Loop: Header=BB100_4 Depth=1
	s_wait_loadcnt 0x0
	v_add_f64_e64 v[1:2], v[7:8], -s[10:11]
	v_add_co_u32 v3, vcc_lo, v22, s12
	s_wait_alu 0xfffd
	v_add_co_ci_u32_e64 v4, null, s13, v23, vcc_lo
	global_store_b64 v[3:4], v[1:2], off
	s_wait_alu 0xfffe
	s_or_b32 exec_lo, exec_lo, s2
	s_and_saveexec_b32 s2, s4
	s_cbranch_execz .LBB100_3
.LBB100_19:                             ;   in Loop: Header=BB100_4 Depth=1
	s_wait_loadcnt 0x0
	v_add_f64_e64 v[1:2], v[5:6], -s[10:11]
	v_add_co_u32 v3, vcc_lo, v15, s12
	s_wait_alu 0xfffd
	v_add_co_ci_u32_e64 v4, null, s13, v16, vcc_lo
	global_store_b64 v[3:4], v[1:2], off
	s_branch .LBB100_3
.LBB100_20:
	s_mov_b32 s2, 0
.LBB100_21:
	s_wait_alu 0xfffe
	s_and_not1_b32 vcc_lo, exec_lo, s2
	s_wait_alu 0xfffe
	s_cbranch_vccnz .LBB100_25
; %bb.22:
	v_cmp_gt_i64_e64 s2, 0x10000, s[14:15]
	s_wait_loadcnt 0x0
	v_dual_mov_b32 v2, 0 :: v_dual_lshlrev_b32 v1, 2, v0
	s_mov_b32 s4, 0
	s_mov_b32 s5, exec_lo
	s_and_b32 s2, s2, exec_lo
	s_cselect_b32 s3, s15, 0
	s_cselect_b32 s2, s14, 0x10000
	s_wait_alu 0xfffe
	v_cmpx_gt_i64_e64 s[2:3], v[1:2]
	s_cbranch_execz .LBB100_25
; %bb.23:
	s_load_b32 s0, s[0:1], 0xc64
	v_lshlrev_b32_e32 v3, 5, v0
	v_mov_b32_e32 v1, v2
	s_delay_alu instid0(VALU_DEP_2) | instskip(NEXT) | instid1(VALU_DEP_1)
	v_add_co_u32 v2, s1, s12, v3
	v_add_co_ci_u32_e64 v3, null, s13, 0, s1
	s_wait_kmcnt 0x0
	s_and_b32 s1, s0, 0xffff
	s_wait_alu 0xfffe
	s_lshl_b32 s5, s1, 5
.LBB100_24:                             ; =>This Inner Loop Header: Depth=1
	v_add_co_u32 v8, vcc_lo, s6, v2
	s_wait_alu 0xfffd
	v_add_co_ci_u32_e64 v9, null, s7, v3, vcc_lo
	v_add_co_u32 v0, vcc_lo, v0, s1
	s_wait_alu 0xfffd
	v_add_co_ci_u32_e64 v1, null, 0, v1, vcc_lo
	s_clause 0x1
	global_load_b128 v[4:7], v[8:9], off
	global_load_b128 v[8:11], v[8:9], off offset:16
	v_add_co_u32 v14, vcc_lo, s8, v2
	v_lshlrev_b64_e32 v[12:13], 2, v[0:1]
	s_wait_alu 0xfffd
	v_add_co_ci_u32_e64 v15, null, s9, v3, vcc_lo
	s_wait_alu 0xfffe
	v_add_co_u32 v2, s0, v2, s5
	s_wait_alu 0xf1ff
	v_add_co_ci_u32_e64 v3, null, 0, v3, s0
	v_cmp_le_i64_e32 vcc_lo, s[2:3], v[12:13]
	s_or_b32 s4, vcc_lo, s4
	s_wait_loadcnt 0x1
	v_add_f64_e64 v[4:5], v[4:5], -s[10:11]
	v_add_f64_e64 v[6:7], v[6:7], -s[10:11]
	s_wait_loadcnt 0x0
	v_add_f64_e64 v[8:9], v[8:9], -s[10:11]
	v_add_f64_e64 v[10:11], v[10:11], -s[10:11]
	s_clause 0x1
	global_store_b128 v[14:15], v[4:7], off
	global_store_b128 v[14:15], v[8:11], off offset:16
	s_wait_alu 0xfffe
	s_and_not1_b32 exec_lo, exec_lo, s4
	s_cbranch_execnz .LBB100_24
.LBB100_25:
	s_endpgm
	.section	.rodata,"a",@progbits
	.p2align	6, 0x0
	.amdhsa_kernel _ZN2at6native12_GLOBAL__N_125multi_tensor_apply_kernelINS1_18TensorListMetadataILi2EEENS1_21BinaryOpScalarFunctorIdLi2ELi1ELi1EEEJSt5minusIdEdEEEvT_T0_DpT1_
		.amdhsa_group_segment_fixed_size 0
		.amdhsa_private_segment_fixed_size 0
		.amdhsa_kernarg_size 3416
		.amdhsa_user_sgpr_count 2
		.amdhsa_user_sgpr_dispatch_ptr 0
		.amdhsa_user_sgpr_queue_ptr 0
		.amdhsa_user_sgpr_kernarg_segment_ptr 1
		.amdhsa_user_sgpr_dispatch_id 0
		.amdhsa_user_sgpr_private_segment_size 0
		.amdhsa_wavefront_size32 1
		.amdhsa_uses_dynamic_stack 0
		.amdhsa_enable_private_segment 0
		.amdhsa_system_sgpr_workgroup_id_x 1
		.amdhsa_system_sgpr_workgroup_id_y 0
		.amdhsa_system_sgpr_workgroup_id_z 0
		.amdhsa_system_sgpr_workgroup_info 0
		.amdhsa_system_vgpr_workitem_id 0
		.amdhsa_next_free_vgpr 33
		.amdhsa_next_free_sgpr 26
		.amdhsa_reserve_vcc 1
		.amdhsa_float_round_mode_32 0
		.amdhsa_float_round_mode_16_64 0
		.amdhsa_float_denorm_mode_32 3
		.amdhsa_float_denorm_mode_16_64 3
		.amdhsa_fp16_overflow 0
		.amdhsa_workgroup_processor_mode 1
		.amdhsa_memory_ordered 1
		.amdhsa_forward_progress 1
		.amdhsa_inst_pref_size 14
		.amdhsa_round_robin_scheduling 0
		.amdhsa_exception_fp_ieee_invalid_op 0
		.amdhsa_exception_fp_denorm_src 0
		.amdhsa_exception_fp_ieee_div_zero 0
		.amdhsa_exception_fp_ieee_overflow 0
		.amdhsa_exception_fp_ieee_underflow 0
		.amdhsa_exception_fp_ieee_inexact 0
		.amdhsa_exception_int_div_zero 0
	.end_amdhsa_kernel
	.section	.text._ZN2at6native12_GLOBAL__N_125multi_tensor_apply_kernelINS1_18TensorListMetadataILi2EEENS1_21BinaryOpScalarFunctorIdLi2ELi1ELi1EEEJSt5minusIdEdEEEvT_T0_DpT1_,"axG",@progbits,_ZN2at6native12_GLOBAL__N_125multi_tensor_apply_kernelINS1_18TensorListMetadataILi2EEENS1_21BinaryOpScalarFunctorIdLi2ELi1ELi1EEEJSt5minusIdEdEEEvT_T0_DpT1_,comdat
.Lfunc_end100:
	.size	_ZN2at6native12_GLOBAL__N_125multi_tensor_apply_kernelINS1_18TensorListMetadataILi2EEENS1_21BinaryOpScalarFunctorIdLi2ELi1ELi1EEEJSt5minusIdEdEEEvT_T0_DpT1_, .Lfunc_end100-_ZN2at6native12_GLOBAL__N_125multi_tensor_apply_kernelINS1_18TensorListMetadataILi2EEENS1_21BinaryOpScalarFunctorIdLi2ELi1ELi1EEEJSt5minusIdEdEEEvT_T0_DpT1_
                                        ; -- End function
	.set _ZN2at6native12_GLOBAL__N_125multi_tensor_apply_kernelINS1_18TensorListMetadataILi2EEENS1_21BinaryOpScalarFunctorIdLi2ELi1ELi1EEEJSt5minusIdEdEEEvT_T0_DpT1_.num_vgpr, 33
	.set _ZN2at6native12_GLOBAL__N_125multi_tensor_apply_kernelINS1_18TensorListMetadataILi2EEENS1_21BinaryOpScalarFunctorIdLi2ELi1ELi1EEEJSt5minusIdEdEEEvT_T0_DpT1_.num_agpr, 0
	.set _ZN2at6native12_GLOBAL__N_125multi_tensor_apply_kernelINS1_18TensorListMetadataILi2EEENS1_21BinaryOpScalarFunctorIdLi2ELi1ELi1EEEJSt5minusIdEdEEEvT_T0_DpT1_.numbered_sgpr, 26
	.set _ZN2at6native12_GLOBAL__N_125multi_tensor_apply_kernelINS1_18TensorListMetadataILi2EEENS1_21BinaryOpScalarFunctorIdLi2ELi1ELi1EEEJSt5minusIdEdEEEvT_T0_DpT1_.num_named_barrier, 0
	.set _ZN2at6native12_GLOBAL__N_125multi_tensor_apply_kernelINS1_18TensorListMetadataILi2EEENS1_21BinaryOpScalarFunctorIdLi2ELi1ELi1EEEJSt5minusIdEdEEEvT_T0_DpT1_.private_seg_size, 0
	.set _ZN2at6native12_GLOBAL__N_125multi_tensor_apply_kernelINS1_18TensorListMetadataILi2EEENS1_21BinaryOpScalarFunctorIdLi2ELi1ELi1EEEJSt5minusIdEdEEEvT_T0_DpT1_.uses_vcc, 1
	.set _ZN2at6native12_GLOBAL__N_125multi_tensor_apply_kernelINS1_18TensorListMetadataILi2EEENS1_21BinaryOpScalarFunctorIdLi2ELi1ELi1EEEJSt5minusIdEdEEEvT_T0_DpT1_.uses_flat_scratch, 0
	.set _ZN2at6native12_GLOBAL__N_125multi_tensor_apply_kernelINS1_18TensorListMetadataILi2EEENS1_21BinaryOpScalarFunctorIdLi2ELi1ELi1EEEJSt5minusIdEdEEEvT_T0_DpT1_.has_dyn_sized_stack, 0
	.set _ZN2at6native12_GLOBAL__N_125multi_tensor_apply_kernelINS1_18TensorListMetadataILi2EEENS1_21BinaryOpScalarFunctorIdLi2ELi1ELi1EEEJSt5minusIdEdEEEvT_T0_DpT1_.has_recursion, 0
	.set _ZN2at6native12_GLOBAL__N_125multi_tensor_apply_kernelINS1_18TensorListMetadataILi2EEENS1_21BinaryOpScalarFunctorIdLi2ELi1ELi1EEEJSt5minusIdEdEEEvT_T0_DpT1_.has_indirect_call, 0
	.section	.AMDGPU.csdata,"",@progbits
; Kernel info:
; codeLenInByte = 1732
; TotalNumSgprs: 28
; NumVgprs: 33
; ScratchSize: 0
; MemoryBound: 0
; FloatMode: 240
; IeeeMode: 1
; LDSByteSize: 0 bytes/workgroup (compile time only)
; SGPRBlocks: 0
; VGPRBlocks: 4
; NumSGPRsForWavesPerEU: 28
; NumVGPRsForWavesPerEU: 33
; Occupancy: 16
; WaveLimiterHint : 0
; COMPUTE_PGM_RSRC2:SCRATCH_EN: 0
; COMPUTE_PGM_RSRC2:USER_SGPR: 2
; COMPUTE_PGM_RSRC2:TRAP_HANDLER: 0
; COMPUTE_PGM_RSRC2:TGID_X_EN: 1
; COMPUTE_PGM_RSRC2:TGID_Y_EN: 0
; COMPUTE_PGM_RSRC2:TGID_Z_EN: 0
; COMPUTE_PGM_RSRC2:TIDIG_COMP_CNT: 0
	.section	.text._ZN2at6native12_GLOBAL__N_125multi_tensor_apply_kernelINS1_18TensorListMetadataILi2EEENS1_21BinaryOpScalarFunctorIfLi2ELi1ELi1EEEJSt5minusIfEfEEEvT_T0_DpT1_,"axG",@progbits,_ZN2at6native12_GLOBAL__N_125multi_tensor_apply_kernelINS1_18TensorListMetadataILi2EEENS1_21BinaryOpScalarFunctorIfLi2ELi1ELi1EEEJSt5minusIfEfEEEvT_T0_DpT1_,comdat
	.globl	_ZN2at6native12_GLOBAL__N_125multi_tensor_apply_kernelINS1_18TensorListMetadataILi2EEENS1_21BinaryOpScalarFunctorIfLi2ELi1ELi1EEEJSt5minusIfEfEEEvT_T0_DpT1_ ; -- Begin function _ZN2at6native12_GLOBAL__N_125multi_tensor_apply_kernelINS1_18TensorListMetadataILi2EEENS1_21BinaryOpScalarFunctorIfLi2ELi1ELi1EEEJSt5minusIfEfEEEvT_T0_DpT1_
	.p2align	8
	.type	_ZN2at6native12_GLOBAL__N_125multi_tensor_apply_kernelINS1_18TensorListMetadataILi2EEENS1_21BinaryOpScalarFunctorIfLi2ELi1ELi1EEEJSt5minusIfEfEEEvT_T0_DpT1_,@function
_ZN2at6native12_GLOBAL__N_125multi_tensor_apply_kernelINS1_18TensorListMetadataILi2EEENS1_21BinaryOpScalarFunctorIfLi2ELi1ELi1EEEJSt5minusIfEfEEEvT_T0_DpT1_: ; @_ZN2at6native12_GLOBAL__N_125multi_tensor_apply_kernelINS1_18TensorListMetadataILi2EEENS1_21BinaryOpScalarFunctorIfLi2ELi1ELi1EEEJSt5minusIfEfEEEvT_T0_DpT1_
; %bb.0:
	s_load_u8 s8, s[0:1], ttmp9 offset:0x600
	s_mov_b32 s2, ttmp9
	s_mov_b32 s3, 0
	s_delay_alu instid0(SALU_CYCLE_1)
	s_mul_u64 s[4:5], s[2:3], 3
	s_add_nc_u64 s[6:7], s[0:1], s[2:3]
	s_mov_b32 s15, s3
	s_add_nc_u64 s[4:5], s[6:7], s[4:5]
	s_mov_b32 s17, s3
	s_load_b32 s4, s[4:5], 0x740
	s_wait_kmcnt 0x0
	s_lshl_b32 s2, s8, 3
	s_clause 0x3
	s_load_b64 s[6:7], s[0:1], s2 offset:0x0
	s_load_b64 s[8:9], s[0:1], s2 offset:0x200
	;; [unrolled: 1-line block ×3, first 2 shown]
	s_load_b32 s22, s[0:1], 0xc4c
	s_ashr_i32 s5, s4, 31
	s_delay_alu instid0(SALU_CYCLE_1)
	s_lshl_b64 s[10:11], s[4:5], 18
	s_lshl_b64 s[4:5], s[4:5], 16
	s_wait_kmcnt 0x0
	s_add_nc_u64 s[18:19], s[6:7], s[10:11]
	s_and_b32 s14, s8, 15
	s_and_b32 s16, s12, 3
	;; [unrolled: 1-line block ×3, first 2 shown]
	s_or_b64 s[14:15], s[14:15], s[16:17]
	s_sub_nc_u64 s[12:13], s[12:13], s[4:5]
	s_or_b64 s[2:3], s[14:15], s[2:3]
	s_delay_alu instid0(SALU_CYCLE_1)
	s_cmp_eq_u64 s[2:3], 0
	s_mov_b32 s2, -1
	s_cbranch_scc1 .LBB101_21
; %bb.1:
	v_cmp_lt_i64_e64 s2, s[12:13], 1
	s_and_b32 vcc_lo, exec_lo, s2
	s_cbranch_vccnz .LBB101_20
; %bb.2:
	s_load_b32 s2, s[0:1], 0xc5c
	v_cmp_gt_i64_e64 s3, 0x10000, s[12:13]
	v_dual_mov_b32 v10, 0 :: v_dual_lshlrev_b32 v9, 2, v0
	v_cmp_gt_u64_e64 s4, 0x10000, s[12:13]
	s_mov_b32 s15, 0
	s_mov_b64 s[20:21], 0
	s_and_b32 s3, s3, exec_lo
	v_add_co_u32 v3, s3, s8, v9
	v_add_co_u32 v1, s5, s6, v9
	s_cselect_b32 s17, s13, 0
	s_cselect_b32 s16, s12, 0x10000
	v_add_co_ci_u32_e64 v4, null, s9, 0, s3
	v_add_co_ci_u32_e64 v2, null, s7, 0, s5
	s_wait_kmcnt 0x0
	s_and_b32 s2, s2, 0xffff
	s_and_b32 s3, s4, exec_lo
	s_cselect_b32 s19, s13, 0
	s_cselect_b32 s18, s12, 0x10000
	s_wait_alu 0xfffe
	s_mul_i32 s4, s2, 3
	s_lshl_b32 s5, s2, 3
	v_mad_co_u64_u32 v[7:8], null, s2, 12, v[9:10]
	s_wait_alu 0xfffe
	v_add_co_u32 v14, s5, s5, v9
	v_add_co_u32 v9, s4, s4, v0
	s_wait_alu 0xf1ff
	v_add_co_ci_u32_e64 v10, null, 0, 0, s4
	v_add_co_u32 v13, s4, v0, s2
	s_lshl_b32 s3, s2, 1
	v_add_co_u32 v5, vcc_lo, s6, v7
	v_lshlrev_b32_e32 v21, 2, v13
	v_add_co_ci_u32_e64 v15, null, 0, 0, s5
	v_add_co_ci_u32_e64 v6, null, s7, v8, vcc_lo
	v_add_co_u32 v7, vcc_lo, s8, v7
	s_wait_alu 0xfffe
	v_add_co_u32 v17, s3, s3, v0
	s_wait_alu 0xfffd
	v_add_co_ci_u32_e64 v8, null, s9, v8, vcc_lo
	v_add_co_u32 v11, vcc_lo, s6, v14
	s_wait_alu 0xf1ff
	v_add_co_ci_u32_e64 v18, null, 0, 0, s3
	v_add_co_u32 v19, s3, s6, v21
	s_wait_alu 0xfffd
	v_add_co_ci_u32_e64 v12, null, s7, v15, vcc_lo
	v_add_co_u32 v14, vcc_lo, s8, v14
	s_wait_alu 0xf1ff
	v_add_co_ci_u32_e64 v20, null, s7, 0, s3
	v_add_co_u32 v21, s3, s8, v21
	s_wait_alu 0xfffd
	v_add_co_ci_u32_e64 v15, null, s9, v15, vcc_lo
	v_add_co_ci_u32_e64 v16, null, 0, 0, s4
	s_wait_alu 0xf1ff
	v_add_co_ci_u32_e64 v22, null, s9, 0, s3
	s_lshl_b32 s14, s2, 2
	s_lshl_b32 s23, s2, 4
	s_branch .LBB101_4
.LBB101_3:                              ;   in Loop: Header=BB101_4 Depth=1
	s_wait_alu 0xfffe
	s_or_b32 exec_lo, exec_lo, s2
	v_add_co_u32 v1, vcc_lo, v1, s23
	s_wait_alu 0xfffd
	v_add_co_ci_u32_e64 v2, null, 0, v2, vcc_lo
	v_add_co_u32 v3, vcc_lo, v3, s23
	s_wait_alu 0xfffd
	v_add_co_ci_u32_e64 v4, null, 0, v4, vcc_lo
	;; [unrolled: 3-line block ×5, first 2 shown]
	v_add_co_u32 v14, vcc_lo, v14, s23
	s_add_nc_u64 s[20:21], s[20:21], s[14:15]
	s_wait_alu 0xfffd
	v_add_co_ci_u32_e64 v15, null, 0, v15, vcc_lo
	v_add_co_u32 v19, vcc_lo, v19, s23
	s_wait_alu 0xfffe
	v_cmp_lt_i64_e64 s2, s[20:21], s[16:17]
	s_wait_alu 0xfffd
	v_add_co_ci_u32_e64 v20, null, 0, v20, vcc_lo
	v_add_co_u32 v21, vcc_lo, v21, s23
	s_wait_alu 0xfffd
	v_add_co_ci_u32_e64 v22, null, 0, v22, vcc_lo
	s_and_b32 vcc_lo, exec_lo, s2
	s_wait_alu 0xfffe
	s_cbranch_vccz .LBB101_20
.LBB101_4:                              ; =>This Inner Loop Header: Depth=1
	s_wait_loadcnt 0x0
	v_add_co_u32 v23, s2, v0, s20
	s_wait_alu 0xf1ff
	v_add_co_ci_u32_e64 v24, null, 0, s21, s2
	s_delay_alu instid0(VALU_DEP_1)
	v_cmp_gt_u64_e32 vcc_lo, s[18:19], v[23:24]
	v_mov_b32_e32 v24, 0
	s_and_saveexec_b32 s3, vcc_lo
	s_cbranch_execz .LBB101_6
; %bb.5:                                ;   in Loop: Header=BB101_4 Depth=1
	v_add_co_u32 v23, s2, v1, s10
	s_wait_alu 0xf1ff
	v_add_co_ci_u32_e64 v24, null, s11, v2, s2
	global_load_b32 v24, v[23:24], off
.LBB101_6:                              ;   in Loop: Header=BB101_4 Depth=1
	s_wait_alu 0xfffe
	s_or_b32 exec_lo, exec_lo, s3
	v_add_co_u32 v25, s2, v13, s20
	s_wait_alu 0xf1ff
	v_add_co_ci_u32_e64 v26, null, s21, v16, s2
	v_mov_b32_e32 v23, 0
	s_delay_alu instid0(VALU_DEP_2)
	v_cmp_gt_u64_e64 s2, s[18:19], v[25:26]
	v_mov_b32_e32 v25, 0
	s_and_saveexec_b32 s4, s2
	s_cbranch_execz .LBB101_8
; %bb.7:                                ;   in Loop: Header=BB101_4 Depth=1
	v_add_co_u32 v25, s3, v19, s10
	s_wait_alu 0xf1ff
	v_add_co_ci_u32_e64 v26, null, s11, v20, s3
	global_load_b32 v25, v[25:26], off
.LBB101_8:                              ;   in Loop: Header=BB101_4 Depth=1
	s_wait_alu 0xfffe
	s_or_b32 exec_lo, exec_lo, s4
	v_add_co_u32 v26, s3, v17, s20
	s_wait_alu 0xf1ff
	v_add_co_ci_u32_e64 v27, null, s21, v18, s3
	s_delay_alu instid0(VALU_DEP_1)
	v_cmp_gt_u64_e64 s3, s[18:19], v[26:27]
	s_and_saveexec_b32 s5, s3
	s_cbranch_execz .LBB101_10
; %bb.9:                                ;   in Loop: Header=BB101_4 Depth=1
	v_add_co_u32 v26, s4, v11, s10
	s_wait_alu 0xf1ff
	v_add_co_ci_u32_e64 v27, null, s11, v12, s4
	global_load_b32 v23, v[26:27], off
.LBB101_10:                             ;   in Loop: Header=BB101_4 Depth=1
	s_wait_alu 0xfffe
	s_or_b32 exec_lo, exec_lo, s5
	v_add_co_u32 v26, s4, v9, s20
	s_wait_alu 0xf1ff
	v_add_co_ci_u32_e64 v27, null, s21, v10, s4
	s_delay_alu instid0(VALU_DEP_1)
	v_cmp_gt_u64_e64 s4, s[18:19], v[26:27]
	v_mov_b32_e32 v26, 0
	s_and_saveexec_b32 s24, s4
	s_cbranch_execnz .LBB101_15
; %bb.11:                               ;   in Loop: Header=BB101_4 Depth=1
	s_or_b32 exec_lo, exec_lo, s24
	s_and_saveexec_b32 s5, vcc_lo
	s_cbranch_execnz .LBB101_16
.LBB101_12:                             ;   in Loop: Header=BB101_4 Depth=1
	s_wait_alu 0xfffe
	s_or_b32 exec_lo, exec_lo, s5
	s_and_saveexec_b32 s5, s2
	s_cbranch_execnz .LBB101_17
.LBB101_13:                             ;   in Loop: Header=BB101_4 Depth=1
	s_wait_alu 0xfffe
	s_or_b32 exec_lo, exec_lo, s5
	s_and_saveexec_b32 s2, s3
	s_cbranch_execnz .LBB101_18
.LBB101_14:                             ;   in Loop: Header=BB101_4 Depth=1
	s_wait_alu 0xfffe
	s_or_b32 exec_lo, exec_lo, s2
	s_and_saveexec_b32 s2, s4
	s_cbranch_execz .LBB101_3
	s_branch .LBB101_19
.LBB101_15:                             ;   in Loop: Header=BB101_4 Depth=1
	v_add_co_u32 v26, s5, v5, s10
	s_wait_alu 0xf1ff
	v_add_co_ci_u32_e64 v27, null, s11, v6, s5
	global_load_b32 v26, v[26:27], off
	s_or_b32 exec_lo, exec_lo, s24
	s_and_saveexec_b32 s5, vcc_lo
	s_cbranch_execz .LBB101_12
.LBB101_16:                             ;   in Loop: Header=BB101_4 Depth=1
	v_add_co_u32 v27, vcc_lo, v3, s10
	s_wait_loadcnt 0x0
	v_subrev_f32_e32 v24, s22, v24
	s_wait_alu 0xfffd
	v_add_co_ci_u32_e64 v28, null, s11, v4, vcc_lo
	global_store_b32 v[27:28], v24, off
	s_wait_alu 0xfffe
	s_or_b32 exec_lo, exec_lo, s5
	s_and_saveexec_b32 s5, s2
	s_cbranch_execz .LBB101_13
.LBB101_17:                             ;   in Loop: Header=BB101_4 Depth=1
	s_wait_loadcnt 0x0
	v_add_co_u32 v24, vcc_lo, v21, s10
	v_subrev_f32_e32 v27, s22, v25
	s_wait_alu 0xfffd
	v_add_co_ci_u32_e64 v25, null, s11, v22, vcc_lo
	global_store_b32 v[24:25], v27, off
	s_wait_alu 0xfffe
	s_or_b32 exec_lo, exec_lo, s5
	s_and_saveexec_b32 s2, s3
	s_cbranch_execz .LBB101_14
.LBB101_18:                             ;   in Loop: Header=BB101_4 Depth=1
	s_wait_loadcnt 0x0
	v_subrev_f32_e32 v25, s22, v23
	v_add_co_u32 v23, vcc_lo, v14, s10
	s_wait_alu 0xfffd
	v_add_co_ci_u32_e64 v24, null, s11, v15, vcc_lo
	global_store_b32 v[23:24], v25, off
	s_wait_alu 0xfffe
	s_or_b32 exec_lo, exec_lo, s2
	s_and_saveexec_b32 s2, s4
	s_cbranch_execz .LBB101_3
.LBB101_19:                             ;   in Loop: Header=BB101_4 Depth=1
	s_wait_loadcnt 0x0
	v_add_co_u32 v23, vcc_lo, v7, s10
	v_subrev_f32_e32 v25, s22, v26
	s_wait_alu 0xfffd
	v_add_co_ci_u32_e64 v24, null, s11, v8, vcc_lo
	global_store_b32 v[23:24], v25, off
	s_branch .LBB101_3
.LBB101_20:
	s_mov_b32 s2, 0
.LBB101_21:
	s_wait_alu 0xfffe
	s_and_not1_b32 vcc_lo, exec_lo, s2
	s_wait_alu 0xfffe
	s_cbranch_vccnz .LBB101_25
; %bb.22:
	v_cmp_gt_i64_e64 s2, 0x10000, s[12:13]
	v_dual_mov_b32 v2, 0 :: v_dual_lshlrev_b32 v1, 2, v0
	s_mov_b32 s4, 0
	s_mov_b32 s5, exec_lo
	s_and_b32 s2, s2, exec_lo
	s_cselect_b32 s3, s13, 0
	s_cselect_b32 s2, s12, 0x10000
	s_wait_alu 0xfffe
	v_cmpx_gt_i64_e64 s[2:3], v[1:2]
	s_cbranch_execz .LBB101_25
; %bb.23:
	s_load_b32 s0, s[0:1], 0xc5c
	v_lshlrev_b32_e32 v3, 4, v0
	v_mov_b32_e32 v1, v2
	s_delay_alu instid0(VALU_DEP_2) | instskip(NEXT) | instid1(VALU_DEP_1)
	v_add_co_u32 v2, s1, s10, v3
	v_add_co_ci_u32_e64 v3, null, s11, 0, s1
	s_wait_kmcnt 0x0
	s_and_b32 s1, s0, 0xffff
	s_wait_alu 0xfffe
	s_lshl_b32 s5, s1, 4
.LBB101_24:                             ; =>This Inner Loop Header: Depth=1
	v_add_co_u32 v4, vcc_lo, s6, v2
	s_wait_alu 0xfffd
	v_add_co_ci_u32_e64 v5, null, s7, v3, vcc_lo
	v_add_co_u32 v0, vcc_lo, v0, s1
	s_wait_alu 0xfffd
	v_add_co_ci_u32_e64 v1, null, 0, v1, vcc_lo
	global_load_b128 v[4:7], v[4:5], off
	v_add_co_u32 v8, vcc_lo, s8, v2
	v_lshlrev_b64_e32 v[10:11], 2, v[0:1]
	s_wait_alu 0xfffd
	v_add_co_ci_u32_e64 v9, null, s9, v3, vcc_lo
	s_wait_alu 0xfffe
	v_add_co_u32 v2, vcc_lo, v2, s5
	s_wait_alu 0xfffd
	v_add_co_ci_u32_e64 v3, null, 0, v3, vcc_lo
	v_cmp_le_i64_e64 s0, s[2:3], v[10:11]
	s_or_b32 s4, s0, s4
	s_wait_loadcnt 0x0
	v_dual_subrev_f32 v4, s22, v4 :: v_dual_subrev_f32 v5, s22, v5
	v_dual_subrev_f32 v6, s22, v6 :: v_dual_subrev_f32 v7, s22, v7
	global_store_b128 v[8:9], v[4:7], off
	s_wait_alu 0xfffe
	s_and_not1_b32 exec_lo, exec_lo, s4
	s_cbranch_execnz .LBB101_24
.LBB101_25:
	s_endpgm
	.section	.rodata,"a",@progbits
	.p2align	6, 0x0
	.amdhsa_kernel _ZN2at6native12_GLOBAL__N_125multi_tensor_apply_kernelINS1_18TensorListMetadataILi2EEENS1_21BinaryOpScalarFunctorIfLi2ELi1ELi1EEEJSt5minusIfEfEEEvT_T0_DpT1_
		.amdhsa_group_segment_fixed_size 0
		.amdhsa_private_segment_fixed_size 0
		.amdhsa_kernarg_size 3408
		.amdhsa_user_sgpr_count 2
		.amdhsa_user_sgpr_dispatch_ptr 0
		.amdhsa_user_sgpr_queue_ptr 0
		.amdhsa_user_sgpr_kernarg_segment_ptr 1
		.amdhsa_user_sgpr_dispatch_id 0
		.amdhsa_user_sgpr_private_segment_size 0
		.amdhsa_wavefront_size32 1
		.amdhsa_uses_dynamic_stack 0
		.amdhsa_enable_private_segment 0
		.amdhsa_system_sgpr_workgroup_id_x 1
		.amdhsa_system_sgpr_workgroup_id_y 0
		.amdhsa_system_sgpr_workgroup_id_z 0
		.amdhsa_system_sgpr_workgroup_info 0
		.amdhsa_system_vgpr_workitem_id 0
		.amdhsa_next_free_vgpr 29
		.amdhsa_next_free_sgpr 25
		.amdhsa_reserve_vcc 1
		.amdhsa_float_round_mode_32 0
		.amdhsa_float_round_mode_16_64 0
		.amdhsa_float_denorm_mode_32 3
		.amdhsa_float_denorm_mode_16_64 3
		.amdhsa_fp16_overflow 0
		.amdhsa_workgroup_processor_mode 1
		.amdhsa_memory_ordered 1
		.amdhsa_forward_progress 1
		.amdhsa_inst_pref_size 13
		.amdhsa_round_robin_scheduling 0
		.amdhsa_exception_fp_ieee_invalid_op 0
		.amdhsa_exception_fp_denorm_src 0
		.amdhsa_exception_fp_ieee_div_zero 0
		.amdhsa_exception_fp_ieee_overflow 0
		.amdhsa_exception_fp_ieee_underflow 0
		.amdhsa_exception_fp_ieee_inexact 0
		.amdhsa_exception_int_div_zero 0
	.end_amdhsa_kernel
	.section	.text._ZN2at6native12_GLOBAL__N_125multi_tensor_apply_kernelINS1_18TensorListMetadataILi2EEENS1_21BinaryOpScalarFunctorIfLi2ELi1ELi1EEEJSt5minusIfEfEEEvT_T0_DpT1_,"axG",@progbits,_ZN2at6native12_GLOBAL__N_125multi_tensor_apply_kernelINS1_18TensorListMetadataILi2EEENS1_21BinaryOpScalarFunctorIfLi2ELi1ELi1EEEJSt5minusIfEfEEEvT_T0_DpT1_,comdat
.Lfunc_end101:
	.size	_ZN2at6native12_GLOBAL__N_125multi_tensor_apply_kernelINS1_18TensorListMetadataILi2EEENS1_21BinaryOpScalarFunctorIfLi2ELi1ELi1EEEJSt5minusIfEfEEEvT_T0_DpT1_, .Lfunc_end101-_ZN2at6native12_GLOBAL__N_125multi_tensor_apply_kernelINS1_18TensorListMetadataILi2EEENS1_21BinaryOpScalarFunctorIfLi2ELi1ELi1EEEJSt5minusIfEfEEEvT_T0_DpT1_
                                        ; -- End function
	.set _ZN2at6native12_GLOBAL__N_125multi_tensor_apply_kernelINS1_18TensorListMetadataILi2EEENS1_21BinaryOpScalarFunctorIfLi2ELi1ELi1EEEJSt5minusIfEfEEEvT_T0_DpT1_.num_vgpr, 29
	.set _ZN2at6native12_GLOBAL__N_125multi_tensor_apply_kernelINS1_18TensorListMetadataILi2EEENS1_21BinaryOpScalarFunctorIfLi2ELi1ELi1EEEJSt5minusIfEfEEEvT_T0_DpT1_.num_agpr, 0
	.set _ZN2at6native12_GLOBAL__N_125multi_tensor_apply_kernelINS1_18TensorListMetadataILi2EEENS1_21BinaryOpScalarFunctorIfLi2ELi1ELi1EEEJSt5minusIfEfEEEvT_T0_DpT1_.numbered_sgpr, 25
	.set _ZN2at6native12_GLOBAL__N_125multi_tensor_apply_kernelINS1_18TensorListMetadataILi2EEENS1_21BinaryOpScalarFunctorIfLi2ELi1ELi1EEEJSt5minusIfEfEEEvT_T0_DpT1_.num_named_barrier, 0
	.set _ZN2at6native12_GLOBAL__N_125multi_tensor_apply_kernelINS1_18TensorListMetadataILi2EEENS1_21BinaryOpScalarFunctorIfLi2ELi1ELi1EEEJSt5minusIfEfEEEvT_T0_DpT1_.private_seg_size, 0
	.set _ZN2at6native12_GLOBAL__N_125multi_tensor_apply_kernelINS1_18TensorListMetadataILi2EEENS1_21BinaryOpScalarFunctorIfLi2ELi1ELi1EEEJSt5minusIfEfEEEvT_T0_DpT1_.uses_vcc, 1
	.set _ZN2at6native12_GLOBAL__N_125multi_tensor_apply_kernelINS1_18TensorListMetadataILi2EEENS1_21BinaryOpScalarFunctorIfLi2ELi1ELi1EEEJSt5minusIfEfEEEvT_T0_DpT1_.uses_flat_scratch, 0
	.set _ZN2at6native12_GLOBAL__N_125multi_tensor_apply_kernelINS1_18TensorListMetadataILi2EEENS1_21BinaryOpScalarFunctorIfLi2ELi1ELi1EEEJSt5minusIfEfEEEvT_T0_DpT1_.has_dyn_sized_stack, 0
	.set _ZN2at6native12_GLOBAL__N_125multi_tensor_apply_kernelINS1_18TensorListMetadataILi2EEENS1_21BinaryOpScalarFunctorIfLi2ELi1ELi1EEEJSt5minusIfEfEEEvT_T0_DpT1_.has_recursion, 0
	.set _ZN2at6native12_GLOBAL__N_125multi_tensor_apply_kernelINS1_18TensorListMetadataILi2EEENS1_21BinaryOpScalarFunctorIfLi2ELi1ELi1EEEJSt5minusIfEfEEEvT_T0_DpT1_.has_indirect_call, 0
	.section	.AMDGPU.csdata,"",@progbits
; Kernel info:
; codeLenInByte = 1640
; TotalNumSgprs: 27
; NumVgprs: 29
; ScratchSize: 0
; MemoryBound: 0
; FloatMode: 240
; IeeeMode: 1
; LDSByteSize: 0 bytes/workgroup (compile time only)
; SGPRBlocks: 0
; VGPRBlocks: 3
; NumSGPRsForWavesPerEU: 27
; NumVGPRsForWavesPerEU: 29
; Occupancy: 16
; WaveLimiterHint : 0
; COMPUTE_PGM_RSRC2:SCRATCH_EN: 0
; COMPUTE_PGM_RSRC2:USER_SGPR: 2
; COMPUTE_PGM_RSRC2:TRAP_HANDLER: 0
; COMPUTE_PGM_RSRC2:TGID_X_EN: 1
; COMPUTE_PGM_RSRC2:TGID_Y_EN: 0
; COMPUTE_PGM_RSRC2:TGID_Z_EN: 0
; COMPUTE_PGM_RSRC2:TIDIG_COMP_CNT: 0
	.section	.text._ZN2at6native12_GLOBAL__N_125multi_tensor_apply_kernelINS1_18TensorListMetadataILi2EEENS1_21BinaryOpScalarFunctorIN3c107complexIdEELi2ELi1ELi1EEEJSt5minusIS8_ES8_EEEvT_T0_DpT1_,"axG",@progbits,_ZN2at6native12_GLOBAL__N_125multi_tensor_apply_kernelINS1_18TensorListMetadataILi2EEENS1_21BinaryOpScalarFunctorIN3c107complexIdEELi2ELi1ELi1EEEJSt5minusIS8_ES8_EEEvT_T0_DpT1_,comdat
	.globl	_ZN2at6native12_GLOBAL__N_125multi_tensor_apply_kernelINS1_18TensorListMetadataILi2EEENS1_21BinaryOpScalarFunctorIN3c107complexIdEELi2ELi1ELi1EEEJSt5minusIS8_ES8_EEEvT_T0_DpT1_ ; -- Begin function _ZN2at6native12_GLOBAL__N_125multi_tensor_apply_kernelINS1_18TensorListMetadataILi2EEENS1_21BinaryOpScalarFunctorIN3c107complexIdEELi2ELi1ELi1EEEJSt5minusIS8_ES8_EEEvT_T0_DpT1_
	.p2align	8
	.type	_ZN2at6native12_GLOBAL__N_125multi_tensor_apply_kernelINS1_18TensorListMetadataILi2EEENS1_21BinaryOpScalarFunctorIN3c107complexIdEELi2ELi1ELi1EEEJSt5minusIS8_ES8_EEEvT_T0_DpT1_,@function
_ZN2at6native12_GLOBAL__N_125multi_tensor_apply_kernelINS1_18TensorListMetadataILi2EEENS1_21BinaryOpScalarFunctorIN3c107complexIdEELi2ELi1ELi1EEEJSt5minusIS8_ES8_EEEvT_T0_DpT1_: ; @_ZN2at6native12_GLOBAL__N_125multi_tensor_apply_kernelINS1_18TensorListMetadataILi2EEENS1_21BinaryOpScalarFunctorIN3c107complexIdEELi2ELi1ELi1EEEJSt5minusIS8_ES8_EEEvT_T0_DpT1_
; %bb.0:
	s_mov_b32 s2, ttmp9
	s_mov_b32 s3, 0
	s_delay_alu instid0(SALU_CYCLE_1)
	s_mul_u64 s[4:5], s[2:3], 3
	s_add_nc_u64 s[6:7], s[0:1], s[2:3]
	s_mov_b32 s19, s3
	s_add_nc_u64 s[4:5], s[6:7], s[4:5]
	s_clause 0x1
	s_load_b32 s4, s[4:5], 0x740
	s_load_u8 s2, s[0:1], ttmp9 offset:0x600
	s_wait_kmcnt 0x0
	s_ashr_i32 s5, s4, 31
	s_lshl_b32 s2, s2, 3
	s_clause 0x3
	s_load_b64 s[6:7], s[0:1], s2 offset:0x0
	s_load_b64 s[12:13], s[0:1], s2 offset:0x200
	;; [unrolled: 1-line block ×3, first 2 shown]
	s_load_b128 s[8:11], s[0:1], 0xc50
	s_lshl_b64 s[16:17], s[4:5], 20
	s_lshl_b64 s[4:5], s[4:5], 16
	s_wait_kmcnt 0x0
	s_add_nc_u64 s[6:7], s[6:7], s[16:17]
	s_add_nc_u64 s[12:13], s[12:13], s[16:17]
	s_and_b32 s16, s14, 3
	s_and_b32 s18, s12, 63
	s_mov_b32 s17, s3
	s_and_b32 s2, s6, 63
	s_or_b64 s[16:17], s[18:19], s[16:17]
	s_sub_nc_u64 s[14:15], s[14:15], s[4:5]
	s_or_b64 s[2:3], s[16:17], s[2:3]
	s_delay_alu instid0(SALU_CYCLE_1)
	s_cmp_eq_u64 s[2:3], 0
	s_mov_b32 s2, -1
	s_cbranch_scc1 .LBB102_21
; %bb.1:
	v_cmp_lt_i64_e64 s2, s[14:15], 1
	s_and_b32 vcc_lo, exec_lo, s2
	s_cbranch_vccnz .LBB102_20
; %bb.2:
	s_load_b32 s2, s[0:1], 0xc6c
	v_cmp_gt_i64_e64 s3, 0x10000, s[14:15]
	v_cmp_gt_u64_e64 s4, 0x10000, s[14:15]
	s_mov_b32 s17, 0
	s_mov_b64 s[22:23], 0
	s_and_b32 s3, s3, exec_lo
	s_cselect_b32 s19, s15, 0
	s_cselect_b32 s18, s14, 0x10000
	s_wait_kmcnt 0x0
	s_and_b32 s24, s2, 0xffff
	s_and_b32 s2, s4, exec_lo
	s_cselect_b32 s21, s15, 0
	s_cselect_b32 s20, s14, 0x10000
	s_lshl_b32 s25, s24, 1
	s_mul_i32 s26, s24, 3
	s_lshl_b32 s16, s24, 2
	s_branch .LBB102_4
.LBB102_3:                              ;   in Loop: Header=BB102_4 Depth=1
	s_wait_alu 0xfffe
	s_or_b32 exec_lo, exec_lo, s2
	s_add_nc_u64 s[22:23], s[22:23], s[16:17]
	s_wait_alu 0xfffe
	v_cmp_lt_i64_e64 s2, s[22:23], s[18:19]
	s_and_b32 vcc_lo, exec_lo, s2
	s_wait_alu 0xfffe
	s_cbranch_vccz .LBB102_20
.LBB102_4:                              ; =>This Inner Loop Header: Depth=1
	v_add_co_u32 v17, s2, s22, v0
	s_wait_alu 0xf1ff
	v_add_co_ci_u32_e64 v18, null, s23, 0, s2
	s_wait_loadcnt 0x0
	v_mov_b32_e32 v3, 0
	v_dual_mov_b32 v4, 0 :: v_dual_mov_b32 v7, 0
	s_delay_alu instid0(VALU_DEP_3)
	v_cmp_gt_u64_e32 vcc_lo, s[20:21], v[17:18]
	v_dual_mov_b32 v5, 0 :: v_dual_mov_b32 v8, 0
	v_mov_b32_e32 v6, 0
	s_and_saveexec_b32 s3, vcc_lo
	s_cbranch_execz .LBB102_6
; %bb.5:                                ;   in Loop: Header=BB102_4 Depth=1
	v_lshlrev_b64_e32 v[1:2], 4, v[17:18]
	s_delay_alu instid0(VALU_DEP_1) | instskip(SKIP_1) | instid1(VALU_DEP_2)
	v_add_co_u32 v1, s2, s6, v1
	s_wait_alu 0xf1ff
	v_add_co_ci_u32_e64 v2, null, s7, v2, s2
	global_load_b128 v[5:8], v[1:2], off
.LBB102_6:                              ;   in Loop: Header=BB102_4 Depth=1
	s_wait_alu 0xfffe
	s_or_b32 exec_lo, exec_lo, s3
	v_add_co_u32 v19, s2, v17, s24
	s_wait_alu 0xf1ff
	v_add_co_ci_u32_e64 v20, null, 0, v18, s2
	v_mov_b32_e32 v1, 0
	v_mov_b32_e32 v2, 0
	s_delay_alu instid0(VALU_DEP_3)
	v_cmp_gt_u64_e64 s2, s[20:21], v[19:20]
	s_and_saveexec_b32 s4, s2
	s_cbranch_execz .LBB102_8
; %bb.7:                                ;   in Loop: Header=BB102_4 Depth=1
	v_lshlrev_b64_e32 v[1:2], 4, v[19:20]
	s_delay_alu instid0(VALU_DEP_1) | instskip(SKIP_1) | instid1(VALU_DEP_2)
	v_add_co_u32 v1, s3, s6, v1
	s_wait_alu 0xf1ff
	v_add_co_ci_u32_e64 v2, null, s7, v2, s3
	global_load_b128 v[1:4], v[1:2], off
.LBB102_8:                              ;   in Loop: Header=BB102_4 Depth=1
	s_wait_alu 0xfffe
	s_or_b32 exec_lo, exec_lo, s4
	v_add_co_u32 v21, s3, v17, s25
	s_wait_alu 0xf1ff
	v_add_co_ci_u32_e64 v22, null, 0, v18, s3
	v_mov_b32_e32 v11, 0
	v_dual_mov_b32 v12, 0 :: v_dual_mov_b32 v15, 0
	s_delay_alu instid0(VALU_DEP_3)
	v_cmp_gt_u64_e64 s3, s[20:21], v[21:22]
	v_dual_mov_b32 v13, 0 :: v_dual_mov_b32 v16, 0
	v_mov_b32_e32 v14, 0
	s_and_saveexec_b32 s5, s3
	s_cbranch_execz .LBB102_10
; %bb.9:                                ;   in Loop: Header=BB102_4 Depth=1
	v_lshlrev_b64_e32 v[9:10], 4, v[21:22]
	s_delay_alu instid0(VALU_DEP_1) | instskip(SKIP_1) | instid1(VALU_DEP_2)
	v_add_co_u32 v9, s4, s6, v9
	s_wait_alu 0xf1ff
	v_add_co_ci_u32_e64 v10, null, s7, v10, s4
	global_load_b128 v[13:16], v[9:10], off
.LBB102_10:                             ;   in Loop: Header=BB102_4 Depth=1
	s_wait_alu 0xfffe
	s_or_b32 exec_lo, exec_lo, s5
	v_add_co_u32 v23, s4, v17, s26
	s_wait_alu 0xf1ff
	v_add_co_ci_u32_e64 v24, null, 0, v18, s4
	v_mov_b32_e32 v9, 0
	v_mov_b32_e32 v10, 0
	s_delay_alu instid0(VALU_DEP_3)
	v_cmp_gt_u64_e64 s4, s[20:21], v[23:24]
	s_and_saveexec_b32 s27, s4
	s_cbranch_execnz .LBB102_15
; %bb.11:                               ;   in Loop: Header=BB102_4 Depth=1
	s_wait_alu 0xfffe
	s_or_b32 exec_lo, exec_lo, s27
	s_and_saveexec_b32 s5, vcc_lo
	s_cbranch_execnz .LBB102_16
.LBB102_12:                             ;   in Loop: Header=BB102_4 Depth=1
	s_wait_alu 0xfffe
	s_or_b32 exec_lo, exec_lo, s5
	s_and_saveexec_b32 s5, s2
	s_cbranch_execnz .LBB102_17
.LBB102_13:                             ;   in Loop: Header=BB102_4 Depth=1
	s_wait_alu 0xfffe
	s_or_b32 exec_lo, exec_lo, s5
	s_and_saveexec_b32 s2, s3
	s_cbranch_execnz .LBB102_18
.LBB102_14:                             ;   in Loop: Header=BB102_4 Depth=1
	s_wait_alu 0xfffe
	s_or_b32 exec_lo, exec_lo, s2
	s_and_saveexec_b32 s2, s4
	s_cbranch_execz .LBB102_3
	s_branch .LBB102_19
.LBB102_15:                             ;   in Loop: Header=BB102_4 Depth=1
	v_lshlrev_b64_e32 v[9:10], 4, v[23:24]
	s_delay_alu instid0(VALU_DEP_1) | instskip(SKIP_1) | instid1(VALU_DEP_2)
	v_add_co_u32 v9, s5, s6, v9
	s_wait_alu 0xf1ff
	v_add_co_ci_u32_e64 v10, null, s7, v10, s5
	global_load_b128 v[9:12], v[9:10], off
	s_wait_alu 0xfffe
	s_or_b32 exec_lo, exec_lo, s27
	s_and_saveexec_b32 s5, vcc_lo
	s_cbranch_execz .LBB102_12
.LBB102_16:                             ;   in Loop: Header=BB102_4 Depth=1
	s_wait_loadcnt 0x0
	v_add_f64_e64 v[7:8], v[7:8], -s[10:11]
	v_add_f64_e64 v[5:6], v[5:6], -s[8:9]
	v_lshlrev_b64_e32 v[17:18], 4, v[17:18]
	s_delay_alu instid0(VALU_DEP_1) | instskip(SKIP_1) | instid1(VALU_DEP_2)
	v_add_co_u32 v17, vcc_lo, s12, v17
	s_wait_alu 0xfffd
	v_add_co_ci_u32_e64 v18, null, s13, v18, vcc_lo
	global_store_b128 v[17:18], v[5:8], off
	s_wait_alu 0xfffe
	s_or_b32 exec_lo, exec_lo, s5
	s_and_saveexec_b32 s5, s2
	s_cbranch_execz .LBB102_13
.LBB102_17:                             ;   in Loop: Header=BB102_4 Depth=1
	s_wait_loadcnt 0x0
	v_add_f64_e64 v[1:2], v[1:2], -s[8:9]
	v_add_f64_e64 v[3:4], v[3:4], -s[10:11]
	v_lshlrev_b64_e32 v[5:6], 4, v[19:20]
	s_delay_alu instid0(VALU_DEP_1) | instskip(SKIP_1) | instid1(VALU_DEP_2)
	v_add_co_u32 v5, vcc_lo, s12, v5
	s_wait_alu 0xfffd
	v_add_co_ci_u32_e64 v6, null, s13, v6, vcc_lo
	global_store_b128 v[5:6], v[1:4], off
	s_wait_alu 0xfffe
	s_or_b32 exec_lo, exec_lo, s5
	s_and_saveexec_b32 s2, s3
	s_cbranch_execz .LBB102_14
.LBB102_18:                             ;   in Loop: Header=BB102_4 Depth=1
	s_wait_loadcnt 0x0
	v_add_f64_e64 v[1:2], v[13:14], -s[8:9]
	v_add_f64_e64 v[3:4], v[15:16], -s[10:11]
	v_lshlrev_b64_e32 v[5:6], 4, v[21:22]
	s_delay_alu instid0(VALU_DEP_1) | instskip(SKIP_1) | instid1(VALU_DEP_2)
	v_add_co_u32 v5, vcc_lo, s12, v5
	s_wait_alu 0xfffd
	v_add_co_ci_u32_e64 v6, null, s13, v6, vcc_lo
	global_store_b128 v[5:6], v[1:4], off
	s_wait_alu 0xfffe
	s_or_b32 exec_lo, exec_lo, s2
	s_and_saveexec_b32 s2, s4
	s_cbranch_execz .LBB102_3
.LBB102_19:                             ;   in Loop: Header=BB102_4 Depth=1
	s_wait_loadcnt 0x0
	v_add_f64_e64 v[1:2], v[9:10], -s[8:9]
	v_add_f64_e64 v[3:4], v[11:12], -s[10:11]
	v_lshlrev_b64_e32 v[5:6], 4, v[23:24]
	s_delay_alu instid0(VALU_DEP_1) | instskip(SKIP_1) | instid1(VALU_DEP_2)
	v_add_co_u32 v5, vcc_lo, s12, v5
	s_wait_alu 0xfffd
	v_add_co_ci_u32_e64 v6, null, s13, v6, vcc_lo
	global_store_b128 v[5:6], v[1:4], off
	s_branch .LBB102_3
.LBB102_20:
	s_mov_b32 s2, 0
.LBB102_21:
	s_wait_alu 0xfffe
	s_and_not1_b32 vcc_lo, exec_lo, s2
	s_wait_alu 0xfffe
	s_cbranch_vccnz .LBB102_25
; %bb.22:
	v_cmp_gt_i64_e64 s2, 0x10000, s[14:15]
	s_wait_loadcnt 0x0
	v_dual_mov_b32 v2, 0 :: v_dual_lshlrev_b32 v1, 2, v0
	s_mov_b32 s5, 0
	s_mov_b32 s4, exec_lo
	s_and_b32 s2, s2, exec_lo
	s_cselect_b32 s3, s15, 0
	s_cselect_b32 s2, s14, 0x10000
	s_wait_alu 0xfffe
	v_cmpx_gt_i64_e64 s[2:3], v[1:2]
	s_cbranch_execz .LBB102_25
; %bb.23:
	s_load_b32 s0, s[0:1], 0xc6c
	v_dual_mov_b32 v1, v2 :: v_dual_lshlrev_b32 v2, 6, v0
	s_mov_b32 s1, s5
	s_wait_kmcnt 0x0
	s_and_b32 s0, s0, 0xffff
	s_delay_alu instid0(SALU_CYCLE_1)
	s_lshl_b32 s4, s0, 6
.LBB102_24:                             ; =>This Inner Loop Header: Depth=1
	v_add_co_u32 v15, s14, s6, v2
	s_wait_alu 0xf1ff
	v_add_co_ci_u32_e64 v16, null, s7, 0, s14
	v_add_co_u32 v0, vcc_lo, v0, s0
	s_wait_alu 0xfffd
	v_add_co_ci_u32_e64 v1, null, 0, v1, vcc_lo
	s_clause 0x3
	global_load_b128 v[3:6], v[15:16], off
	global_load_b128 v[7:10], v[15:16], off offset:16
	global_load_b128 v[11:14], v[15:16], off offset:32
	;; [unrolled: 1-line block ×3, first 2 shown]
	v_add_co_u32 v21, s14, s12, v2
	v_lshlrev_b64_e32 v[19:20], 2, v[0:1]
	s_wait_alu 0xf1ff
	v_add_co_ci_u32_e64 v22, null, s13, 0, s14
	s_wait_alu 0xfffe
	s_add_nc_u64 s[12:13], s[12:13], s[4:5]
	s_add_nc_u64 s[6:7], s[6:7], s[4:5]
	v_cmp_le_i64_e32 vcc_lo, s[2:3], v[19:20]
	s_or_b32 s1, vcc_lo, s1
	s_wait_loadcnt 0x3
	v_add_f64_e64 v[3:4], v[3:4], -s[8:9]
	v_add_f64_e64 v[5:6], v[5:6], -s[10:11]
	s_wait_loadcnt 0x2
	v_add_f64_e64 v[7:8], v[7:8], -s[8:9]
	v_add_f64_e64 v[9:10], v[9:10], -s[10:11]
	s_wait_loadcnt 0x1
	v_add_f64_e64 v[11:12], v[11:12], -s[8:9]
	v_add_f64_e64 v[13:14], v[13:14], -s[10:11]
	s_wait_loadcnt 0x0
	v_add_f64_e64 v[15:16], v[15:16], -s[8:9]
	v_add_f64_e64 v[17:18], v[17:18], -s[10:11]
	s_clause 0x3
	global_store_b128 v[21:22], v[3:6], off
	global_store_b128 v[21:22], v[7:10], off offset:16
	global_store_b128 v[21:22], v[11:14], off offset:32
	;; [unrolled: 1-line block ×3, first 2 shown]
	s_wait_alu 0xfffe
	s_and_not1_b32 exec_lo, exec_lo, s1
	s_cbranch_execnz .LBB102_24
.LBB102_25:
	s_endpgm
	.section	.rodata,"a",@progbits
	.p2align	6, 0x0
	.amdhsa_kernel _ZN2at6native12_GLOBAL__N_125multi_tensor_apply_kernelINS1_18TensorListMetadataILi2EEENS1_21BinaryOpScalarFunctorIN3c107complexIdEELi2ELi1ELi1EEEJSt5minusIS8_ES8_EEEvT_T0_DpT1_
		.amdhsa_group_segment_fixed_size 0
		.amdhsa_private_segment_fixed_size 0
		.amdhsa_kernarg_size 3424
		.amdhsa_user_sgpr_count 2
		.amdhsa_user_sgpr_dispatch_ptr 0
		.amdhsa_user_sgpr_queue_ptr 0
		.amdhsa_user_sgpr_kernarg_segment_ptr 1
		.amdhsa_user_sgpr_dispatch_id 0
		.amdhsa_user_sgpr_private_segment_size 0
		.amdhsa_wavefront_size32 1
		.amdhsa_uses_dynamic_stack 0
		.amdhsa_enable_private_segment 0
		.amdhsa_system_sgpr_workgroup_id_x 1
		.amdhsa_system_sgpr_workgroup_id_y 0
		.amdhsa_system_sgpr_workgroup_id_z 0
		.amdhsa_system_sgpr_workgroup_info 0
		.amdhsa_system_vgpr_workitem_id 0
		.amdhsa_next_free_vgpr 25
		.amdhsa_next_free_sgpr 28
		.amdhsa_reserve_vcc 1
		.amdhsa_float_round_mode_32 0
		.amdhsa_float_round_mode_16_64 0
		.amdhsa_float_denorm_mode_32 3
		.amdhsa_float_denorm_mode_16_64 3
		.amdhsa_fp16_overflow 0
		.amdhsa_workgroup_processor_mode 1
		.amdhsa_memory_ordered 1
		.amdhsa_forward_progress 1
		.amdhsa_inst_pref_size 12
		.amdhsa_round_robin_scheduling 0
		.amdhsa_exception_fp_ieee_invalid_op 0
		.amdhsa_exception_fp_denorm_src 0
		.amdhsa_exception_fp_ieee_div_zero 0
		.amdhsa_exception_fp_ieee_overflow 0
		.amdhsa_exception_fp_ieee_underflow 0
		.amdhsa_exception_fp_ieee_inexact 0
		.amdhsa_exception_int_div_zero 0
	.end_amdhsa_kernel
	.section	.text._ZN2at6native12_GLOBAL__N_125multi_tensor_apply_kernelINS1_18TensorListMetadataILi2EEENS1_21BinaryOpScalarFunctorIN3c107complexIdEELi2ELi1ELi1EEEJSt5minusIS8_ES8_EEEvT_T0_DpT1_,"axG",@progbits,_ZN2at6native12_GLOBAL__N_125multi_tensor_apply_kernelINS1_18TensorListMetadataILi2EEENS1_21BinaryOpScalarFunctorIN3c107complexIdEELi2ELi1ELi1EEEJSt5minusIS8_ES8_EEEvT_T0_DpT1_,comdat
.Lfunc_end102:
	.size	_ZN2at6native12_GLOBAL__N_125multi_tensor_apply_kernelINS1_18TensorListMetadataILi2EEENS1_21BinaryOpScalarFunctorIN3c107complexIdEELi2ELi1ELi1EEEJSt5minusIS8_ES8_EEEvT_T0_DpT1_, .Lfunc_end102-_ZN2at6native12_GLOBAL__N_125multi_tensor_apply_kernelINS1_18TensorListMetadataILi2EEENS1_21BinaryOpScalarFunctorIN3c107complexIdEELi2ELi1ELi1EEEJSt5minusIS8_ES8_EEEvT_T0_DpT1_
                                        ; -- End function
	.set _ZN2at6native12_GLOBAL__N_125multi_tensor_apply_kernelINS1_18TensorListMetadataILi2EEENS1_21BinaryOpScalarFunctorIN3c107complexIdEELi2ELi1ELi1EEEJSt5minusIS8_ES8_EEEvT_T0_DpT1_.num_vgpr, 25
	.set _ZN2at6native12_GLOBAL__N_125multi_tensor_apply_kernelINS1_18TensorListMetadataILi2EEENS1_21BinaryOpScalarFunctorIN3c107complexIdEELi2ELi1ELi1EEEJSt5minusIS8_ES8_EEEvT_T0_DpT1_.num_agpr, 0
	.set _ZN2at6native12_GLOBAL__N_125multi_tensor_apply_kernelINS1_18TensorListMetadataILi2EEENS1_21BinaryOpScalarFunctorIN3c107complexIdEELi2ELi1ELi1EEEJSt5minusIS8_ES8_EEEvT_T0_DpT1_.numbered_sgpr, 28
	.set _ZN2at6native12_GLOBAL__N_125multi_tensor_apply_kernelINS1_18TensorListMetadataILi2EEENS1_21BinaryOpScalarFunctorIN3c107complexIdEELi2ELi1ELi1EEEJSt5minusIS8_ES8_EEEvT_T0_DpT1_.num_named_barrier, 0
	.set _ZN2at6native12_GLOBAL__N_125multi_tensor_apply_kernelINS1_18TensorListMetadataILi2EEENS1_21BinaryOpScalarFunctorIN3c107complexIdEELi2ELi1ELi1EEEJSt5minusIS8_ES8_EEEvT_T0_DpT1_.private_seg_size, 0
	.set _ZN2at6native12_GLOBAL__N_125multi_tensor_apply_kernelINS1_18TensorListMetadataILi2EEENS1_21BinaryOpScalarFunctorIN3c107complexIdEELi2ELi1ELi1EEEJSt5minusIS8_ES8_EEEvT_T0_DpT1_.uses_vcc, 1
	.set _ZN2at6native12_GLOBAL__N_125multi_tensor_apply_kernelINS1_18TensorListMetadataILi2EEENS1_21BinaryOpScalarFunctorIN3c107complexIdEELi2ELi1ELi1EEEJSt5minusIS8_ES8_EEEvT_T0_DpT1_.uses_flat_scratch, 0
	.set _ZN2at6native12_GLOBAL__N_125multi_tensor_apply_kernelINS1_18TensorListMetadataILi2EEENS1_21BinaryOpScalarFunctorIN3c107complexIdEELi2ELi1ELi1EEEJSt5minusIS8_ES8_EEEvT_T0_DpT1_.has_dyn_sized_stack, 0
	.set _ZN2at6native12_GLOBAL__N_125multi_tensor_apply_kernelINS1_18TensorListMetadataILi2EEENS1_21BinaryOpScalarFunctorIN3c107complexIdEELi2ELi1ELi1EEEJSt5minusIS8_ES8_EEEvT_T0_DpT1_.has_recursion, 0
	.set _ZN2at6native12_GLOBAL__N_125multi_tensor_apply_kernelINS1_18TensorListMetadataILi2EEENS1_21BinaryOpScalarFunctorIN3c107complexIdEELi2ELi1ELi1EEEJSt5minusIS8_ES8_EEEvT_T0_DpT1_.has_indirect_call, 0
	.section	.AMDGPU.csdata,"",@progbits
; Kernel info:
; codeLenInByte = 1504
; TotalNumSgprs: 30
; NumVgprs: 25
; ScratchSize: 0
; MemoryBound: 1
; FloatMode: 240
; IeeeMode: 1
; LDSByteSize: 0 bytes/workgroup (compile time only)
; SGPRBlocks: 0
; VGPRBlocks: 3
; NumSGPRsForWavesPerEU: 30
; NumVGPRsForWavesPerEU: 25
; Occupancy: 16
; WaveLimiterHint : 0
; COMPUTE_PGM_RSRC2:SCRATCH_EN: 0
; COMPUTE_PGM_RSRC2:USER_SGPR: 2
; COMPUTE_PGM_RSRC2:TRAP_HANDLER: 0
; COMPUTE_PGM_RSRC2:TGID_X_EN: 1
; COMPUTE_PGM_RSRC2:TGID_Y_EN: 0
; COMPUTE_PGM_RSRC2:TGID_Z_EN: 0
; COMPUTE_PGM_RSRC2:TIDIG_COMP_CNT: 0
	.section	.text._ZN2at6native12_GLOBAL__N_125multi_tensor_apply_kernelINS1_18TensorListMetadataILi2EEENS1_21BinaryOpScalarFunctorIN3c107complexIfEELi2ELi1ELi1EEEJSt5minusIS8_ES8_EEEvT_T0_DpT1_,"axG",@progbits,_ZN2at6native12_GLOBAL__N_125multi_tensor_apply_kernelINS1_18TensorListMetadataILi2EEENS1_21BinaryOpScalarFunctorIN3c107complexIfEELi2ELi1ELi1EEEJSt5minusIS8_ES8_EEEvT_T0_DpT1_,comdat
	.globl	_ZN2at6native12_GLOBAL__N_125multi_tensor_apply_kernelINS1_18TensorListMetadataILi2EEENS1_21BinaryOpScalarFunctorIN3c107complexIfEELi2ELi1ELi1EEEJSt5minusIS8_ES8_EEEvT_T0_DpT1_ ; -- Begin function _ZN2at6native12_GLOBAL__N_125multi_tensor_apply_kernelINS1_18TensorListMetadataILi2EEENS1_21BinaryOpScalarFunctorIN3c107complexIfEELi2ELi1ELi1EEEJSt5minusIS8_ES8_EEEvT_T0_DpT1_
	.p2align	8
	.type	_ZN2at6native12_GLOBAL__N_125multi_tensor_apply_kernelINS1_18TensorListMetadataILi2EEENS1_21BinaryOpScalarFunctorIN3c107complexIfEELi2ELi1ELi1EEEJSt5minusIS8_ES8_EEEvT_T0_DpT1_,@function
_ZN2at6native12_GLOBAL__N_125multi_tensor_apply_kernelINS1_18TensorListMetadataILi2EEENS1_21BinaryOpScalarFunctorIN3c107complexIfEELi2ELi1ELi1EEEJSt5minusIS8_ES8_EEEvT_T0_DpT1_: ; @_ZN2at6native12_GLOBAL__N_125multi_tensor_apply_kernelINS1_18TensorListMetadataILi2EEENS1_21BinaryOpScalarFunctorIN3c107complexIfEELi2ELi1ELi1EEEJSt5minusIS8_ES8_EEEvT_T0_DpT1_
; %bb.0:
	s_load_u8 s8, s[0:1], ttmp9 offset:0x600
	s_mov_b32 s2, ttmp9
	s_mov_b32 s3, 0
	s_delay_alu instid0(SALU_CYCLE_1)
	s_mul_u64 s[4:5], s[2:3], 3
	s_add_nc_u64 s[6:7], s[0:1], s[2:3]
	s_mov_b32 s17, s3
	s_add_nc_u64 s[4:5], s[6:7], s[4:5]
	s_load_b32 s4, s[4:5], 0x740
	s_wait_kmcnt 0x0
	s_lshl_b32 s2, s8, 3
	s_clause 0x3
	s_load_b64 s[8:9], s[0:1], s2 offset:0x0
	s_load_b64 s[10:11], s[0:1], s2 offset:0x200
	;; [unrolled: 1-line block ×3, first 2 shown]
	s_load_b64 s[6:7], s[0:1], 0xc50
	s_ashr_i32 s5, s4, 31
	s_delay_alu instid0(SALU_CYCLE_1)
	s_lshl_b64 s[14:15], s[4:5], 19
	s_lshl_b64 s[4:5], s[4:5], 16
	s_wait_kmcnt 0x0
	s_add_nc_u64 s[8:9], s[8:9], s[14:15]
	s_add_nc_u64 s[10:11], s[10:11], s[14:15]
	s_and_b32 s14, s12, 3
	s_and_b32 s16, s10, 31
	s_mov_b32 s15, s3
	s_and_b32 s2, s8, 31
	s_or_b64 s[14:15], s[16:17], s[14:15]
	s_sub_nc_u64 s[12:13], s[12:13], s[4:5]
	s_or_b64 s[2:3], s[14:15], s[2:3]
	s_delay_alu instid0(SALU_CYCLE_1)
	s_cmp_eq_u64 s[2:3], 0
	s_mov_b32 s2, -1
	s_cbranch_scc1 .LBB103_19
; %bb.1:
	v_cmp_lt_i64_e64 s2, s[12:13], 1
	s_and_b32 vcc_lo, exec_lo, s2
	s_cbranch_vccnz .LBB103_18
; %bb.2:
	s_load_b32 s2, s[0:1], 0xc64
	v_cmp_gt_i64_e64 s3, 0x10000, s[12:13]
	s_mov_b64 s[4:5], src_private_base
	v_mov_b32_e32 v1, 0
	v_cmp_gt_u64_e64 s4, 0x10000, s[12:13]
	s_mov_b32 s15, 0
	s_mov_b64 s[20:21], 0
	s_and_b32 s3, s3, exec_lo
	v_mov_b32_e32 v2, v1
	s_cselect_b32 s17, s13, 0
	s_cselect_b32 s16, s12, 0x10000
	s_wait_kmcnt 0x0
	s_and_b32 s22, s2, 0xffff
	s_and_b32 s2, s4, exec_lo
	s_cselect_b32 s19, s13, 0
	s_cselect_b32 s18, s12, 0x10000
	s_lshl_b32 s23, s22, 1
	s_mul_i32 s24, s22, 3
	s_lshl_b32 s14, s22, 2
	s_branch .LBB103_4
.LBB103_3:                              ;   in Loop: Header=BB103_4 Depth=1
	s_wait_alu 0xfffe
	s_or_b32 exec_lo, exec_lo, s2
	s_add_nc_u64 s[20:21], s[20:21], s[14:15]
	s_wait_alu 0xfffe
	v_cmp_lt_i64_e64 s2, s[20:21], s[16:17]
	s_and_b32 vcc_lo, exec_lo, s2
	s_wait_alu 0xfffe
	s_cbranch_vccz .LBB103_18
.LBB103_4:                              ; =>This Inner Loop Header: Depth=1
	v_add_co_u32 v3, s2, s20, v0
	s_wait_alu 0xf1ff
	v_add_co_ci_u32_e64 v4, null, s21, 0, s2
	v_dual_mov_b32 v6, 0 :: v_dual_mov_b32 v5, 0
	s_delay_alu instid0(VALU_DEP_2)
	v_cmp_gt_u64_e32 vcc_lo, s[18:19], v[3:4]
	s_and_saveexec_b32 s3, vcc_lo
	s_cbranch_execz .LBB103_6
; %bb.5:                                ;   in Loop: Header=BB103_4 Depth=1
	v_lshlrev_b64_e32 v[5:6], 3, v[3:4]
	s_delay_alu instid0(VALU_DEP_1) | instskip(SKIP_1) | instid1(VALU_DEP_2)
	v_add_co_u32 v5, s2, s8, v5
	s_wait_alu 0xf1ff
	v_add_co_ci_u32_e64 v6, null, s9, v6, s2
	global_load_b64 v[5:6], v[5:6], off
.LBB103_6:                              ;   in Loop: Header=BB103_4 Depth=1
	s_wait_alu 0xfffe
	s_or_b32 exec_lo, exec_lo, s3
	v_add_co_u32 v7, s2, v3, s22
	s_wait_alu 0xf1ff
	v_add_co_ci_u32_e64 v8, null, 0, v4, s2
	v_dual_mov_b32 v12, 0 :: v_dual_mov_b32 v11, 0
	s_delay_alu instid0(VALU_DEP_2)
	v_cmp_gt_u64_e64 s2, s[18:19], v[7:8]
	s_and_saveexec_b32 s4, s2
	s_cbranch_execz .LBB103_8
; %bb.7:                                ;   in Loop: Header=BB103_4 Depth=1
	v_lshlrev_b64_e32 v[9:10], 3, v[7:8]
	s_delay_alu instid0(VALU_DEP_1) | instskip(SKIP_1) | instid1(VALU_DEP_2)
	v_add_co_u32 v9, s3, s8, v9
	s_wait_alu 0xf1ff
	v_add_co_ci_u32_e64 v10, null, s9, v10, s3
	global_load_b64 v[11:12], v[9:10], off
.LBB103_8:                              ;   in Loop: Header=BB103_4 Depth=1
	s_wait_alu 0xfffe
	s_or_b32 exec_lo, exec_lo, s4
	v_add_co_u32 v9, s3, v3, s23
	s_wait_alu 0xf1ff
	v_add_co_ci_u32_e64 v10, null, 0, v4, s3
	v_mov_b32_e32 v15, 0
	v_mov_b32_e32 v16, 0
	s_delay_alu instid0(VALU_DEP_3)
	v_cmp_gt_u64_e64 s3, s[18:19], v[9:10]
	s_and_saveexec_b32 s25, s3
	s_cbranch_execz .LBB103_10
; %bb.9:                                ;   in Loop: Header=BB103_4 Depth=1
	v_lshlrev_b64_e32 v[13:14], 3, v[9:10]
	s_delay_alu instid0(VALU_DEP_1) | instskip(SKIP_1) | instid1(VALU_DEP_2)
	v_add_co_u32 v13, s4, s8, v13
	s_wait_alu 0xf1ff
	v_add_co_ci_u32_e64 v14, null, s9, v14, s4
	global_load_b64 v[15:16], v[13:14], off
.LBB103_10:                             ;   in Loop: Header=BB103_4 Depth=1
	s_wait_alu 0xfffe
	s_or_b32 exec_lo, exec_lo, s25
	v_add_co_u32 v17, s4, v3, s24
	s_wait_alu 0xf1ff
	v_add_co_ci_u32_e64 v18, null, 0, v4, s4
	scratch_store_b64 off, v[1:2], off
	v_lshlrev_b64_e32 v[13:14], 3, v[17:18]
	s_delay_alu instid0(VALU_DEP_1) | instskip(SKIP_1) | instid1(VALU_DEP_2)
	v_add_co_u32 v19, s4, s8, v13
	s_wait_alu 0xf1ff
	v_add_co_ci_u32_e64 v20, null, s9, v14, s4
	v_cmp_gt_u64_e64 s4, s[18:19], v[17:18]
	s_wait_alu 0xf1ff
	s_delay_alu instid0(VALU_DEP_1)
	v_cndmask_b32_e64 v18, s5, v20, s4
	v_cndmask_b32_e64 v17, 0, v19, s4
	flat_load_b64 v[17:18], v[17:18]
	s_wait_loadcnt_dscnt 0x0
	v_dual_subrev_f32 v17, s6, v17 :: v_dual_subrev_f32 v18, s7, v18
	scratch_store_b64 off, v[17:18], off
	s_and_saveexec_b32 s25, vcc_lo
	s_cbranch_execnz .LBB103_14
; %bb.11:                               ;   in Loop: Header=BB103_4 Depth=1
	s_wait_alu 0xfffe
	s_or_b32 exec_lo, exec_lo, s25
	s_and_saveexec_b32 s25, s2
	s_cbranch_execnz .LBB103_15
.LBB103_12:                             ;   in Loop: Header=BB103_4 Depth=1
	s_wait_alu 0xfffe
	s_or_b32 exec_lo, exec_lo, s25
	s_and_saveexec_b32 s2, s3
	s_cbranch_execnz .LBB103_16
.LBB103_13:                             ;   in Loop: Header=BB103_4 Depth=1
	s_wait_alu 0xfffe
	s_or_b32 exec_lo, exec_lo, s2
	s_and_saveexec_b32 s2, s4
	s_cbranch_execz .LBB103_3
	s_branch .LBB103_17
.LBB103_14:                             ;   in Loop: Header=BB103_4 Depth=1
	v_lshlrev_b64_e32 v[3:4], 3, v[3:4]
	v_dual_subrev_f32 v5, s6, v5 :: v_dual_subrev_f32 v6, s7, v6
	s_delay_alu instid0(VALU_DEP_2) | instskip(SKIP_1) | instid1(VALU_DEP_3)
	v_add_co_u32 v3, vcc_lo, s10, v3
	s_wait_alu 0xfffd
	v_add_co_ci_u32_e64 v4, null, s11, v4, vcc_lo
	global_store_b64 v[3:4], v[5:6], off
	s_wait_alu 0xfffe
	s_or_b32 exec_lo, exec_lo, s25
	s_and_saveexec_b32 s25, s2
	s_cbranch_execz .LBB103_12
.LBB103_15:                             ;   in Loop: Header=BB103_4 Depth=1
	v_lshlrev_b64_e32 v[3:4], 3, v[7:8]
	v_dual_subrev_f32 v5, s6, v11 :: v_dual_subrev_f32 v6, s7, v12
	s_delay_alu instid0(VALU_DEP_2) | instskip(SKIP_1) | instid1(VALU_DEP_3)
	v_add_co_u32 v3, vcc_lo, s10, v3
	s_wait_alu 0xfffd
	v_add_co_ci_u32_e64 v4, null, s11, v4, vcc_lo
	global_store_b64 v[3:4], v[5:6], off
	s_wait_alu 0xfffe
	s_or_b32 exec_lo, exec_lo, s25
	s_and_saveexec_b32 s2, s3
	s_cbranch_execz .LBB103_13
.LBB103_16:                             ;   in Loop: Header=BB103_4 Depth=1
	v_lshlrev_b64_e32 v[3:4], 3, v[9:10]
	v_dual_subrev_f32 v5, s6, v15 :: v_dual_subrev_f32 v6, s7, v16
	s_delay_alu instid0(VALU_DEP_2) | instskip(SKIP_1) | instid1(VALU_DEP_3)
	v_add_co_u32 v3, vcc_lo, s10, v3
	s_wait_alu 0xfffd
	v_add_co_ci_u32_e64 v4, null, s11, v4, vcc_lo
	global_store_b64 v[3:4], v[5:6], off
	s_wait_alu 0xfffe
	s_or_b32 exec_lo, exec_lo, s2
	s_and_saveexec_b32 s2, s4
	s_cbranch_execz .LBB103_3
.LBB103_17:                             ;   in Loop: Header=BB103_4 Depth=1
	scratch_load_b64 v[3:4], off, off
	v_add_co_u32 v5, vcc_lo, s10, v13
	s_wait_alu 0xfffd
	v_add_co_ci_u32_e64 v6, null, s11, v14, vcc_lo
	s_wait_loadcnt 0x0
	global_store_b64 v[5:6], v[3:4], off
	s_branch .LBB103_3
.LBB103_18:
	s_mov_b32 s2, 0
.LBB103_19:
	s_wait_alu 0xfffe
	s_and_not1_b32 vcc_lo, exec_lo, s2
	s_wait_alu 0xfffe
	s_cbranch_vccnz .LBB103_23
; %bb.20:
	v_cmp_gt_i64_e64 s2, 0x10000, s[12:13]
	v_dual_mov_b32 v2, 0 :: v_dual_lshlrev_b32 v1, 2, v0
	s_mov_b32 s5, 0
	s_mov_b32 s4, exec_lo
	s_and_b32 s2, s2, exec_lo
	s_cselect_b32 s3, s13, 0
	s_cselect_b32 s2, s12, 0x10000
	s_wait_alu 0xfffe
	v_cmpx_gt_i64_e64 s[2:3], v[1:2]
	s_cbranch_execz .LBB103_23
; %bb.21:
	s_load_b32 s0, s[0:1], 0xc64
	v_dual_mov_b32 v1, v2 :: v_dual_lshlrev_b32 v2, 5, v0
	s_mov_b32 s1, s5
	s_wait_kmcnt 0x0
	s_and_b32 s0, s0, 0xffff
	s_delay_alu instid0(SALU_CYCLE_1)
	s_lshl_b32 s4, s0, 5
.LBB103_22:                             ; =>This Inner Loop Header: Depth=1
	v_add_co_u32 v7, s12, s8, v2
	s_wait_alu 0xf1ff
	v_add_co_ci_u32_e64 v8, null, s9, 0, s12
	v_add_co_u32 v0, vcc_lo, v0, s0
	s_wait_alu 0xfffd
	v_add_co_ci_u32_e64 v1, null, 0, v1, vcc_lo
	s_clause 0x1
	global_load_b128 v[3:6], v[7:8], off
	global_load_b128 v[7:10], v[7:8], off offset:16
	v_add_co_u32 v11, s12, s10, v2
	v_lshlrev_b64_e32 v[13:14], 2, v[0:1]
	s_wait_alu 0xf1ff
	v_add_co_ci_u32_e64 v12, null, s11, 0, s12
	s_wait_alu 0xfffe
	s_add_nc_u64 s[10:11], s[10:11], s[4:5]
	s_add_nc_u64 s[8:9], s[8:9], s[4:5]
	v_cmp_le_i64_e32 vcc_lo, s[2:3], v[13:14]
	s_or_b32 s1, vcc_lo, s1
	s_wait_loadcnt 0x1
	v_dual_subrev_f32 v3, s6, v3 :: v_dual_subrev_f32 v4, s7, v4
	s_wait_loadcnt 0x0
	v_dual_subrev_f32 v9, s6, v9 :: v_dual_subrev_f32 v10, s7, v10
	v_dual_subrev_f32 v7, s6, v7 :: v_dual_subrev_f32 v8, s7, v8
	;; [unrolled: 1-line block ×3, first 2 shown]
	scratch_store_b64 off, v[9:10], off
	s_clause 0x1
	global_store_b128 v[11:12], v[3:6], off
	global_store_b128 v[11:12], v[7:10], off offset:16
	s_wait_alu 0xfffe
	s_and_not1_b32 exec_lo, exec_lo, s1
	s_cbranch_execnz .LBB103_22
.LBB103_23:
	s_endpgm
	.section	.rodata,"a",@progbits
	.p2align	6, 0x0
	.amdhsa_kernel _ZN2at6native12_GLOBAL__N_125multi_tensor_apply_kernelINS1_18TensorListMetadataILi2EEENS1_21BinaryOpScalarFunctorIN3c107complexIfEELi2ELi1ELi1EEEJSt5minusIS8_ES8_EEEvT_T0_DpT1_
		.amdhsa_group_segment_fixed_size 0
		.amdhsa_private_segment_fixed_size 16
		.amdhsa_kernarg_size 3416
		.amdhsa_user_sgpr_count 2
		.amdhsa_user_sgpr_dispatch_ptr 0
		.amdhsa_user_sgpr_queue_ptr 0
		.amdhsa_user_sgpr_kernarg_segment_ptr 1
		.amdhsa_user_sgpr_dispatch_id 0
		.amdhsa_user_sgpr_private_segment_size 0
		.amdhsa_wavefront_size32 1
		.amdhsa_uses_dynamic_stack 0
		.amdhsa_enable_private_segment 1
		.amdhsa_system_sgpr_workgroup_id_x 1
		.amdhsa_system_sgpr_workgroup_id_y 0
		.amdhsa_system_sgpr_workgroup_id_z 0
		.amdhsa_system_sgpr_workgroup_info 0
		.amdhsa_system_vgpr_workitem_id 0
		.amdhsa_next_free_vgpr 21
		.amdhsa_next_free_sgpr 26
		.amdhsa_reserve_vcc 1
		.amdhsa_float_round_mode_32 0
		.amdhsa_float_round_mode_16_64 0
		.amdhsa_float_denorm_mode_32 3
		.amdhsa_float_denorm_mode_16_64 3
		.amdhsa_fp16_overflow 0
		.amdhsa_workgroup_processor_mode 1
		.amdhsa_memory_ordered 1
		.amdhsa_forward_progress 1
		.amdhsa_inst_pref_size 11
		.amdhsa_round_robin_scheduling 0
		.amdhsa_exception_fp_ieee_invalid_op 0
		.amdhsa_exception_fp_denorm_src 0
		.amdhsa_exception_fp_ieee_div_zero 0
		.amdhsa_exception_fp_ieee_overflow 0
		.amdhsa_exception_fp_ieee_underflow 0
		.amdhsa_exception_fp_ieee_inexact 0
		.amdhsa_exception_int_div_zero 0
	.end_amdhsa_kernel
	.section	.text._ZN2at6native12_GLOBAL__N_125multi_tensor_apply_kernelINS1_18TensorListMetadataILi2EEENS1_21BinaryOpScalarFunctorIN3c107complexIfEELi2ELi1ELi1EEEJSt5minusIS8_ES8_EEEvT_T0_DpT1_,"axG",@progbits,_ZN2at6native12_GLOBAL__N_125multi_tensor_apply_kernelINS1_18TensorListMetadataILi2EEENS1_21BinaryOpScalarFunctorIN3c107complexIfEELi2ELi1ELi1EEEJSt5minusIS8_ES8_EEEvT_T0_DpT1_,comdat
.Lfunc_end103:
	.size	_ZN2at6native12_GLOBAL__N_125multi_tensor_apply_kernelINS1_18TensorListMetadataILi2EEENS1_21BinaryOpScalarFunctorIN3c107complexIfEELi2ELi1ELi1EEEJSt5minusIS8_ES8_EEEvT_T0_DpT1_, .Lfunc_end103-_ZN2at6native12_GLOBAL__N_125multi_tensor_apply_kernelINS1_18TensorListMetadataILi2EEENS1_21BinaryOpScalarFunctorIN3c107complexIfEELi2ELi1ELi1EEEJSt5minusIS8_ES8_EEEvT_T0_DpT1_
                                        ; -- End function
	.set _ZN2at6native12_GLOBAL__N_125multi_tensor_apply_kernelINS1_18TensorListMetadataILi2EEENS1_21BinaryOpScalarFunctorIN3c107complexIfEELi2ELi1ELi1EEEJSt5minusIS8_ES8_EEEvT_T0_DpT1_.num_vgpr, 21
	.set _ZN2at6native12_GLOBAL__N_125multi_tensor_apply_kernelINS1_18TensorListMetadataILi2EEENS1_21BinaryOpScalarFunctorIN3c107complexIfEELi2ELi1ELi1EEEJSt5minusIS8_ES8_EEEvT_T0_DpT1_.num_agpr, 0
	.set _ZN2at6native12_GLOBAL__N_125multi_tensor_apply_kernelINS1_18TensorListMetadataILi2EEENS1_21BinaryOpScalarFunctorIN3c107complexIfEELi2ELi1ELi1EEEJSt5minusIS8_ES8_EEEvT_T0_DpT1_.numbered_sgpr, 26
	.set _ZN2at6native12_GLOBAL__N_125multi_tensor_apply_kernelINS1_18TensorListMetadataILi2EEENS1_21BinaryOpScalarFunctorIN3c107complexIfEELi2ELi1ELi1EEEJSt5minusIS8_ES8_EEEvT_T0_DpT1_.num_named_barrier, 0
	.set _ZN2at6native12_GLOBAL__N_125multi_tensor_apply_kernelINS1_18TensorListMetadataILi2EEENS1_21BinaryOpScalarFunctorIN3c107complexIfEELi2ELi1ELi1EEEJSt5minusIS8_ES8_EEEvT_T0_DpT1_.private_seg_size, 16
	.set _ZN2at6native12_GLOBAL__N_125multi_tensor_apply_kernelINS1_18TensorListMetadataILi2EEENS1_21BinaryOpScalarFunctorIN3c107complexIfEELi2ELi1ELi1EEEJSt5minusIS8_ES8_EEEvT_T0_DpT1_.uses_vcc, 1
	.set _ZN2at6native12_GLOBAL__N_125multi_tensor_apply_kernelINS1_18TensorListMetadataILi2EEENS1_21BinaryOpScalarFunctorIN3c107complexIfEELi2ELi1ELi1EEEJSt5minusIS8_ES8_EEEvT_T0_DpT1_.uses_flat_scratch, 0
	.set _ZN2at6native12_GLOBAL__N_125multi_tensor_apply_kernelINS1_18TensorListMetadataILi2EEENS1_21BinaryOpScalarFunctorIN3c107complexIfEELi2ELi1ELi1EEEJSt5minusIS8_ES8_EEEvT_T0_DpT1_.has_dyn_sized_stack, 0
	.set _ZN2at6native12_GLOBAL__N_125multi_tensor_apply_kernelINS1_18TensorListMetadataILi2EEENS1_21BinaryOpScalarFunctorIN3c107complexIfEELi2ELi1ELi1EEEJSt5minusIS8_ES8_EEEvT_T0_DpT1_.has_recursion, 0
	.set _ZN2at6native12_GLOBAL__N_125multi_tensor_apply_kernelINS1_18TensorListMetadataILi2EEENS1_21BinaryOpScalarFunctorIN3c107complexIfEELi2ELi1ELi1EEEJSt5minusIS8_ES8_EEEvT_T0_DpT1_.has_indirect_call, 0
	.section	.AMDGPU.csdata,"",@progbits
; Kernel info:
; codeLenInByte = 1368
; TotalNumSgprs: 28
; NumVgprs: 21
; ScratchSize: 16
; MemoryBound: 0
; FloatMode: 240
; IeeeMode: 1
; LDSByteSize: 0 bytes/workgroup (compile time only)
; SGPRBlocks: 0
; VGPRBlocks: 2
; NumSGPRsForWavesPerEU: 28
; NumVGPRsForWavesPerEU: 21
; Occupancy: 16
; WaveLimiterHint : 0
; COMPUTE_PGM_RSRC2:SCRATCH_EN: 1
; COMPUTE_PGM_RSRC2:USER_SGPR: 2
; COMPUTE_PGM_RSRC2:TRAP_HANDLER: 0
; COMPUTE_PGM_RSRC2:TGID_X_EN: 1
; COMPUTE_PGM_RSRC2:TGID_Y_EN: 0
; COMPUTE_PGM_RSRC2:TGID_Z_EN: 0
; COMPUTE_PGM_RSRC2:TIDIG_COMP_CNT: 0
	.section	.text._ZN2at6native12_GLOBAL__N_125multi_tensor_apply_kernelINS1_18TensorListMetadataILi2EEENS1_21BinaryOpScalarFunctorIbLi2ELi1ELi1EEEJSt5minusIbEbEEEvT_T0_DpT1_,"axG",@progbits,_ZN2at6native12_GLOBAL__N_125multi_tensor_apply_kernelINS1_18TensorListMetadataILi2EEENS1_21BinaryOpScalarFunctorIbLi2ELi1ELi1EEEJSt5minusIbEbEEEvT_T0_DpT1_,comdat
	.globl	_ZN2at6native12_GLOBAL__N_125multi_tensor_apply_kernelINS1_18TensorListMetadataILi2EEENS1_21BinaryOpScalarFunctorIbLi2ELi1ELi1EEEJSt5minusIbEbEEEvT_T0_DpT1_ ; -- Begin function _ZN2at6native12_GLOBAL__N_125multi_tensor_apply_kernelINS1_18TensorListMetadataILi2EEENS1_21BinaryOpScalarFunctorIbLi2ELi1ELi1EEEJSt5minusIbEbEEEvT_T0_DpT1_
	.p2align	8
	.type	_ZN2at6native12_GLOBAL__N_125multi_tensor_apply_kernelINS1_18TensorListMetadataILi2EEENS1_21BinaryOpScalarFunctorIbLi2ELi1ELi1EEEJSt5minusIbEbEEEvT_T0_DpT1_,@function
_ZN2at6native12_GLOBAL__N_125multi_tensor_apply_kernelINS1_18TensorListMetadataILi2EEENS1_21BinaryOpScalarFunctorIbLi2ELi1ELi1EEEJSt5minusIbEbEEEvT_T0_DpT1_: ; @_ZN2at6native12_GLOBAL__N_125multi_tensor_apply_kernelINS1_18TensorListMetadataILi2EEENS1_21BinaryOpScalarFunctorIbLi2ELi1ELi1EEEJSt5minusIbEbEEEvT_T0_DpT1_
; %bb.0:
	s_clause 0x1
	s_load_b32 s14, s[0:1], 0xc48
	s_load_u8 s6, s[0:1], ttmp9 offset:0x600
	s_mov_b32 s2, ttmp9
	s_mov_b32 s3, 0
	s_delay_alu instid0(SALU_CYCLE_1) | instskip(SKIP_1) | instid1(SALU_CYCLE_1)
	s_mul_u64 s[4:5], s[2:3], 3
	s_add_nc_u64 s[2:3], s[0:1], s[2:3]
	s_add_nc_u64 s[2:3], s[2:3], s[4:5]
	s_load_b32 s2, s[2:3], 0x740
	s_wait_kmcnt 0x0
	s_bitcmp1_b32 s14, 16
	s_cselect_b32 s23, -1, 0
	s_lshl_b32 s3, s6, 3
	s_clause 0x2
	s_load_b64 s[4:5], s[0:1], s3 offset:0x400
	s_load_b64 s[6:7], s[0:1], s3 offset:0x0
	;; [unrolled: 1-line block ×3, first 2 shown]
	s_bfe_u32 s22, s14, 0x10010
	s_ashr_i32 s3, s2, 31
	s_delay_alu instid0(SALU_CYCLE_1) | instskip(SKIP_4) | instid1(SALU_CYCLE_1)
	s_lshl_b64 s[10:11], s[2:3], 16
	s_wait_kmcnt 0x0
	s_sub_nc_u64 s[12:13], s[4:5], s[10:11]
	s_add_nc_u64 s[2:3], s[6:7], s[10:11]
	s_or_b32 s3, s4, s8
	s_or_b32 s2, s3, s2
	s_delay_alu instid0(SALU_CYCLE_1) | instskip(NEXT) | instid1(SALU_CYCLE_1)
	s_and_b32 s2, s2, 3
	s_cmp_eq_u32 s2, 0
	s_mov_b32 s2, -1
	s_cbranch_scc1 .LBB104_21
; %bb.1:
	v_cmp_lt_i64_e64 s2, s[12:13], 1
	s_and_b32 vcc_lo, exec_lo, s2
	s_cbranch_vccnz .LBB104_20
; %bb.2:
	s_load_b32 s2, s[0:1], 0xc5c
	v_cmp_gt_i64_e64 s4, 0x10000, s[12:13]
	v_cmp_gt_u64_e64 s5, 0x10000, s[12:13]
	s_mov_b32 s19, 0
	v_add_co_u32 v15, s3, s10, v0
	s_delay_alu instid0(VALU_DEP_1)
	v_add_co_ci_u32_e64 v16, null, s11, 0, s3
	s_and_b32 s4, s4, exec_lo
	s_cselect_b32 s15, s13, 0
	s_cselect_b32 s14, s12, 0x10000
	s_mov_b32 s3, s19
	v_add_co_u32 v1, vcc_lo, s6, v15
	s_delay_alu instid0(VALU_DEP_1)
	v_add_co_ci_u32_e64 v2, null, s7, v16, vcc_lo
	v_add_co_u32 v3, vcc_lo, s8, v15
	s_wait_alu 0xfffd
	v_add_co_ci_u32_e64 v4, null, s9, v16, vcc_lo
	s_wait_kmcnt 0x0
	s_and_b32 s20, s2, 0xffff
	s_and_b32 s2, s5, exec_lo
	s_mul_i32 s2, s20, 3
	s_cselect_b32 s17, s13, 0
	s_wait_alu 0xfffe
	s_add_nc_u64 s[4:5], s[10:11], s[2:3]
	s_cselect_b32 s16, s12, 0x10000
	s_lshl_b32 s18, s20, 1
	v_add_co_u32 v7, s3, s4, v0
	s_wait_alu 0xf1ff
	v_add_co_ci_u32_e64 v8, null, s5, 0, s3
	s_add_nc_u64 s[4:5], s[10:11], s[18:19]
	v_add_co_u32 v5, vcc_lo, s6, v7
	s_wait_alu 0xfffe
	v_add_co_u32 v13, s3, s4, v0
	s_wait_alu 0xf1ff
	v_add_co_ci_u32_e64 v14, null, s5, 0, s3
	s_wait_alu 0xfffd
	v_add_co_ci_u32_e64 v6, null, s7, v8, vcc_lo
	v_add_co_u32 v7, vcc_lo, s8, v7
	s_wait_alu 0xfffd
	v_add_co_ci_u32_e64 v8, null, s9, v8, vcc_lo
	v_add_co_u32 v11, vcc_lo, s6, v13
	;; [unrolled: 3-line block ×4, first 2 shown]
	s_wait_alu 0xfffd
	v_add_co_ci_u32_e64 v20, null, 0, v16, vcc_lo
	v_add_co_u32 v9, s2, s2, v0
	s_wait_alu 0xf1ff
	v_add_co_ci_u32_e64 v10, null, 0, 0, s2
	v_add_co_u32 v15, s2, s18, v0
	v_add_co_u32 v17, vcc_lo, s6, v19
	s_wait_alu 0xf1ff
	v_add_co_ci_u32_e64 v16, null, 0, 0, s2
	s_wait_alu 0xfffd
	v_add_co_ci_u32_e64 v18, null, s7, v20, vcc_lo
	v_add_co_u32 v19, vcc_lo, s8, v19
	v_add_co_u32 v21, s2, v0, s20
	s_wait_alu 0xfffd
	v_add_co_ci_u32_e64 v20, null, s9, v20, vcc_lo
	s_wait_alu 0xf1ff
	v_add_co_ci_u32_e64 v22, null, 0, 0, s2
	s_lshl_b32 s18, s20, 2
	s_mov_b64 s[20:21], 0
	s_branch .LBB104_4
.LBB104_3:                              ;   in Loop: Header=BB104_4 Depth=1
	s_wait_alu 0xfffe
	s_or_b32 exec_lo, exec_lo, s2
	s_add_nc_u64 s[20:21], s[20:21], s[18:19]
	s_wait_alu 0xfffe
	v_cmp_lt_i64_e64 s2, s[20:21], s[14:15]
	s_and_b32 vcc_lo, exec_lo, s2
	s_wait_alu 0xfffe
	s_cbranch_vccz .LBB104_20
.LBB104_4:                              ; =>This Inner Loop Header: Depth=1
	s_wait_alu 0xfffe
	v_add_co_u32 v23, s2, v0, s20
	s_wait_alu 0xf1ff
	v_add_co_ci_u32_e64 v24, null, 0, s21, s2
	s_mov_b32 s24, s23
	v_cmp_gt_u64_e32 vcc_lo, s[16:17], v[23:24]
	s_and_saveexec_b32 s3, vcc_lo
	s_cbranch_execz .LBB104_6
; %bb.5:                                ;   in Loop: Header=BB104_4 Depth=1
	v_add_co_u32 v23, s2, v1, s20
	s_wait_alu 0xf1ff
	v_add_co_ci_u32_e64 v24, null, s21, v2, s2
	s_and_not1_b32 s4, s23, exec_lo
	global_load_u8 v23, v[23:24], off
	s_wait_loadcnt 0x0
	v_cmp_ne_u16_e64 s2, s22, v23
	s_and_b32 s2, s2, exec_lo
	s_wait_alu 0xfffe
	s_or_b32 s24, s4, s2
.LBB104_6:                              ;   in Loop: Header=BB104_4 Depth=1
	s_wait_alu 0xfffe
	s_or_b32 exec_lo, exec_lo, s3
	v_add_co_u32 v23, s2, v21, s20
	s_wait_alu 0xf1ff
	v_add_co_ci_u32_e64 v24, null, s21, v22, s2
	s_mov_b32 s25, s23
	v_cmp_gt_u64_e64 s2, s[16:17], v[23:24]
	s_and_saveexec_b32 s4, s2
	s_cbranch_execz .LBB104_8
; %bb.7:                                ;   in Loop: Header=BB104_4 Depth=1
	v_add_co_u32 v23, s3, v17, s20
	s_wait_alu 0xf1ff
	v_add_co_ci_u32_e64 v24, null, s21, v18, s3
	s_and_not1_b32 s5, s23, exec_lo
	global_load_u8 v23, v[23:24], off
	s_wait_loadcnt 0x0
	v_cmp_ne_u16_e64 s3, s22, v23
	s_and_b32 s3, s3, exec_lo
	s_wait_alu 0xfffe
	s_or_b32 s25, s5, s3
.LBB104_8:                              ;   in Loop: Header=BB104_4 Depth=1
	s_wait_alu 0xfffe
	s_or_b32 exec_lo, exec_lo, s4
	v_add_co_u32 v23, s3, v15, s20
	s_wait_alu 0xf1ff
	v_add_co_ci_u32_e64 v24, null, s21, v16, s3
	s_mov_b32 s26, s23
	v_cmp_gt_u64_e64 s3, s[16:17], v[23:24]
	s_and_saveexec_b32 s5, s3
	s_cbranch_execz .LBB104_10
; %bb.9:                                ;   in Loop: Header=BB104_4 Depth=1
	v_add_co_u32 v23, s4, v11, s20
	s_wait_alu 0xf1ff
	v_add_co_ci_u32_e64 v24, null, s21, v12, s4
	s_and_not1_b32 s26, s23, exec_lo
	global_load_u8 v23, v[23:24], off
	s_wait_loadcnt 0x0
	v_cmp_ne_u16_e64 s4, s22, v23
	s_and_b32 s4, s4, exec_lo
	s_wait_alu 0xfffe
	s_or_b32 s26, s26, s4
.LBB104_10:                             ;   in Loop: Header=BB104_4 Depth=1
	s_wait_alu 0xfffe
	s_or_b32 exec_lo, exec_lo, s5
	v_add_co_u32 v23, s4, v9, s20
	s_wait_alu 0xf1ff
	v_add_co_ci_u32_e64 v24, null, s21, v10, s4
	s_delay_alu instid0(VALU_DEP_1)
	v_cmp_gt_u64_e64 s4, s[16:17], v[23:24]
	v_mov_b32_e32 v23, s22
	s_and_saveexec_b32 s27, s4
	s_cbranch_execnz .LBB104_15
; %bb.11:                               ;   in Loop: Header=BB104_4 Depth=1
	s_wait_alu 0xfffe
	s_or_b32 exec_lo, exec_lo, s27
	s_and_saveexec_b32 s5, vcc_lo
	s_cbranch_execnz .LBB104_16
.LBB104_12:                             ;   in Loop: Header=BB104_4 Depth=1
	s_wait_alu 0xfffe
	s_or_b32 exec_lo, exec_lo, s5
	s_and_saveexec_b32 s5, s2
	s_cbranch_execnz .LBB104_17
.LBB104_13:                             ;   in Loop: Header=BB104_4 Depth=1
	s_wait_alu 0xfffe
	s_or_b32 exec_lo, exec_lo, s5
	s_and_saveexec_b32 s2, s3
	s_cbranch_execnz .LBB104_18
.LBB104_14:                             ;   in Loop: Header=BB104_4 Depth=1
	s_wait_alu 0xfffe
	s_or_b32 exec_lo, exec_lo, s2
	s_and_saveexec_b32 s2, s4
	s_cbranch_execz .LBB104_3
	s_branch .LBB104_19
.LBB104_15:                             ;   in Loop: Header=BB104_4 Depth=1
	v_add_co_u32 v23, s5, v5, s20
	s_wait_alu 0xf1ff
	v_add_co_ci_u32_e64 v24, null, s21, v6, s5
	global_load_u8 v23, v[23:24], off
	s_wait_loadcnt 0x0
	v_cmp_ne_u16_e64 s5, s22, v23
	s_wait_alu 0xf1ff
	s_delay_alu instid0(VALU_DEP_1)
	v_cndmask_b32_e64 v23, 0, 1, s5
	s_wait_alu 0xfffe
	s_or_b32 exec_lo, exec_lo, s27
	s_and_saveexec_b32 s5, vcc_lo
	s_cbranch_execz .LBB104_12
.LBB104_16:                             ;   in Loop: Header=BB104_4 Depth=1
	v_add_co_u32 v24, vcc_lo, v3, s20
	v_cndmask_b32_e64 v26, 0, 1, s24
	s_wait_alu 0xfffd
	v_add_co_ci_u32_e64 v25, null, s21, v4, vcc_lo
	global_store_b8 v[24:25], v26, off
	s_wait_alu 0xfffe
	s_or_b32 exec_lo, exec_lo, s5
	s_and_saveexec_b32 s5, s2
	s_cbranch_execz .LBB104_13
.LBB104_17:                             ;   in Loop: Header=BB104_4 Depth=1
	v_add_co_u32 v24, vcc_lo, v19, s20
	v_cndmask_b32_e64 v26, 0, 1, s25
	s_wait_alu 0xfffd
	v_add_co_ci_u32_e64 v25, null, s21, v20, vcc_lo
	global_store_b8 v[24:25], v26, off
	s_wait_alu 0xfffe
	s_or_b32 exec_lo, exec_lo, s5
	s_and_saveexec_b32 s2, s3
	s_cbranch_execz .LBB104_14
.LBB104_18:                             ;   in Loop: Header=BB104_4 Depth=1
	v_add_co_u32 v24, vcc_lo, v13, s20
	v_cndmask_b32_e64 v26, 0, 1, s26
	s_wait_alu 0xfffd
	v_add_co_ci_u32_e64 v25, null, s21, v14, vcc_lo
	global_store_b8 v[24:25], v26, off
	s_wait_alu 0xfffe
	s_or_b32 exec_lo, exec_lo, s2
	s_and_saveexec_b32 s2, s4
	s_cbranch_execz .LBB104_3
.LBB104_19:                             ;   in Loop: Header=BB104_4 Depth=1
	v_add_co_u32 v24, vcc_lo, v7, s20
	s_wait_alu 0xfffd
	v_add_co_ci_u32_e64 v25, null, s21, v8, vcc_lo
	global_store_b8 v[24:25], v23, off
	s_branch .LBB104_3
.LBB104_20:
	s_mov_b32 s2, 0
.LBB104_21:
	s_wait_alu 0xfffe
	s_and_not1_b32 vcc_lo, exec_lo, s2
	s_wait_alu 0xfffe
	s_cbranch_vccnz .LBB104_25
; %bb.22:
	v_cmp_gt_i64_e64 s2, 0x10000, s[12:13]
	v_dual_mov_b32 v3, 0 :: v_dual_lshlrev_b32 v2, 2, v0
	s_mov_b32 s4, 0
	s_mov_b32 s5, exec_lo
	s_and_b32 s2, s2, exec_lo
	s_cselect_b32 s3, s13, 0
	s_cselect_b32 s2, s12, 0x10000
	s_wait_alu 0xfffe
	v_cmpx_gt_i64_e64 s[2:3], v[2:3]
	s_cbranch_execz .LBB104_25
; %bb.23:
	s_load_b32 s0, s[0:1], 0xc5c
	v_add_co_u32 v2, s1, s10, v2
	v_mov_b32_e32 v1, v3
	v_add_co_ci_u32_e64 v3, null, s11, 0, s1
	s_wait_kmcnt 0x0
	s_and_b32 s1, s0, 0xffff
	s_wait_alu 0xfffe
	s_lshl_b32 s5, s1, 2
.LBB104_24:                             ; =>This Inner Loop Header: Depth=1
	v_add_co_u32 v4, vcc_lo, s6, v2
	s_wait_alu 0xfffd
	v_add_co_ci_u32_e64 v5, null, s7, v3, vcc_lo
	v_add_co_u32 v0, vcc_lo, v0, s1
	s_wait_alu 0xfffd
	v_add_co_ci_u32_e64 v1, null, 0, v1, vcc_lo
	global_load_b32 v4, v[4:5], off
	s_wait_loadcnt 0x0
	v_and_b32_e32 v6, 0xff, v4
	v_lshrrev_b32_e32 v5, 8, v4
	v_lshrrev_b32_e32 v7, 16, v4
	;; [unrolled: 1-line block ×3, first 2 shown]
	s_delay_alu instid0(VALU_DEP_4) | instskip(NEXT) | instid1(VALU_DEP_4)
	v_cmp_ne_u16_e32 vcc_lo, s22, v6
	v_and_b32_e32 v5, 0xff, v5
	s_delay_alu instid0(VALU_DEP_4)
	v_and_b32_e32 v6, 0xff, v7
	s_wait_alu 0xfffd
	v_cndmask_b32_e64 v8, 0, 1, vcc_lo
	v_cmp_ne_u16_e32 vcc_lo, s22, v4
	s_wait_alu 0xfffd
	v_cndmask_b32_e64 v4, 0, 1, vcc_lo
	v_cmp_ne_u16_e32 vcc_lo, s22, v5
	s_delay_alu instid0(VALU_DEP_2) | instskip(SKIP_4) | instid1(VALU_DEP_3)
	v_lshlrev_b16 v10, 8, v4
	s_wait_alu 0xfffd
	v_cndmask_b32_e64 v5, 0, 1, vcc_lo
	v_cmp_ne_u16_e32 vcc_lo, s22, v6
	v_lshlrev_b64_e32 v[6:7], 2, v[0:1]
	v_lshlrev_b16 v5, 8, v5
	s_wait_alu 0xfffd
	v_cndmask_b32_e64 v9, 0, 1, vcc_lo
	v_add_co_u32 v4, vcc_lo, s8, v2
	s_wait_alu 0xfffe
	v_add_co_u32 v2, s0, v2, s5
	s_delay_alu instid0(VALU_DEP_3)
	v_or_b32_e32 v9, v9, v10
	v_or_b32_e32 v8, v8, v5
	s_wait_alu 0xfffd
	v_add_co_ci_u32_e64 v5, null, s9, v3, vcc_lo
	v_cmp_le_i64_e32 vcc_lo, s[2:3], v[6:7]
	v_lshlrev_b32_e32 v9, 16, v9
	v_and_b32_e32 v8, 0xffff, v8
	s_wait_alu 0xf1ff
	v_add_co_ci_u32_e64 v3, null, 0, v3, s0
	s_or_b32 s4, vcc_lo, s4
	v_or_b32_e32 v6, v8, v9
	global_store_b32 v[4:5], v6, off
	s_wait_alu 0xfffe
	s_and_not1_b32 exec_lo, exec_lo, s4
	s_cbranch_execnz .LBB104_24
.LBB104_25:
	s_endpgm
	.section	.rodata,"a",@progbits
	.p2align	6, 0x0
	.amdhsa_kernel _ZN2at6native12_GLOBAL__N_125multi_tensor_apply_kernelINS1_18TensorListMetadataILi2EEENS1_21BinaryOpScalarFunctorIbLi2ELi1ELi1EEEJSt5minusIbEbEEEvT_T0_DpT1_
		.amdhsa_group_segment_fixed_size 0
		.amdhsa_private_segment_fixed_size 0
		.amdhsa_kernarg_size 3408
		.amdhsa_user_sgpr_count 2
		.amdhsa_user_sgpr_dispatch_ptr 0
		.amdhsa_user_sgpr_queue_ptr 0
		.amdhsa_user_sgpr_kernarg_segment_ptr 1
		.amdhsa_user_sgpr_dispatch_id 0
		.amdhsa_user_sgpr_private_segment_size 0
		.amdhsa_wavefront_size32 1
		.amdhsa_uses_dynamic_stack 0
		.amdhsa_enable_private_segment 0
		.amdhsa_system_sgpr_workgroup_id_x 1
		.amdhsa_system_sgpr_workgroup_id_y 0
		.amdhsa_system_sgpr_workgroup_id_z 0
		.amdhsa_system_sgpr_workgroup_info 0
		.amdhsa_system_vgpr_workitem_id 0
		.amdhsa_next_free_vgpr 27
		.amdhsa_next_free_sgpr 28
		.amdhsa_reserve_vcc 1
		.amdhsa_float_round_mode_32 0
		.amdhsa_float_round_mode_16_64 0
		.amdhsa_float_denorm_mode_32 3
		.amdhsa_float_denorm_mode_16_64 3
		.amdhsa_fp16_overflow 0
		.amdhsa_workgroup_processor_mode 1
		.amdhsa_memory_ordered 1
		.amdhsa_forward_progress 1
		.amdhsa_inst_pref_size 14
		.amdhsa_round_robin_scheduling 0
		.amdhsa_exception_fp_ieee_invalid_op 0
		.amdhsa_exception_fp_denorm_src 0
		.amdhsa_exception_fp_ieee_div_zero 0
		.amdhsa_exception_fp_ieee_overflow 0
		.amdhsa_exception_fp_ieee_underflow 0
		.amdhsa_exception_fp_ieee_inexact 0
		.amdhsa_exception_int_div_zero 0
	.end_amdhsa_kernel
	.section	.text._ZN2at6native12_GLOBAL__N_125multi_tensor_apply_kernelINS1_18TensorListMetadataILi2EEENS1_21BinaryOpScalarFunctorIbLi2ELi1ELi1EEEJSt5minusIbEbEEEvT_T0_DpT1_,"axG",@progbits,_ZN2at6native12_GLOBAL__N_125multi_tensor_apply_kernelINS1_18TensorListMetadataILi2EEENS1_21BinaryOpScalarFunctorIbLi2ELi1ELi1EEEJSt5minusIbEbEEEvT_T0_DpT1_,comdat
.Lfunc_end104:
	.size	_ZN2at6native12_GLOBAL__N_125multi_tensor_apply_kernelINS1_18TensorListMetadataILi2EEENS1_21BinaryOpScalarFunctorIbLi2ELi1ELi1EEEJSt5minusIbEbEEEvT_T0_DpT1_, .Lfunc_end104-_ZN2at6native12_GLOBAL__N_125multi_tensor_apply_kernelINS1_18TensorListMetadataILi2EEENS1_21BinaryOpScalarFunctorIbLi2ELi1ELi1EEEJSt5minusIbEbEEEvT_T0_DpT1_
                                        ; -- End function
	.set _ZN2at6native12_GLOBAL__N_125multi_tensor_apply_kernelINS1_18TensorListMetadataILi2EEENS1_21BinaryOpScalarFunctorIbLi2ELi1ELi1EEEJSt5minusIbEbEEEvT_T0_DpT1_.num_vgpr, 27
	.set _ZN2at6native12_GLOBAL__N_125multi_tensor_apply_kernelINS1_18TensorListMetadataILi2EEENS1_21BinaryOpScalarFunctorIbLi2ELi1ELi1EEEJSt5minusIbEbEEEvT_T0_DpT1_.num_agpr, 0
	.set _ZN2at6native12_GLOBAL__N_125multi_tensor_apply_kernelINS1_18TensorListMetadataILi2EEENS1_21BinaryOpScalarFunctorIbLi2ELi1ELi1EEEJSt5minusIbEbEEEvT_T0_DpT1_.numbered_sgpr, 28
	.set _ZN2at6native12_GLOBAL__N_125multi_tensor_apply_kernelINS1_18TensorListMetadataILi2EEENS1_21BinaryOpScalarFunctorIbLi2ELi1ELi1EEEJSt5minusIbEbEEEvT_T0_DpT1_.num_named_barrier, 0
	.set _ZN2at6native12_GLOBAL__N_125multi_tensor_apply_kernelINS1_18TensorListMetadataILi2EEENS1_21BinaryOpScalarFunctorIbLi2ELi1ELi1EEEJSt5minusIbEbEEEvT_T0_DpT1_.private_seg_size, 0
	.set _ZN2at6native12_GLOBAL__N_125multi_tensor_apply_kernelINS1_18TensorListMetadataILi2EEENS1_21BinaryOpScalarFunctorIbLi2ELi1ELi1EEEJSt5minusIbEbEEEvT_T0_DpT1_.uses_vcc, 1
	.set _ZN2at6native12_GLOBAL__N_125multi_tensor_apply_kernelINS1_18TensorListMetadataILi2EEENS1_21BinaryOpScalarFunctorIbLi2ELi1ELi1EEEJSt5minusIbEbEEEvT_T0_DpT1_.uses_flat_scratch, 0
	.set _ZN2at6native12_GLOBAL__N_125multi_tensor_apply_kernelINS1_18TensorListMetadataILi2EEENS1_21BinaryOpScalarFunctorIbLi2ELi1ELi1EEEJSt5minusIbEbEEEvT_T0_DpT1_.has_dyn_sized_stack, 0
	.set _ZN2at6native12_GLOBAL__N_125multi_tensor_apply_kernelINS1_18TensorListMetadataILi2EEENS1_21BinaryOpScalarFunctorIbLi2ELi1ELi1EEEJSt5minusIbEbEEEvT_T0_DpT1_.has_recursion, 0
	.set _ZN2at6native12_GLOBAL__N_125multi_tensor_apply_kernelINS1_18TensorListMetadataILi2EEENS1_21BinaryOpScalarFunctorIbLi2ELi1ELi1EEEJSt5minusIbEbEEEvT_T0_DpT1_.has_indirect_call, 0
	.section	.AMDGPU.csdata,"",@progbits
; Kernel info:
; codeLenInByte = 1768
; TotalNumSgprs: 30
; NumVgprs: 27
; ScratchSize: 0
; MemoryBound: 0
; FloatMode: 240
; IeeeMode: 1
; LDSByteSize: 0 bytes/workgroup (compile time only)
; SGPRBlocks: 0
; VGPRBlocks: 3
; NumSGPRsForWavesPerEU: 30
; NumVGPRsForWavesPerEU: 27
; Occupancy: 16
; WaveLimiterHint : 0
; COMPUTE_PGM_RSRC2:SCRATCH_EN: 0
; COMPUTE_PGM_RSRC2:USER_SGPR: 2
; COMPUTE_PGM_RSRC2:TRAP_HANDLER: 0
; COMPUTE_PGM_RSRC2:TGID_X_EN: 1
; COMPUTE_PGM_RSRC2:TGID_Y_EN: 0
; COMPUTE_PGM_RSRC2:TGID_Z_EN: 0
; COMPUTE_PGM_RSRC2:TIDIG_COMP_CNT: 0
	.section	.text._ZN2at6native12_GLOBAL__N_125multi_tensor_apply_kernelINS1_18TensorListMetadataILi2EEENS1_21BinaryOpScalarFunctorIN3c104HalfELi2ELi1ELi1EEEJSt5minusIfEfEEEvT_T0_DpT1_,"axG",@progbits,_ZN2at6native12_GLOBAL__N_125multi_tensor_apply_kernelINS1_18TensorListMetadataILi2EEENS1_21BinaryOpScalarFunctorIN3c104HalfELi2ELi1ELi1EEEJSt5minusIfEfEEEvT_T0_DpT1_,comdat
	.globl	_ZN2at6native12_GLOBAL__N_125multi_tensor_apply_kernelINS1_18TensorListMetadataILi2EEENS1_21BinaryOpScalarFunctorIN3c104HalfELi2ELi1ELi1EEEJSt5minusIfEfEEEvT_T0_DpT1_ ; -- Begin function _ZN2at6native12_GLOBAL__N_125multi_tensor_apply_kernelINS1_18TensorListMetadataILi2EEENS1_21BinaryOpScalarFunctorIN3c104HalfELi2ELi1ELi1EEEJSt5minusIfEfEEEvT_T0_DpT1_
	.p2align	8
	.type	_ZN2at6native12_GLOBAL__N_125multi_tensor_apply_kernelINS1_18TensorListMetadataILi2EEENS1_21BinaryOpScalarFunctorIN3c104HalfELi2ELi1ELi1EEEJSt5minusIfEfEEEvT_T0_DpT1_,@function
_ZN2at6native12_GLOBAL__N_125multi_tensor_apply_kernelINS1_18TensorListMetadataILi2EEENS1_21BinaryOpScalarFunctorIN3c104HalfELi2ELi1ELi1EEEJSt5minusIfEfEEEvT_T0_DpT1_: ; @_ZN2at6native12_GLOBAL__N_125multi_tensor_apply_kernelINS1_18TensorListMetadataILi2EEENS1_21BinaryOpScalarFunctorIN3c104HalfELi2ELi1ELi1EEEJSt5minusIfEfEEEvT_T0_DpT1_
; %bb.0:
	s_load_u8 s8, s[0:1], ttmp9 offset:0x600
	s_mov_b32 s2, ttmp9
	s_mov_b32 s3, 0
	s_delay_alu instid0(SALU_CYCLE_1)
	s_mul_u64 s[4:5], s[2:3], 3
	s_add_nc_u64 s[6:7], s[0:1], s[2:3]
	s_mov_b32 s15, s3
	s_add_nc_u64 s[4:5], s[6:7], s[4:5]
	s_mov_b32 s17, s3
	s_load_b32 s4, s[4:5], 0x740
	s_wait_kmcnt 0x0
	s_lshl_b32 s2, s8, 3
	s_clause 0x3
	s_load_b64 s[6:7], s[0:1], s2 offset:0x0
	s_load_b64 s[8:9], s[0:1], s2 offset:0x200
	;; [unrolled: 1-line block ×3, first 2 shown]
	s_load_b32 s22, s[0:1], 0xc4c
	s_ashr_i32 s5, s4, 31
	s_delay_alu instid0(SALU_CYCLE_1)
	s_lshl_b64 s[10:11], s[4:5], 17
	s_lshl_b64 s[4:5], s[4:5], 16
	s_wait_kmcnt 0x0
	s_add_nc_u64 s[18:19], s[6:7], s[10:11]
	s_and_b32 s14, s8, 7
	s_and_b32 s16, s12, 3
	;; [unrolled: 1-line block ×3, first 2 shown]
	s_or_b64 s[14:15], s[14:15], s[16:17]
	s_sub_nc_u64 s[12:13], s[12:13], s[4:5]
	s_or_b64 s[2:3], s[14:15], s[2:3]
	s_delay_alu instid0(SALU_CYCLE_1)
	s_cmp_eq_u64 s[2:3], 0
	s_mov_b32 s2, -1
	s_cbranch_scc1 .LBB105_21
; %bb.1:
	v_cmp_lt_i64_e64 s2, s[12:13], 1
	s_and_b32 vcc_lo, exec_lo, s2
	s_cbranch_vccnz .LBB105_20
; %bb.2:
	s_load_b32 s2, s[0:1], 0xc5c
	v_cmp_gt_i64_e64 s3, 0x10000, s[12:13]
	v_dual_mov_b32 v10, 0 :: v_dual_lshlrev_b32 v9, 1, v0
	v_cmp_gt_u64_e64 s4, 0x10000, s[12:13]
	s_mov_b32 s19, 0
	s_mov_b64 s[20:21], 0
	s_and_b32 s3, s3, exec_lo
	v_add_co_u32 v1, s5, s6, v9
	s_cselect_b32 s15, s13, 0
	s_cselect_b32 s14, s12, 0x10000
	v_add_co_ci_u32_e64 v2, null, s7, 0, s5
	v_add_co_u32 v3, s5, s8, v9
	s_wait_alu 0xf1ff
	v_add_co_ci_u32_e64 v4, null, s9, 0, s5
	s_wait_kmcnt 0x0
	s_and_b32 s2, s2, 0xffff
	s_and_b32 s3, s4, exec_lo
	s_cselect_b32 s17, s13, 0
	s_cselect_b32 s16, s12, 0x10000
	s_mul_i32 s4, s2, 3
	s_lshl_b32 s18, s2, 2
	v_mad_co_u64_u32 v[7:8], null, s2, 6, v[9:10]
	v_add_co_u32 v14, s5, s18, v9
	s_wait_alu 0xfffe
	v_add_co_u32 v9, s4, s4, v0
	s_wait_alu 0xf1ff
	v_add_co_ci_u32_e64 v10, null, 0, 0, s4
	v_add_co_u32 v13, s4, v0, s2
	s_lshl_b32 s3, s2, 1
	v_add_co_u32 v5, vcc_lo, s6, v7
	v_lshlrev_b32_e32 v21, 1, v13
	v_add_co_ci_u32_e64 v15, null, 0, 0, s5
	v_add_co_ci_u32_e64 v6, null, s7, v8, vcc_lo
	v_add_co_u32 v7, vcc_lo, s8, v7
	s_wait_alu 0xfffe
	v_add_co_u32 v17, s3, s3, v0
	s_wait_alu 0xfffd
	v_add_co_ci_u32_e64 v8, null, s9, v8, vcc_lo
	v_add_co_u32 v11, vcc_lo, s6, v14
	s_wait_alu 0xf1ff
	v_add_co_ci_u32_e64 v18, null, 0, 0, s3
	v_add_co_u32 v19, s3, s6, v21
	s_wait_alu 0xfffd
	v_add_co_ci_u32_e64 v12, null, s7, v15, vcc_lo
	v_add_co_u32 v14, vcc_lo, s8, v14
	s_wait_alu 0xf1ff
	v_add_co_ci_u32_e64 v20, null, s7, 0, s3
	v_add_co_u32 v21, s3, s8, v21
	s_wait_alu 0xfffd
	v_add_co_ci_u32_e64 v15, null, s9, v15, vcc_lo
	v_add_co_ci_u32_e64 v16, null, 0, 0, s4
	s_wait_alu 0xf1ff
	v_add_co_ci_u32_e64 v22, null, s9, 0, s3
	s_lshl_b32 s23, s2, 3
	s_branch .LBB105_4
.LBB105_3:                              ;   in Loop: Header=BB105_4 Depth=1
	s_wait_alu 0xfffe
	s_or_b32 exec_lo, exec_lo, s2
	v_add_co_u32 v1, vcc_lo, v1, s23
	s_wait_alu 0xfffd
	v_add_co_ci_u32_e64 v2, null, 0, v2, vcc_lo
	v_add_co_u32 v3, vcc_lo, v3, s23
	s_wait_alu 0xfffd
	v_add_co_ci_u32_e64 v4, null, 0, v4, vcc_lo
	;; [unrolled: 3-line block ×5, first 2 shown]
	v_add_co_u32 v14, vcc_lo, v14, s23
	s_add_nc_u64 s[20:21], s[20:21], s[18:19]
	s_wait_alu 0xfffd
	v_add_co_ci_u32_e64 v15, null, 0, v15, vcc_lo
	v_add_co_u32 v19, vcc_lo, v19, s23
	s_wait_alu 0xfffe
	v_cmp_lt_i64_e64 s2, s[20:21], s[14:15]
	s_wait_alu 0xfffd
	v_add_co_ci_u32_e64 v20, null, 0, v20, vcc_lo
	v_add_co_u32 v21, vcc_lo, v21, s23
	s_wait_alu 0xfffd
	v_add_co_ci_u32_e64 v22, null, 0, v22, vcc_lo
	s_and_b32 vcc_lo, exec_lo, s2
	s_wait_alu 0xfffe
	s_cbranch_vccz .LBB105_20
.LBB105_4:                              ; =>This Inner Loop Header: Depth=1
	v_add_co_u32 v23, s2, v0, s20
	s_wait_alu 0xf1ff
	v_add_co_ci_u32_e64 v24, null, 0, s21, s2
	s_delay_alu instid0(VALU_DEP_1)
	v_cmp_gt_u64_e32 vcc_lo, s[16:17], v[23:24]
	v_mov_b32_e32 v24, 0
	s_and_saveexec_b32 s3, vcc_lo
	s_cbranch_execz .LBB105_6
; %bb.5:                                ;   in Loop: Header=BB105_4 Depth=1
	v_add_co_u32 v23, s2, v1, s10
	s_wait_alu 0xf1ff
	v_add_co_ci_u32_e64 v24, null, s11, v2, s2
	global_load_u16 v23, v[23:24], off
	s_wait_loadcnt 0x0
	v_cvt_f32_f16_e32 v24, v23
.LBB105_6:                              ;   in Loop: Header=BB105_4 Depth=1
	s_wait_alu 0xfffe
	s_or_b32 exec_lo, exec_lo, s3
	v_add_co_u32 v25, s2, v13, s20
	s_wait_alu 0xf1ff
	v_add_co_ci_u32_e64 v26, null, s21, v16, s2
	v_mov_b32_e32 v23, 0
	s_delay_alu instid0(VALU_DEP_2)
	v_cmp_gt_u64_e64 s2, s[16:17], v[25:26]
	v_mov_b32_e32 v25, 0
	s_and_saveexec_b32 s4, s2
	s_cbranch_execz .LBB105_8
; %bb.7:                                ;   in Loop: Header=BB105_4 Depth=1
	v_add_co_u32 v25, s3, v19, s10
	s_wait_alu 0xf1ff
	v_add_co_ci_u32_e64 v26, null, s11, v20, s3
	global_load_u16 v25, v[25:26], off
	s_wait_loadcnt 0x0
	v_cvt_f32_f16_e32 v25, v25
.LBB105_8:                              ;   in Loop: Header=BB105_4 Depth=1
	s_wait_alu 0xfffe
	s_or_b32 exec_lo, exec_lo, s4
	v_add_co_u32 v26, s3, v17, s20
	s_wait_alu 0xf1ff
	v_add_co_ci_u32_e64 v27, null, s21, v18, s3
	s_delay_alu instid0(VALU_DEP_1)
	v_cmp_gt_u64_e64 s3, s[16:17], v[26:27]
	s_and_saveexec_b32 s5, s3
	s_cbranch_execz .LBB105_10
; %bb.9:                                ;   in Loop: Header=BB105_4 Depth=1
	v_add_co_u32 v26, s4, v11, s10
	s_wait_alu 0xf1ff
	v_add_co_ci_u32_e64 v27, null, s11, v12, s4
	global_load_u16 v23, v[26:27], off
	s_wait_loadcnt 0x0
	v_cvt_f32_f16_e32 v23, v23
.LBB105_10:                             ;   in Loop: Header=BB105_4 Depth=1
	s_wait_alu 0xfffe
	s_or_b32 exec_lo, exec_lo, s5
	v_add_co_u32 v26, s4, v9, s20
	s_wait_alu 0xf1ff
	v_add_co_ci_u32_e64 v27, null, s21, v10, s4
	s_delay_alu instid0(VALU_DEP_1)
	v_cmp_gt_u64_e64 s4, s[16:17], v[26:27]
	v_mov_b32_e32 v26, 0
	s_and_saveexec_b32 s24, s4
	s_cbranch_execnz .LBB105_15
; %bb.11:                               ;   in Loop: Header=BB105_4 Depth=1
	s_or_b32 exec_lo, exec_lo, s24
	s_and_saveexec_b32 s5, vcc_lo
	s_cbranch_execnz .LBB105_16
.LBB105_12:                             ;   in Loop: Header=BB105_4 Depth=1
	s_wait_alu 0xfffe
	s_or_b32 exec_lo, exec_lo, s5
	s_and_saveexec_b32 s5, s2
	s_cbranch_execnz .LBB105_17
.LBB105_13:                             ;   in Loop: Header=BB105_4 Depth=1
	s_wait_alu 0xfffe
	s_or_b32 exec_lo, exec_lo, s5
	s_and_saveexec_b32 s2, s3
	s_cbranch_execnz .LBB105_18
.LBB105_14:                             ;   in Loop: Header=BB105_4 Depth=1
	s_wait_alu 0xfffe
	s_or_b32 exec_lo, exec_lo, s2
	s_and_saveexec_b32 s2, s4
	s_cbranch_execz .LBB105_3
	s_branch .LBB105_19
.LBB105_15:                             ;   in Loop: Header=BB105_4 Depth=1
	v_add_co_u32 v26, s5, v5, s10
	s_wait_alu 0xf1ff
	v_add_co_ci_u32_e64 v27, null, s11, v6, s5
	global_load_u16 v26, v[26:27], off
	s_wait_loadcnt 0x0
	v_cvt_f32_f16_e32 v26, v26
	s_or_b32 exec_lo, exec_lo, s24
	s_and_saveexec_b32 s5, vcc_lo
	s_cbranch_execz .LBB105_12
.LBB105_16:                             ;   in Loop: Header=BB105_4 Depth=1
	v_subrev_f32_e32 v24, s22, v24
	v_add_co_u32 v27, vcc_lo, v3, s10
	s_wait_alu 0xfffd
	v_add_co_ci_u32_e64 v28, null, s11, v4, vcc_lo
	s_delay_alu instid0(VALU_DEP_3)
	v_cvt_f16_f32_e32 v24, v24
	global_store_b16 v[27:28], v24, off
	s_wait_alu 0xfffe
	s_or_b32 exec_lo, exec_lo, s5
	s_and_saveexec_b32 s5, s2
	s_cbranch_execz .LBB105_13
.LBB105_17:                             ;   in Loop: Header=BB105_4 Depth=1
	v_subrev_f32_e32 v24, s22, v25
	s_delay_alu instid0(VALU_DEP_1)
	v_cvt_f16_f32_e32 v27, v24
	v_add_co_u32 v24, vcc_lo, v21, s10
	s_wait_alu 0xfffd
	v_add_co_ci_u32_e64 v25, null, s11, v22, vcc_lo
	global_store_b16 v[24:25], v27, off
	s_wait_alu 0xfffe
	s_or_b32 exec_lo, exec_lo, s5
	s_and_saveexec_b32 s2, s3
	s_cbranch_execz .LBB105_14
.LBB105_18:                             ;   in Loop: Header=BB105_4 Depth=1
	v_subrev_f32_e32 v23, s22, v23
	s_delay_alu instid0(VALU_DEP_1)
	v_cvt_f16_f32_e32 v25, v23
	v_add_co_u32 v23, vcc_lo, v14, s10
	s_wait_alu 0xfffd
	v_add_co_ci_u32_e64 v24, null, s11, v15, vcc_lo
	global_store_b16 v[23:24], v25, off
	s_wait_alu 0xfffe
	s_or_b32 exec_lo, exec_lo, s2
	s_and_saveexec_b32 s2, s4
	s_cbranch_execz .LBB105_3
.LBB105_19:                             ;   in Loop: Header=BB105_4 Depth=1
	v_subrev_f32_e32 v23, s22, v26
	s_delay_alu instid0(VALU_DEP_1)
	v_cvt_f16_f32_e32 v25, v23
	v_add_co_u32 v23, vcc_lo, v7, s10
	s_wait_alu 0xfffd
	v_add_co_ci_u32_e64 v24, null, s11, v8, vcc_lo
	global_store_b16 v[23:24], v25, off
	s_branch .LBB105_3
.LBB105_20:
	s_mov_b32 s2, 0
.LBB105_21:
	s_wait_alu 0xfffe
	s_and_not1_b32 vcc_lo, exec_lo, s2
	s_wait_alu 0xfffe
	s_cbranch_vccnz .LBB105_25
; %bb.22:
	v_cmp_gt_i64_e64 s2, 0x10000, s[12:13]
	v_dual_mov_b32 v2, 0 :: v_dual_lshlrev_b32 v1, 2, v0
	s_mov_b32 s4, 0
	s_mov_b32 s5, exec_lo
	s_and_b32 s2, s2, exec_lo
	s_cselect_b32 s3, s13, 0
	s_cselect_b32 s2, s12, 0x10000
	s_wait_alu 0xfffe
	v_cmpx_gt_i64_e64 s[2:3], v[1:2]
	s_cbranch_execz .LBB105_25
; %bb.23:
	s_load_b32 s0, s[0:1], 0xc5c
	v_lshlrev_b32_e32 v3, 3, v0
	v_mov_b32_e32 v1, v2
	s_mov_b32 s5, s22
	s_delay_alu instid0(VALU_DEP_2) | instskip(NEXT) | instid1(VALU_DEP_1)
	v_add_co_u32 v2, s1, s10, v3
	v_add_co_ci_u32_e64 v3, null, s11, 0, s1
	s_wait_kmcnt 0x0
	s_and_b32 s1, s0, 0xffff
	s_wait_alu 0xfffe
	s_lshl_b32 s10, s1, 3
.LBB105_24:                             ; =>This Inner Loop Header: Depth=1
	v_add_co_u32 v4, vcc_lo, s6, v2
	s_wait_alu 0xfffd
	v_add_co_ci_u32_e64 v5, null, s7, v3, vcc_lo
	v_add_co_u32 v0, vcc_lo, v0, s1
	s_wait_alu 0xfffd
	v_add_co_ci_u32_e64 v1, null, 0, v1, vcc_lo
	global_load_b64 v[4:5], v[4:5], off
	v_add_co_u32 v6, vcc_lo, s8, v2
	v_lshlrev_b64_e32 v[8:9], 2, v[0:1]
	s_wait_alu 0xfffd
	v_add_co_ci_u32_e64 v7, null, s9, v3, vcc_lo
	s_wait_alu 0xfffe
	v_add_co_u32 v2, vcc_lo, v2, s10
	s_wait_alu 0xfffd
	v_add_co_ci_u32_e64 v3, null, 0, v3, vcc_lo
	v_cmp_le_i64_e64 s0, s[2:3], v[8:9]
	s_or_b32 s4, s0, s4
	s_wait_loadcnt 0x0
	v_lshrrev_b32_e32 v10, 16, v5
	v_lshrrev_b32_e32 v11, 16, v4
	v_cvt_f32_f16_e32 v4, v4
	v_cvt_f32_f16_e32 v5, v5
	s_delay_alu instid0(VALU_DEP_4) | instskip(NEXT) | instid1(VALU_DEP_4)
	v_cvt_f32_f16_e32 v10, v10
	v_cvt_f32_f16_e32 v11, v11
	s_delay_alu instid0(VALU_DEP_3) | instskip(NEXT) | instid1(VALU_DEP_2)
	v_dual_subrev_f32 v4, s22, v4 :: v_dual_subrev_f32 v5, s5, v5
	v_dual_subrev_f32 v10, s22, v10 :: v_dual_subrev_f32 v11, s22, v11
	s_delay_alu instid0(VALU_DEP_2) | instskip(NEXT) | instid1(VALU_DEP_3)
	v_cvt_f16_f32_e32 v4, v4
	v_cvt_f16_f32_e32 v5, v5
	s_delay_alu instid0(VALU_DEP_3) | instskip(NEXT) | instid1(VALU_DEP_4)
	v_cvt_f16_f32_e32 v10, v10
	v_cvt_f16_f32_e32 v11, v11
	s_delay_alu instid0(VALU_DEP_2) | instskip(NEXT) | instid1(VALU_DEP_2)
	v_pack_b32_f16 v5, v5, v10
	v_pack_b32_f16 v4, v4, v11
	global_store_b64 v[6:7], v[4:5], off
	s_wait_alu 0xfffe
	s_and_not1_b32 exec_lo, exec_lo, s4
	s_cbranch_execnz .LBB105_24
.LBB105_25:
	s_endpgm
	.section	.rodata,"a",@progbits
	.p2align	6, 0x0
	.amdhsa_kernel _ZN2at6native12_GLOBAL__N_125multi_tensor_apply_kernelINS1_18TensorListMetadataILi2EEENS1_21BinaryOpScalarFunctorIN3c104HalfELi2ELi1ELi1EEEJSt5minusIfEfEEEvT_T0_DpT1_
		.amdhsa_group_segment_fixed_size 0
		.amdhsa_private_segment_fixed_size 0
		.amdhsa_kernarg_size 3408
		.amdhsa_user_sgpr_count 2
		.amdhsa_user_sgpr_dispatch_ptr 0
		.amdhsa_user_sgpr_queue_ptr 0
		.amdhsa_user_sgpr_kernarg_segment_ptr 1
		.amdhsa_user_sgpr_dispatch_id 0
		.amdhsa_user_sgpr_private_segment_size 0
		.amdhsa_wavefront_size32 1
		.amdhsa_uses_dynamic_stack 0
		.amdhsa_enable_private_segment 0
		.amdhsa_system_sgpr_workgroup_id_x 1
		.amdhsa_system_sgpr_workgroup_id_y 0
		.amdhsa_system_sgpr_workgroup_id_z 0
		.amdhsa_system_sgpr_workgroup_info 0
		.amdhsa_system_vgpr_workitem_id 0
		.amdhsa_next_free_vgpr 29
		.amdhsa_next_free_sgpr 25
		.amdhsa_reserve_vcc 1
		.amdhsa_float_round_mode_32 0
		.amdhsa_float_round_mode_16_64 0
		.amdhsa_float_denorm_mode_32 3
		.amdhsa_float_denorm_mode_16_64 3
		.amdhsa_fp16_overflow 0
		.amdhsa_workgroup_processor_mode 1
		.amdhsa_memory_ordered 1
		.amdhsa_forward_progress 1
		.amdhsa_inst_pref_size 14
		.amdhsa_round_robin_scheduling 0
		.amdhsa_exception_fp_ieee_invalid_op 0
		.amdhsa_exception_fp_denorm_src 0
		.amdhsa_exception_fp_ieee_div_zero 0
		.amdhsa_exception_fp_ieee_overflow 0
		.amdhsa_exception_fp_ieee_underflow 0
		.amdhsa_exception_fp_ieee_inexact 0
		.amdhsa_exception_int_div_zero 0
	.end_amdhsa_kernel
	.section	.text._ZN2at6native12_GLOBAL__N_125multi_tensor_apply_kernelINS1_18TensorListMetadataILi2EEENS1_21BinaryOpScalarFunctorIN3c104HalfELi2ELi1ELi1EEEJSt5minusIfEfEEEvT_T0_DpT1_,"axG",@progbits,_ZN2at6native12_GLOBAL__N_125multi_tensor_apply_kernelINS1_18TensorListMetadataILi2EEENS1_21BinaryOpScalarFunctorIN3c104HalfELi2ELi1ELi1EEEJSt5minusIfEfEEEvT_T0_DpT1_,comdat
.Lfunc_end105:
	.size	_ZN2at6native12_GLOBAL__N_125multi_tensor_apply_kernelINS1_18TensorListMetadataILi2EEENS1_21BinaryOpScalarFunctorIN3c104HalfELi2ELi1ELi1EEEJSt5minusIfEfEEEvT_T0_DpT1_, .Lfunc_end105-_ZN2at6native12_GLOBAL__N_125multi_tensor_apply_kernelINS1_18TensorListMetadataILi2EEENS1_21BinaryOpScalarFunctorIN3c104HalfELi2ELi1ELi1EEEJSt5minusIfEfEEEvT_T0_DpT1_
                                        ; -- End function
	.set _ZN2at6native12_GLOBAL__N_125multi_tensor_apply_kernelINS1_18TensorListMetadataILi2EEENS1_21BinaryOpScalarFunctorIN3c104HalfELi2ELi1ELi1EEEJSt5minusIfEfEEEvT_T0_DpT1_.num_vgpr, 29
	.set _ZN2at6native12_GLOBAL__N_125multi_tensor_apply_kernelINS1_18TensorListMetadataILi2EEENS1_21BinaryOpScalarFunctorIN3c104HalfELi2ELi1ELi1EEEJSt5minusIfEfEEEvT_T0_DpT1_.num_agpr, 0
	.set _ZN2at6native12_GLOBAL__N_125multi_tensor_apply_kernelINS1_18TensorListMetadataILi2EEENS1_21BinaryOpScalarFunctorIN3c104HalfELi2ELi1ELi1EEEJSt5minusIfEfEEEvT_T0_DpT1_.numbered_sgpr, 25
	.set _ZN2at6native12_GLOBAL__N_125multi_tensor_apply_kernelINS1_18TensorListMetadataILi2EEENS1_21BinaryOpScalarFunctorIN3c104HalfELi2ELi1ELi1EEEJSt5minusIfEfEEEvT_T0_DpT1_.num_named_barrier, 0
	.set _ZN2at6native12_GLOBAL__N_125multi_tensor_apply_kernelINS1_18TensorListMetadataILi2EEENS1_21BinaryOpScalarFunctorIN3c104HalfELi2ELi1ELi1EEEJSt5minusIfEfEEEvT_T0_DpT1_.private_seg_size, 0
	.set _ZN2at6native12_GLOBAL__N_125multi_tensor_apply_kernelINS1_18TensorListMetadataILi2EEENS1_21BinaryOpScalarFunctorIN3c104HalfELi2ELi1ELi1EEEJSt5minusIfEfEEEvT_T0_DpT1_.uses_vcc, 1
	.set _ZN2at6native12_GLOBAL__N_125multi_tensor_apply_kernelINS1_18TensorListMetadataILi2EEENS1_21BinaryOpScalarFunctorIN3c104HalfELi2ELi1ELi1EEEJSt5minusIfEfEEEvT_T0_DpT1_.uses_flat_scratch, 0
	.set _ZN2at6native12_GLOBAL__N_125multi_tensor_apply_kernelINS1_18TensorListMetadataILi2EEENS1_21BinaryOpScalarFunctorIN3c104HalfELi2ELi1ELi1EEEJSt5minusIfEfEEEvT_T0_DpT1_.has_dyn_sized_stack, 0
	.set _ZN2at6native12_GLOBAL__N_125multi_tensor_apply_kernelINS1_18TensorListMetadataILi2EEENS1_21BinaryOpScalarFunctorIN3c104HalfELi2ELi1ELi1EEEJSt5minusIfEfEEEvT_T0_DpT1_.has_recursion, 0
	.set _ZN2at6native12_GLOBAL__N_125multi_tensor_apply_kernelINS1_18TensorListMetadataILi2EEENS1_21BinaryOpScalarFunctorIN3c104HalfELi2ELi1ELi1EEEJSt5minusIfEfEEEvT_T0_DpT1_.has_indirect_call, 0
	.section	.AMDGPU.csdata,"",@progbits
; Kernel info:
; codeLenInByte = 1760
; TotalNumSgprs: 27
; NumVgprs: 29
; ScratchSize: 0
; MemoryBound: 0
; FloatMode: 240
; IeeeMode: 1
; LDSByteSize: 0 bytes/workgroup (compile time only)
; SGPRBlocks: 0
; VGPRBlocks: 3
; NumSGPRsForWavesPerEU: 27
; NumVGPRsForWavesPerEU: 29
; Occupancy: 16
; WaveLimiterHint : 0
; COMPUTE_PGM_RSRC2:SCRATCH_EN: 0
; COMPUTE_PGM_RSRC2:USER_SGPR: 2
; COMPUTE_PGM_RSRC2:TRAP_HANDLER: 0
; COMPUTE_PGM_RSRC2:TGID_X_EN: 1
; COMPUTE_PGM_RSRC2:TGID_Y_EN: 0
; COMPUTE_PGM_RSRC2:TGID_Z_EN: 0
; COMPUTE_PGM_RSRC2:TIDIG_COMP_CNT: 0
	.section	.text._ZN2at6native12_GLOBAL__N_125multi_tensor_apply_kernelINS1_18TensorListMetadataILi2EEENS1_21BinaryOpScalarFunctorIN3c108BFloat16ELi2ELi1ELi1EEEJSt5minusIfEfEEEvT_T0_DpT1_,"axG",@progbits,_ZN2at6native12_GLOBAL__N_125multi_tensor_apply_kernelINS1_18TensorListMetadataILi2EEENS1_21BinaryOpScalarFunctorIN3c108BFloat16ELi2ELi1ELi1EEEJSt5minusIfEfEEEvT_T0_DpT1_,comdat
	.globl	_ZN2at6native12_GLOBAL__N_125multi_tensor_apply_kernelINS1_18TensorListMetadataILi2EEENS1_21BinaryOpScalarFunctorIN3c108BFloat16ELi2ELi1ELi1EEEJSt5minusIfEfEEEvT_T0_DpT1_ ; -- Begin function _ZN2at6native12_GLOBAL__N_125multi_tensor_apply_kernelINS1_18TensorListMetadataILi2EEENS1_21BinaryOpScalarFunctorIN3c108BFloat16ELi2ELi1ELi1EEEJSt5minusIfEfEEEvT_T0_DpT1_
	.p2align	8
	.type	_ZN2at6native12_GLOBAL__N_125multi_tensor_apply_kernelINS1_18TensorListMetadataILi2EEENS1_21BinaryOpScalarFunctorIN3c108BFloat16ELi2ELi1ELi1EEEJSt5minusIfEfEEEvT_T0_DpT1_,@function
_ZN2at6native12_GLOBAL__N_125multi_tensor_apply_kernelINS1_18TensorListMetadataILi2EEENS1_21BinaryOpScalarFunctorIN3c108BFloat16ELi2ELi1ELi1EEEJSt5minusIfEfEEEvT_T0_DpT1_: ; @_ZN2at6native12_GLOBAL__N_125multi_tensor_apply_kernelINS1_18TensorListMetadataILi2EEENS1_21BinaryOpScalarFunctorIN3c108BFloat16ELi2ELi1ELi1EEEJSt5minusIfEfEEEvT_T0_DpT1_
; %bb.0:
	s_load_u8 s8, s[0:1], ttmp9 offset:0x600
	s_mov_b32 s2, ttmp9
	s_mov_b32 s3, 0
	s_delay_alu instid0(SALU_CYCLE_1)
	s_mul_u64 s[4:5], s[2:3], 3
	s_add_nc_u64 s[6:7], s[0:1], s[2:3]
	s_mov_b32 s15, s3
	s_add_nc_u64 s[4:5], s[6:7], s[4:5]
	s_mov_b32 s17, s3
	s_load_b32 s4, s[4:5], 0x740
	s_wait_kmcnt 0x0
	s_lshl_b32 s2, s8, 3
	s_clause 0x3
	s_load_b64 s[6:7], s[0:1], s2 offset:0x0
	s_load_b64 s[8:9], s[0:1], s2 offset:0x200
	s_load_b64 s[12:13], s[0:1], s2 offset:0x400
	s_load_b32 s22, s[0:1], 0xc4c
	s_ashr_i32 s5, s4, 31
	s_delay_alu instid0(SALU_CYCLE_1)
	s_lshl_b64 s[10:11], s[4:5], 17
	s_lshl_b64 s[4:5], s[4:5], 16
	s_wait_kmcnt 0x0
	s_add_nc_u64 s[18:19], s[6:7], s[10:11]
	s_and_b32 s14, s8, 7
	s_and_b32 s16, s12, 3
	;; [unrolled: 1-line block ×3, first 2 shown]
	s_or_b64 s[14:15], s[14:15], s[16:17]
	s_sub_nc_u64 s[12:13], s[12:13], s[4:5]
	s_or_b64 s[2:3], s[14:15], s[2:3]
	s_delay_alu instid0(SALU_CYCLE_1)
	s_cmp_eq_u64 s[2:3], 0
	s_mov_b32 s2, -1
	s_cbranch_scc1 .LBB106_21
; %bb.1:
	v_cmp_lt_i64_e64 s2, s[12:13], 1
	s_and_b32 vcc_lo, exec_lo, s2
	s_cbranch_vccnz .LBB106_20
; %bb.2:
	s_load_b32 s2, s[0:1], 0xc5c
	v_cmp_gt_i64_e64 s3, 0x10000, s[12:13]
	v_dual_mov_b32 v10, 0 :: v_dual_lshlrev_b32 v9, 1, v0
	v_cmp_gt_u64_e64 s4, 0x10000, s[12:13]
	s_mov_b32 s19, 0
	s_mov_b64 s[20:21], 0
	s_and_b32 s3, s3, exec_lo
	v_add_co_u32 v1, s5, s6, v9
	s_cselect_b32 s15, s13, 0
	s_cselect_b32 s14, s12, 0x10000
	v_add_co_ci_u32_e64 v2, null, s7, 0, s5
	v_add_co_u32 v3, s5, s8, v9
	s_wait_alu 0xf1ff
	v_add_co_ci_u32_e64 v4, null, s9, 0, s5
	s_wait_kmcnt 0x0
	s_and_b32 s2, s2, 0xffff
	s_and_b32 s3, s4, exec_lo
	s_cselect_b32 s17, s13, 0
	s_cselect_b32 s16, s12, 0x10000
	s_mul_i32 s4, s2, 3
	s_lshl_b32 s18, s2, 2
	v_mad_co_u64_u32 v[7:8], null, s2, 6, v[9:10]
	v_add_co_u32 v14, s5, s18, v9
	s_wait_alu 0xfffe
	v_add_co_u32 v9, s4, s4, v0
	s_wait_alu 0xf1ff
	v_add_co_ci_u32_e64 v10, null, 0, 0, s4
	v_add_co_u32 v13, s4, v0, s2
	s_lshl_b32 s3, s2, 1
	v_add_co_u32 v5, vcc_lo, s6, v7
	v_lshlrev_b32_e32 v21, 1, v13
	v_add_co_ci_u32_e64 v15, null, 0, 0, s5
	v_add_co_ci_u32_e64 v6, null, s7, v8, vcc_lo
	v_add_co_u32 v7, vcc_lo, s8, v7
	s_wait_alu 0xfffe
	v_add_co_u32 v17, s3, s3, v0
	s_wait_alu 0xfffd
	v_add_co_ci_u32_e64 v8, null, s9, v8, vcc_lo
	v_add_co_u32 v11, vcc_lo, s6, v14
	s_wait_alu 0xf1ff
	v_add_co_ci_u32_e64 v18, null, 0, 0, s3
	v_add_co_u32 v19, s3, s6, v21
	s_wait_alu 0xfffd
	v_add_co_ci_u32_e64 v12, null, s7, v15, vcc_lo
	v_add_co_u32 v14, vcc_lo, s8, v14
	s_wait_alu 0xf1ff
	v_add_co_ci_u32_e64 v20, null, s7, 0, s3
	v_add_co_u32 v21, s3, s8, v21
	s_wait_alu 0xfffd
	v_add_co_ci_u32_e64 v15, null, s9, v15, vcc_lo
	v_add_co_ci_u32_e64 v16, null, 0, 0, s4
	s_wait_alu 0xf1ff
	v_add_co_ci_u32_e64 v22, null, s9, 0, s3
	s_lshl_b32 s23, s2, 3
	s_branch .LBB106_4
.LBB106_3:                              ;   in Loop: Header=BB106_4 Depth=1
	s_wait_alu 0xfffe
	s_or_b32 exec_lo, exec_lo, s2
	v_add_co_u32 v1, vcc_lo, v1, s23
	s_wait_alu 0xfffd
	v_add_co_ci_u32_e64 v2, null, 0, v2, vcc_lo
	v_add_co_u32 v3, vcc_lo, v3, s23
	s_wait_alu 0xfffd
	v_add_co_ci_u32_e64 v4, null, 0, v4, vcc_lo
	;; [unrolled: 3-line block ×5, first 2 shown]
	v_add_co_u32 v14, vcc_lo, v14, s23
	s_add_nc_u64 s[20:21], s[20:21], s[18:19]
	s_wait_alu 0xfffd
	v_add_co_ci_u32_e64 v15, null, 0, v15, vcc_lo
	v_add_co_u32 v19, vcc_lo, v19, s23
	s_wait_alu 0xfffe
	v_cmp_lt_i64_e64 s2, s[20:21], s[14:15]
	s_wait_alu 0xfffd
	v_add_co_ci_u32_e64 v20, null, 0, v20, vcc_lo
	v_add_co_u32 v21, vcc_lo, v21, s23
	s_wait_alu 0xfffd
	v_add_co_ci_u32_e64 v22, null, 0, v22, vcc_lo
	s_and_b32 vcc_lo, exec_lo, s2
	s_wait_alu 0xfffe
	s_cbranch_vccz .LBB106_20
.LBB106_4:                              ; =>This Inner Loop Header: Depth=1
	v_add_co_u32 v23, s2, v0, s20
	s_wait_alu 0xf1ff
	v_add_co_ci_u32_e64 v24, null, 0, s21, s2
	s_delay_alu instid0(VALU_DEP_1)
	v_cmp_gt_u64_e32 vcc_lo, s[16:17], v[23:24]
	v_mov_b32_e32 v24, 0
	s_and_saveexec_b32 s3, vcc_lo
	s_cbranch_execz .LBB106_6
; %bb.5:                                ;   in Loop: Header=BB106_4 Depth=1
	v_add_co_u32 v23, s2, v1, s10
	s_wait_alu 0xf1ff
	v_add_co_ci_u32_e64 v24, null, s11, v2, s2
	global_load_u16 v23, v[23:24], off
	s_wait_loadcnt 0x0
	v_lshlrev_b32_e32 v24, 16, v23
.LBB106_6:                              ;   in Loop: Header=BB106_4 Depth=1
	s_wait_alu 0xfffe
	s_or_b32 exec_lo, exec_lo, s3
	v_add_co_u32 v25, s2, v13, s20
	s_wait_alu 0xf1ff
	v_add_co_ci_u32_e64 v26, null, s21, v16, s2
	v_mov_b32_e32 v23, 0
	s_delay_alu instid0(VALU_DEP_2)
	v_cmp_gt_u64_e64 s2, s[16:17], v[25:26]
	v_mov_b32_e32 v25, 0
	s_and_saveexec_b32 s4, s2
	s_cbranch_execz .LBB106_8
; %bb.7:                                ;   in Loop: Header=BB106_4 Depth=1
	v_add_co_u32 v25, s3, v19, s10
	s_wait_alu 0xf1ff
	v_add_co_ci_u32_e64 v26, null, s11, v20, s3
	global_load_u16 v25, v[25:26], off
	s_wait_loadcnt 0x0
	v_lshlrev_b32_e32 v25, 16, v25
.LBB106_8:                              ;   in Loop: Header=BB106_4 Depth=1
	s_wait_alu 0xfffe
	s_or_b32 exec_lo, exec_lo, s4
	v_add_co_u32 v26, s3, v17, s20
	s_wait_alu 0xf1ff
	v_add_co_ci_u32_e64 v27, null, s21, v18, s3
	s_delay_alu instid0(VALU_DEP_1)
	v_cmp_gt_u64_e64 s3, s[16:17], v[26:27]
	s_and_saveexec_b32 s5, s3
	s_cbranch_execz .LBB106_10
; %bb.9:                                ;   in Loop: Header=BB106_4 Depth=1
	v_add_co_u32 v26, s4, v11, s10
	s_wait_alu 0xf1ff
	v_add_co_ci_u32_e64 v27, null, s11, v12, s4
	global_load_u16 v23, v[26:27], off
	s_wait_loadcnt 0x0
	v_lshlrev_b32_e32 v23, 16, v23
.LBB106_10:                             ;   in Loop: Header=BB106_4 Depth=1
	s_wait_alu 0xfffe
	s_or_b32 exec_lo, exec_lo, s5
	v_add_co_u32 v26, s4, v9, s20
	s_wait_alu 0xf1ff
	v_add_co_ci_u32_e64 v27, null, s21, v10, s4
	s_delay_alu instid0(VALU_DEP_1)
	v_cmp_gt_u64_e64 s4, s[16:17], v[26:27]
	v_mov_b32_e32 v26, 0
	s_and_saveexec_b32 s24, s4
	s_cbranch_execnz .LBB106_15
; %bb.11:                               ;   in Loop: Header=BB106_4 Depth=1
	s_or_b32 exec_lo, exec_lo, s24
	s_and_saveexec_b32 s5, vcc_lo
	s_cbranch_execnz .LBB106_16
.LBB106_12:                             ;   in Loop: Header=BB106_4 Depth=1
	s_wait_alu 0xfffe
	s_or_b32 exec_lo, exec_lo, s5
	s_and_saveexec_b32 s5, s2
	s_cbranch_execnz .LBB106_17
.LBB106_13:                             ;   in Loop: Header=BB106_4 Depth=1
	s_wait_alu 0xfffe
	s_or_b32 exec_lo, exec_lo, s5
	s_and_saveexec_b32 s2, s3
	s_cbranch_execnz .LBB106_18
.LBB106_14:                             ;   in Loop: Header=BB106_4 Depth=1
	s_wait_alu 0xfffe
	s_or_b32 exec_lo, exec_lo, s2
	s_and_saveexec_b32 s2, s4
	s_cbranch_execz .LBB106_3
	s_branch .LBB106_19
.LBB106_15:                             ;   in Loop: Header=BB106_4 Depth=1
	v_add_co_u32 v26, s5, v5, s10
	s_wait_alu 0xf1ff
	v_add_co_ci_u32_e64 v27, null, s11, v6, s5
	global_load_u16 v26, v[26:27], off
	s_wait_loadcnt 0x0
	v_lshlrev_b32_e32 v26, 16, v26
	s_or_b32 exec_lo, exec_lo, s24
	s_and_saveexec_b32 s5, vcc_lo
	s_cbranch_execz .LBB106_12
.LBB106_16:                             ;   in Loop: Header=BB106_4 Depth=1
	v_subrev_f32_e32 v24, s22, v24
	s_delay_alu instid0(VALU_DEP_1) | instskip(NEXT) | instid1(VALU_DEP_1)
	v_bfe_u32 v27, v24, 16, 1
	v_add3_u32 v27, v24, v27, 0x7fff
	s_delay_alu instid0(VALU_DEP_1)
	v_lshrrev_b32_e32 v29, 16, v27
	v_add_co_u32 v27, vcc_lo, v3, s10
	s_wait_alu 0xfffd
	v_add_co_ci_u32_e64 v28, null, s11, v4, vcc_lo
	v_cmp_o_f32_e32 vcc_lo, v24, v24
	s_wait_alu 0xfffd
	v_cndmask_b32_e32 v24, 0x7fc0, v29, vcc_lo
	global_store_b16 v[27:28], v24, off
	s_wait_alu 0xfffe
	s_or_b32 exec_lo, exec_lo, s5
	s_and_saveexec_b32 s5, s2
	s_cbranch_execz .LBB106_13
.LBB106_17:                             ;   in Loop: Header=BB106_4 Depth=1
	v_subrev_f32_e32 v24, s22, v25
	s_delay_alu instid0(VALU_DEP_1) | instskip(SKIP_1) | instid1(VALU_DEP_2)
	v_bfe_u32 v25, v24, 16, 1
	v_cmp_o_f32_e32 vcc_lo, v24, v24
	v_add3_u32 v25, v24, v25, 0x7fff
	s_delay_alu instid0(VALU_DEP_1) | instskip(SKIP_1) | instid1(VALU_DEP_1)
	v_lshrrev_b32_e32 v25, 16, v25
	s_wait_alu 0xfffd
	v_cndmask_b32_e32 v27, 0x7fc0, v25, vcc_lo
	v_add_co_u32 v24, vcc_lo, v21, s10
	s_wait_alu 0xfffd
	v_add_co_ci_u32_e64 v25, null, s11, v22, vcc_lo
	global_store_b16 v[24:25], v27, off
	s_wait_alu 0xfffe
	s_or_b32 exec_lo, exec_lo, s5
	s_and_saveexec_b32 s2, s3
	s_cbranch_execz .LBB106_14
.LBB106_18:                             ;   in Loop: Header=BB106_4 Depth=1
	v_subrev_f32_e32 v23, s22, v23
	s_delay_alu instid0(VALU_DEP_1) | instskip(SKIP_1) | instid1(VALU_DEP_2)
	v_bfe_u32 v24, v23, 16, 1
	v_cmp_o_f32_e32 vcc_lo, v23, v23
	v_add3_u32 v24, v23, v24, 0x7fff
	s_delay_alu instid0(VALU_DEP_1) | instskip(SKIP_1) | instid1(VALU_DEP_1)
	v_lshrrev_b32_e32 v24, 16, v24
	s_wait_alu 0xfffd
	v_cndmask_b32_e32 v25, 0x7fc0, v24, vcc_lo
	v_add_co_u32 v23, vcc_lo, v14, s10
	s_wait_alu 0xfffd
	v_add_co_ci_u32_e64 v24, null, s11, v15, vcc_lo
	global_store_b16 v[23:24], v25, off
	s_wait_alu 0xfffe
	s_or_b32 exec_lo, exec_lo, s2
	s_and_saveexec_b32 s2, s4
	s_cbranch_execz .LBB106_3
.LBB106_19:                             ;   in Loop: Header=BB106_4 Depth=1
	v_subrev_f32_e32 v23, s22, v26
	s_delay_alu instid0(VALU_DEP_1) | instskip(SKIP_1) | instid1(VALU_DEP_2)
	v_bfe_u32 v24, v23, 16, 1
	v_cmp_o_f32_e32 vcc_lo, v23, v23
	v_add3_u32 v24, v23, v24, 0x7fff
	s_delay_alu instid0(VALU_DEP_1) | instskip(SKIP_1) | instid1(VALU_DEP_1)
	v_lshrrev_b32_e32 v24, 16, v24
	s_wait_alu 0xfffd
	v_cndmask_b32_e32 v25, 0x7fc0, v24, vcc_lo
	v_add_co_u32 v23, vcc_lo, v7, s10
	s_wait_alu 0xfffd
	v_add_co_ci_u32_e64 v24, null, s11, v8, vcc_lo
	global_store_b16 v[23:24], v25, off
	s_branch .LBB106_3
.LBB106_20:
	s_mov_b32 s2, 0
.LBB106_21:
	s_wait_alu 0xfffe
	s_and_not1_b32 vcc_lo, exec_lo, s2
	s_wait_alu 0xfffe
	s_cbranch_vccnz .LBB106_25
; %bb.22:
	v_cmp_gt_i64_e64 s2, 0x10000, s[12:13]
	v_dual_mov_b32 v2, 0 :: v_dual_lshlrev_b32 v1, 2, v0
	s_mov_b32 s4, 0
	s_mov_b32 s5, exec_lo
	s_and_b32 s2, s2, exec_lo
	s_cselect_b32 s3, s13, 0
	s_cselect_b32 s2, s12, 0x10000
	s_wait_alu 0xfffe
	v_cmpx_gt_i64_e64 s[2:3], v[1:2]
	s_cbranch_execz .LBB106_25
; %bb.23:
	s_load_b32 s0, s[0:1], 0xc5c
	v_lshlrev_b32_e32 v3, 3, v0
	v_mov_b32_e32 v1, v2
	s_delay_alu instid0(VALU_DEP_2) | instskip(NEXT) | instid1(VALU_DEP_1)
	v_add_co_u32 v2, s1, s10, v3
	v_add_co_ci_u32_e64 v3, null, s11, 0, s1
	s_wait_kmcnt 0x0
	s_and_b32 s5, s0, 0xffff
	s_wait_alu 0xfffe
	s_lshl_b32 s10, s5, 3
.LBB106_24:                             ; =>This Inner Loop Header: Depth=1
	v_add_co_u32 v4, vcc_lo, s6, v2
	s_wait_alu 0xfffd
	v_add_co_ci_u32_e64 v5, null, s7, v3, vcc_lo
	v_add_co_u32 v0, vcc_lo, v0, s5
	s_wait_alu 0xfffd
	v_add_co_ci_u32_e64 v1, null, 0, v1, vcc_lo
	global_load_b64 v[4:5], v[4:5], off
	v_add_co_u32 v6, vcc_lo, s8, v2
	s_wait_alu 0xfffd
	v_add_co_ci_u32_e64 v7, null, s9, v3, vcc_lo
	v_lshlrev_b64_e32 v[8:9], 2, v[0:1]
	s_wait_loadcnt 0x0
	v_and_b32_e32 v11, 0xffff0000, v4
	v_lshlrev_b32_e32 v10, 16, v4
	v_alignbit_b32 v4, v5, v4, 16
	s_delay_alu instid0(VALU_DEP_2) | instskip(NEXT) | instid1(VALU_DEP_2)
	v_dual_subrev_f32 v11, s22, v11 :: v_dual_subrev_f32 v10, s22, v10
	v_and_b32_e32 v4, 0xffff0000, v4
	v_and_b32_e32 v5, 0xffff0000, v5
	s_delay_alu instid0(VALU_DEP_3) | instskip(NEXT) | instid1(VALU_DEP_4)
	v_bfe_u32 v13, v11, 16, 1
	v_bfe_u32 v12, v10, 16, 1
	s_delay_alu instid0(VALU_DEP_3) | instskip(SKIP_1) | instid1(VALU_DEP_4)
	v_dual_subrev_f32 v4, s22, v4 :: v_dual_subrev_f32 v5, s22, v5
	v_cmp_o_f32_e64 s0, v11, v11
	v_add3_u32 v13, v11, v13, 0x7fff
	s_delay_alu instid0(VALU_DEP_4) | instskip(NEXT) | instid1(VALU_DEP_4)
	v_add3_u32 v12, v10, v12, 0x7fff
	v_bfe_u32 v15, v4, 16, 1
	v_bfe_u32 v14, v5, 16, 1
	v_cmp_o_f32_e32 vcc_lo, v5, v5
	v_and_b32_e32 v13, 0xffff0000, v13
	v_lshrrev_b32_e32 v12, 16, v12
	v_add3_u32 v15, v4, v15, 0x7fff
	v_add3_u32 v14, v5, v14, 0x7fff
	v_cmp_o_f32_e64 s1, v10, v10
	s_wait_alu 0xf1ff
	v_cndmask_b32_e64 v10, 0x7fc00000, v13, s0
	v_cmp_le_i64_e64 s0, s[2:3], v[8:9]
	v_lshrrev_b32_e32 v5, 16, v15
	v_and_b32_e32 v14, 0xffff0000, v14
	v_cndmask_b32_e64 v11, 0x7fc0, v12, s1
	s_or_b32 s4, s0, s4
	s_wait_alu 0xfffd
	s_delay_alu instid0(VALU_DEP_2)
	v_cndmask_b32_e32 v12, 0x7fc00000, v14, vcc_lo
	v_cmp_o_f32_e32 vcc_lo, v4, v4
	v_or_b32_e32 v10, v11, v10
	s_wait_alu 0xfffd
	v_cndmask_b32_e32 v4, 0x7fc0, v5, vcc_lo
	s_wait_alu 0xfffe
	v_add_co_u32 v2, vcc_lo, v2, s10
	s_wait_alu 0xfffd
	v_add_co_ci_u32_e64 v3, null, 0, v3, vcc_lo
	v_or3_b32 v5, 0, v4, v12
	v_or3_b32 v4, v10, 0, 0
	global_store_b64 v[6:7], v[4:5], off
	s_and_not1_b32 exec_lo, exec_lo, s4
	s_cbranch_execnz .LBB106_24
.LBB106_25:
	s_endpgm
	.section	.rodata,"a",@progbits
	.p2align	6, 0x0
	.amdhsa_kernel _ZN2at6native12_GLOBAL__N_125multi_tensor_apply_kernelINS1_18TensorListMetadataILi2EEENS1_21BinaryOpScalarFunctorIN3c108BFloat16ELi2ELi1ELi1EEEJSt5minusIfEfEEEvT_T0_DpT1_
		.amdhsa_group_segment_fixed_size 0
		.amdhsa_private_segment_fixed_size 0
		.amdhsa_kernarg_size 3408
		.amdhsa_user_sgpr_count 2
		.amdhsa_user_sgpr_dispatch_ptr 0
		.amdhsa_user_sgpr_queue_ptr 0
		.amdhsa_user_sgpr_kernarg_segment_ptr 1
		.amdhsa_user_sgpr_dispatch_id 0
		.amdhsa_user_sgpr_private_segment_size 0
		.amdhsa_wavefront_size32 1
		.amdhsa_uses_dynamic_stack 0
		.amdhsa_enable_private_segment 0
		.amdhsa_system_sgpr_workgroup_id_x 1
		.amdhsa_system_sgpr_workgroup_id_y 0
		.amdhsa_system_sgpr_workgroup_id_z 0
		.amdhsa_system_sgpr_workgroup_info 0
		.amdhsa_system_vgpr_workitem_id 0
		.amdhsa_next_free_vgpr 30
		.amdhsa_next_free_sgpr 25
		.amdhsa_reserve_vcc 1
		.amdhsa_float_round_mode_32 0
		.amdhsa_float_round_mode_16_64 0
		.amdhsa_float_denorm_mode_32 3
		.amdhsa_float_denorm_mode_16_64 3
		.amdhsa_fp16_overflow 0
		.amdhsa_workgroup_processor_mode 1
		.amdhsa_memory_ordered 1
		.amdhsa_forward_progress 1
		.amdhsa_inst_pref_size 17
		.amdhsa_round_robin_scheduling 0
		.amdhsa_exception_fp_ieee_invalid_op 0
		.amdhsa_exception_fp_denorm_src 0
		.amdhsa_exception_fp_ieee_div_zero 0
		.amdhsa_exception_fp_ieee_overflow 0
		.amdhsa_exception_fp_ieee_underflow 0
		.amdhsa_exception_fp_ieee_inexact 0
		.amdhsa_exception_int_div_zero 0
	.end_amdhsa_kernel
	.section	.text._ZN2at6native12_GLOBAL__N_125multi_tensor_apply_kernelINS1_18TensorListMetadataILi2EEENS1_21BinaryOpScalarFunctorIN3c108BFloat16ELi2ELi1ELi1EEEJSt5minusIfEfEEEvT_T0_DpT1_,"axG",@progbits,_ZN2at6native12_GLOBAL__N_125multi_tensor_apply_kernelINS1_18TensorListMetadataILi2EEENS1_21BinaryOpScalarFunctorIN3c108BFloat16ELi2ELi1ELi1EEEJSt5minusIfEfEEEvT_T0_DpT1_,comdat
.Lfunc_end106:
	.size	_ZN2at6native12_GLOBAL__N_125multi_tensor_apply_kernelINS1_18TensorListMetadataILi2EEENS1_21BinaryOpScalarFunctorIN3c108BFloat16ELi2ELi1ELi1EEEJSt5minusIfEfEEEvT_T0_DpT1_, .Lfunc_end106-_ZN2at6native12_GLOBAL__N_125multi_tensor_apply_kernelINS1_18TensorListMetadataILi2EEENS1_21BinaryOpScalarFunctorIN3c108BFloat16ELi2ELi1ELi1EEEJSt5minusIfEfEEEvT_T0_DpT1_
                                        ; -- End function
	.set _ZN2at6native12_GLOBAL__N_125multi_tensor_apply_kernelINS1_18TensorListMetadataILi2EEENS1_21BinaryOpScalarFunctorIN3c108BFloat16ELi2ELi1ELi1EEEJSt5minusIfEfEEEvT_T0_DpT1_.num_vgpr, 30
	.set _ZN2at6native12_GLOBAL__N_125multi_tensor_apply_kernelINS1_18TensorListMetadataILi2EEENS1_21BinaryOpScalarFunctorIN3c108BFloat16ELi2ELi1ELi1EEEJSt5minusIfEfEEEvT_T0_DpT1_.num_agpr, 0
	.set _ZN2at6native12_GLOBAL__N_125multi_tensor_apply_kernelINS1_18TensorListMetadataILi2EEENS1_21BinaryOpScalarFunctorIN3c108BFloat16ELi2ELi1ELi1EEEJSt5minusIfEfEEEvT_T0_DpT1_.numbered_sgpr, 25
	.set _ZN2at6native12_GLOBAL__N_125multi_tensor_apply_kernelINS1_18TensorListMetadataILi2EEENS1_21BinaryOpScalarFunctorIN3c108BFloat16ELi2ELi1ELi1EEEJSt5minusIfEfEEEvT_T0_DpT1_.num_named_barrier, 0
	.set _ZN2at6native12_GLOBAL__N_125multi_tensor_apply_kernelINS1_18TensorListMetadataILi2EEENS1_21BinaryOpScalarFunctorIN3c108BFloat16ELi2ELi1ELi1EEEJSt5minusIfEfEEEvT_T0_DpT1_.private_seg_size, 0
	.set _ZN2at6native12_GLOBAL__N_125multi_tensor_apply_kernelINS1_18TensorListMetadataILi2EEENS1_21BinaryOpScalarFunctorIN3c108BFloat16ELi2ELi1ELi1EEEJSt5minusIfEfEEEvT_T0_DpT1_.uses_vcc, 1
	.set _ZN2at6native12_GLOBAL__N_125multi_tensor_apply_kernelINS1_18TensorListMetadataILi2EEENS1_21BinaryOpScalarFunctorIN3c108BFloat16ELi2ELi1ELi1EEEJSt5minusIfEfEEEvT_T0_DpT1_.uses_flat_scratch, 0
	.set _ZN2at6native12_GLOBAL__N_125multi_tensor_apply_kernelINS1_18TensorListMetadataILi2EEENS1_21BinaryOpScalarFunctorIN3c108BFloat16ELi2ELi1ELi1EEEJSt5minusIfEfEEEvT_T0_DpT1_.has_dyn_sized_stack, 0
	.set _ZN2at6native12_GLOBAL__N_125multi_tensor_apply_kernelINS1_18TensorListMetadataILi2EEENS1_21BinaryOpScalarFunctorIN3c108BFloat16ELi2ELi1ELi1EEEJSt5minusIfEfEEEvT_T0_DpT1_.has_recursion, 0
	.set _ZN2at6native12_GLOBAL__N_125multi_tensor_apply_kernelINS1_18TensorListMetadataILi2EEENS1_21BinaryOpScalarFunctorIN3c108BFloat16ELi2ELi1ELi1EEEJSt5minusIfEfEEEvT_T0_DpT1_.has_indirect_call, 0
	.section	.AMDGPU.csdata,"",@progbits
; Kernel info:
; codeLenInByte = 2092
; TotalNumSgprs: 27
; NumVgprs: 30
; ScratchSize: 0
; MemoryBound: 0
; FloatMode: 240
; IeeeMode: 1
; LDSByteSize: 0 bytes/workgroup (compile time only)
; SGPRBlocks: 0
; VGPRBlocks: 3
; NumSGPRsForWavesPerEU: 27
; NumVGPRsForWavesPerEU: 30
; Occupancy: 16
; WaveLimiterHint : 0
; COMPUTE_PGM_RSRC2:SCRATCH_EN: 0
; COMPUTE_PGM_RSRC2:USER_SGPR: 2
; COMPUTE_PGM_RSRC2:TRAP_HANDLER: 0
; COMPUTE_PGM_RSRC2:TGID_X_EN: 1
; COMPUTE_PGM_RSRC2:TGID_Y_EN: 0
; COMPUTE_PGM_RSRC2:TGID_Z_EN: 0
; COMPUTE_PGM_RSRC2:TIDIG_COMP_CNT: 0
	.section	.text._ZN2at6native12_GLOBAL__N_125multi_tensor_apply_kernelINS1_18TensorListMetadataILi1EEENS1_21BinaryOpScalarFunctorIhLi1ELi1ELi0EEEJNS0_7minimumIhEEhEEEvT_T0_DpT1_,"axG",@progbits,_ZN2at6native12_GLOBAL__N_125multi_tensor_apply_kernelINS1_18TensorListMetadataILi1EEENS1_21BinaryOpScalarFunctorIhLi1ELi1ELi0EEEJNS0_7minimumIhEEhEEEvT_T0_DpT1_,comdat
	.globl	_ZN2at6native12_GLOBAL__N_125multi_tensor_apply_kernelINS1_18TensorListMetadataILi1EEENS1_21BinaryOpScalarFunctorIhLi1ELi1ELi0EEEJNS0_7minimumIhEEhEEEvT_T0_DpT1_ ; -- Begin function _ZN2at6native12_GLOBAL__N_125multi_tensor_apply_kernelINS1_18TensorListMetadataILi1EEENS1_21BinaryOpScalarFunctorIhLi1ELi1ELi0EEEJNS0_7minimumIhEEhEEEvT_T0_DpT1_
	.p2align	8
	.type	_ZN2at6native12_GLOBAL__N_125multi_tensor_apply_kernelINS1_18TensorListMetadataILi1EEENS1_21BinaryOpScalarFunctorIhLi1ELi1ELi0EEEJNS0_7minimumIhEEhEEEvT_T0_DpT1_,@function
_ZN2at6native12_GLOBAL__N_125multi_tensor_apply_kernelINS1_18TensorListMetadataILi1EEENS1_21BinaryOpScalarFunctorIhLi1ELi1ELi0EEEJNS0_7minimumIhEEhEEEvT_T0_DpT1_: ; @_ZN2at6native12_GLOBAL__N_125multi_tensor_apply_kernelINS1_18TensorListMetadataILi1EEENS1_21BinaryOpScalarFunctorIhLi1ELi1ELi0EEEJNS0_7minimumIhEEhEEEvT_T0_DpT1_
; %bb.0:
	s_load_u8 s6, s[0:1], ttmp9 offset:0x6e0
	s_mov_b32 s2, ttmp9
	s_mov_b32 s3, 0
	s_delay_alu instid0(SALU_CYCLE_1) | instskip(SKIP_1) | instid1(SALU_CYCLE_1)
	s_mul_u64 s[4:5], s[2:3], 3
	s_add_nc_u64 s[2:3], s[0:1], s[2:3]
	s_add_nc_u64 s[2:3], s[2:3], s[4:5]
	s_load_b32 s2, s[2:3], 0x820
	s_wait_kmcnt 0x0
	s_lshl_b32 s3, s6, 3
	s_clause 0x2
	s_load_b32 s8, s[0:1], 0xd28
	s_load_b64 s[4:5], s[0:1], s3 offset:0x370
	s_load_b64 s[6:7], s[0:1], s3 offset:0x0
	s_ashr_i32 s3, s2, 31
	s_wait_kmcnt 0x0
	s_lshr_b32 s20, s8, 16
	s_or_b32 s8, s4, s6
	s_delay_alu instid0(SALU_CYCLE_1)
	s_and_b32 s10, s8, 3
	s_lshl_b64 s[8:9], s[2:3], 16
	s_cmp_eq_u32 s10, 0
	s_sub_nc_u64 s[10:11], s[4:5], s[8:9]
	s_cbranch_scc1 .LBB107_21
; %bb.1:
	v_cmp_lt_i64_e64 s2, s[10:11], 1
	s_and_b32 vcc_lo, exec_lo, s2
	s_cbranch_vccnz .LBB107_20
; %bb.2:
	s_load_b32 s2, s[0:1], 0xd3c
	v_cmp_gt_i64_e64 s4, 0x10000, s[10:11]
	s_mov_b32 s3, 0
	v_cmp_gt_u64_e64 s14, 0x10000, s[10:11]
	s_mov_b32 s19, s3
	v_add_co_u32 v11, s5, s8, v0
	s_and_b32 s4, s4, exec_lo
	s_cselect_b32 s13, s11, 0
	s_cselect_b32 s12, s10, 0x10000
	v_add_co_ci_u32_e64 v12, null, s9, 0, s5
	s_mov_b32 s5, s3
	v_add_co_u32 v1, vcc_lo, s6, v11
	s_delay_alu instid0(VALU_DEP_1)
	v_add_co_ci_u32_e64 v2, null, s7, v12, vcc_lo
	s_wait_kmcnt 0x0
	s_and_b32 s2, s2, 0xffff
	s_and_b32 s4, s14, exec_lo
	s_mul_i32 s18, s2, 3
	s_cselect_b32 s15, s11, 0
	s_add_nc_u64 s[22:23], s[8:9], s[18:19]
	s_cselect_b32 s14, s10, 0x10000
	s_add_nc_u64 s[22:23], s[6:7], s[22:23]
	s_lshl_b32 s4, s2, 1
	v_add_co_u32 v3, s17, s22, v0
	s_delay_alu instid0(VALU_DEP_1)
	v_add_co_ci_u32_e64 v4, null, s23, 0, s17
	s_wait_alu 0xfffe
	s_add_nc_u64 s[22:23], s[8:9], s[4:5]
	v_add_co_u32 v5, s5, s18, v0
	s_wait_alu 0xfffe
	s_add_nc_u64 s[18:19], s[6:7], s[22:23]
	v_add_co_ci_u32_e64 v6, null, 0, 0, s5
	s_wait_alu 0xfffe
	v_add_co_u32 v7, s5, s18, v0
	v_add_co_u32 v9, s4, s4, v0
	s_wait_alu 0xf1ff
	v_add_co_ci_u32_e64 v8, null, s19, 0, s5
	v_add_co_ci_u32_e64 v10, null, 0, 0, s4
	s_add_nc_u64 s[4:5], s[6:7], s[2:3]
	s_lshl_b32 s16, s2, 2
	s_wait_alu 0xfffe
	v_add_co_u32 v11, vcc_lo, s4, v11
	v_add_co_u32 v13, s2, v0, s2
	s_wait_alu 0xfffd
	v_add_co_ci_u32_e64 v12, null, s5, v12, vcc_lo
	s_wait_alu 0xf1ff
	v_add_co_ci_u32_e64 v14, null, 0, 0, s2
	s_mov_b32 s17, s3
	s_mov_b64 s[18:19], 0
	s_and_b32 s21, s20, 0xff
	s_branch .LBB107_4
.LBB107_3:                              ;   in Loop: Header=BB107_4 Depth=1
	s_wait_alu 0xfffe
	s_or_b32 exec_lo, exec_lo, s2
	s_add_nc_u64 s[18:19], s[18:19], s[16:17]
	s_wait_alu 0xfffe
	v_cmp_lt_i64_e64 s2, s[18:19], s[12:13]
	s_and_b32 vcc_lo, exec_lo, s2
	s_wait_alu 0xfffe
	s_cbranch_vccz .LBB107_20
.LBB107_4:                              ; =>This Inner Loop Header: Depth=1
	s_wait_alu 0xfffe
	v_add_co_u32 v15, s2, v0, s18
	s_wait_alu 0xf1ff
	v_add_co_ci_u32_e64 v16, null, 0, s19, s2
	s_delay_alu instid0(VALU_DEP_1)
	v_cmp_gt_u64_e32 vcc_lo, s[14:15], v[15:16]
	v_mov_b32_e32 v16, 0
	s_and_saveexec_b32 s3, vcc_lo
	s_cbranch_execz .LBB107_6
; %bb.5:                                ;   in Loop: Header=BB107_4 Depth=1
	v_add_co_u32 v15, s2, v1, s18
	s_wait_alu 0xf1ff
	v_add_co_ci_u32_e64 v16, null, s19, v2, s2
	global_load_u8 v15, v[15:16], off
	s_wait_loadcnt 0x0
	v_min_u16 v16, v15, s21
.LBB107_6:                              ;   in Loop: Header=BB107_4 Depth=1
	s_wait_alu 0xfffe
	s_or_b32 exec_lo, exec_lo, s3
	v_add_co_u32 v17, s2, v13, s18
	s_wait_alu 0xf1ff
	v_add_co_ci_u32_e64 v18, null, s19, v14, s2
	v_mov_b32_e32 v15, 0
	s_delay_alu instid0(VALU_DEP_2)
	v_cmp_gt_u64_e64 s2, s[14:15], v[17:18]
	v_mov_b32_e32 v17, 0
	s_and_saveexec_b32 s4, s2
	s_cbranch_execz .LBB107_8
; %bb.7:                                ;   in Loop: Header=BB107_4 Depth=1
	v_add_co_u32 v17, s3, v11, s18
	s_wait_alu 0xf1ff
	v_add_co_ci_u32_e64 v18, null, s19, v12, s3
	global_load_u8 v17, v[17:18], off
	s_wait_loadcnt 0x0
	v_min_u16 v17, v17, s21
.LBB107_8:                              ;   in Loop: Header=BB107_4 Depth=1
	s_wait_alu 0xfffe
	s_or_b32 exec_lo, exec_lo, s4
	v_add_co_u32 v18, s3, v9, s18
	s_wait_alu 0xf1ff
	v_add_co_ci_u32_e64 v19, null, s19, v10, s3
	s_delay_alu instid0(VALU_DEP_1)
	v_cmp_gt_u64_e64 s3, s[14:15], v[18:19]
	s_and_saveexec_b32 s5, s3
	s_cbranch_execz .LBB107_10
; %bb.9:                                ;   in Loop: Header=BB107_4 Depth=1
	v_add_co_u32 v18, s4, v7, s18
	s_wait_alu 0xf1ff
	v_add_co_ci_u32_e64 v19, null, s19, v8, s4
	global_load_u8 v15, v[18:19], off
	s_wait_loadcnt 0x0
	v_min_u16 v15, v15, s21
.LBB107_10:                             ;   in Loop: Header=BB107_4 Depth=1
	s_wait_alu 0xfffe
	s_or_b32 exec_lo, exec_lo, s5
	v_add_co_u32 v18, s4, v5, s18
	s_wait_alu 0xf1ff
	v_add_co_ci_u32_e64 v19, null, s19, v6, s4
	s_delay_alu instid0(VALU_DEP_1)
	v_cmp_gt_u64_e64 s4, s[14:15], v[18:19]
	v_mov_b32_e32 v18, 0
	s_and_saveexec_b32 s22, s4
	s_cbranch_execnz .LBB107_15
; %bb.11:                               ;   in Loop: Header=BB107_4 Depth=1
	s_wait_alu 0xfffe
	s_or_b32 exec_lo, exec_lo, s22
	s_and_saveexec_b32 s5, vcc_lo
	s_cbranch_execnz .LBB107_16
.LBB107_12:                             ;   in Loop: Header=BB107_4 Depth=1
	s_wait_alu 0xfffe
	s_or_b32 exec_lo, exec_lo, s5
	s_and_saveexec_b32 s5, s2
	s_cbranch_execnz .LBB107_17
.LBB107_13:                             ;   in Loop: Header=BB107_4 Depth=1
	s_wait_alu 0xfffe
	s_or_b32 exec_lo, exec_lo, s5
	s_and_saveexec_b32 s2, s3
	s_cbranch_execnz .LBB107_18
.LBB107_14:                             ;   in Loop: Header=BB107_4 Depth=1
	s_wait_alu 0xfffe
	s_or_b32 exec_lo, exec_lo, s2
	s_and_saveexec_b32 s2, s4
	s_cbranch_execz .LBB107_3
	s_branch .LBB107_19
.LBB107_15:                             ;   in Loop: Header=BB107_4 Depth=1
	v_add_co_u32 v18, s5, v3, s18
	s_wait_alu 0xf1ff
	v_add_co_ci_u32_e64 v19, null, s19, v4, s5
	global_load_u8 v18, v[18:19], off
	s_wait_loadcnt 0x0
	v_min_u16 v18, v18, s21
	s_wait_alu 0xfffe
	s_or_b32 exec_lo, exec_lo, s22
	s_and_saveexec_b32 s5, vcc_lo
	s_cbranch_execz .LBB107_12
.LBB107_16:                             ;   in Loop: Header=BB107_4 Depth=1
	v_add_co_u32 v19, vcc_lo, v1, s18
	s_wait_alu 0xfffd
	v_add_co_ci_u32_e64 v20, null, s19, v2, vcc_lo
	global_store_b8 v[19:20], v16, off
	s_wait_alu 0xfffe
	s_or_b32 exec_lo, exec_lo, s5
	s_and_saveexec_b32 s5, s2
	s_cbranch_execz .LBB107_13
.LBB107_17:                             ;   in Loop: Header=BB107_4 Depth=1
	v_add_co_u32 v19, vcc_lo, v11, s18
	s_wait_alu 0xfffd
	v_add_co_ci_u32_e64 v20, null, s19, v12, vcc_lo
	global_store_b8 v[19:20], v17, off
	s_wait_alu 0xfffe
	s_or_b32 exec_lo, exec_lo, s5
	s_and_saveexec_b32 s2, s3
	s_cbranch_execz .LBB107_14
.LBB107_18:                             ;   in Loop: Header=BB107_4 Depth=1
	v_add_co_u32 v16, vcc_lo, v7, s18
	s_wait_alu 0xfffd
	v_add_co_ci_u32_e64 v17, null, s19, v8, vcc_lo
	global_store_b8 v[16:17], v15, off
	s_wait_alu 0xfffe
	s_or_b32 exec_lo, exec_lo, s2
	s_and_saveexec_b32 s2, s4
	s_cbranch_execz .LBB107_3
.LBB107_19:                             ;   in Loop: Header=BB107_4 Depth=1
	v_add_co_u32 v15, vcc_lo, v3, s18
	s_wait_alu 0xfffd
	v_add_co_ci_u32_e64 v16, null, s19, v4, vcc_lo
	global_store_b8 v[15:16], v18, off
	s_branch .LBB107_3
.LBB107_20:
	s_cbranch_execz .LBB107_22
	s_branch .LBB107_25
.LBB107_21:
.LBB107_22:
	v_cmp_gt_i64_e64 s2, 0x10000, s[10:11]
	v_dual_mov_b32 v3, 0 :: v_dual_lshlrev_b32 v2, 2, v0
	s_mov_b32 s4, 0
	s_mov_b32 s5, exec_lo
	s_and_b32 s2, s2, exec_lo
	s_cselect_b32 s3, s11, 0
	s_cselect_b32 s2, s10, 0x10000
	s_wait_alu 0xfffe
	v_cmpx_gt_i64_e64 s[2:3], v[2:3]
	s_cbranch_execz .LBB107_25
; %bb.23:
	s_load_b32 s5, s[0:1], 0xd3c
	s_add_nc_u64 s[0:1], s[6:7], s[8:9]
	v_mov_b32_e32 v1, v3
	v_add_co_u32 v2, s0, s0, v2
	s_wait_alu 0xf1ff
	v_add_co_ci_u32_e64 v3, null, s1, 0, s0
	s_and_b32 s6, s20, 0xff
	s_wait_kmcnt 0x0
	s_and_b32 s1, s5, 0xffff
	s_wait_alu 0xfffe
	s_lshl_b32 s5, s1, 2
.LBB107_24:                             ; =>This Inner Loop Header: Depth=1
	global_load_b32 v4, v[2:3], off
	v_add_co_u32 v0, vcc_lo, v0, s1
	s_wait_alu 0xfffd
	v_add_co_ci_u32_e64 v1, null, 0, v1, vcc_lo
	s_wait_loadcnt 0x0
	v_lshrrev_b32_e32 v5, 8, v4
	v_lshrrev_b32_e32 v6, 16, v4
	;; [unrolled: 1-line block ×3, first 2 shown]
	v_and_b32_e32 v4, 0xff, v4
	s_delay_alu instid0(VALU_DEP_4) | instskip(NEXT) | instid1(VALU_DEP_4)
	v_and_b32_e32 v5, 0xff, v5
	v_and_b32_e32 v6, 0xff, v6
	s_delay_alu instid0(VALU_DEP_4) | instskip(NEXT) | instid1(VALU_DEP_4)
	v_min_u16 v7, v7, s6
	v_min_u16 v4, v4, s6
	s_delay_alu instid0(VALU_DEP_4) | instskip(NEXT) | instid1(VALU_DEP_4)
	v_min_u16 v5, v5, s6
	v_min_u16 v6, v6, s6
	s_delay_alu instid0(VALU_DEP_4) | instskip(NEXT) | instid1(VALU_DEP_3)
	v_lshlrev_b16 v7, 8, v7
	v_lshlrev_b16 v5, 8, v5
	s_delay_alu instid0(VALU_DEP_2) | instskip(NEXT) | instid1(VALU_DEP_2)
	v_or_b32_e32 v6, v6, v7
	v_or_b32_e32 v4, v4, v5
	s_delay_alu instid0(VALU_DEP_2) | instskip(NEXT) | instid1(VALU_DEP_2)
	v_lshlrev_b32_e32 v6, 16, v6
	v_and_b32_e32 v7, 0xffff, v4
	v_lshlrev_b64_e32 v[4:5], 2, v[0:1]
	s_delay_alu instid0(VALU_DEP_2) | instskip(NEXT) | instid1(VALU_DEP_2)
	v_or_b32_e32 v6, v7, v6
	v_cmp_le_i64_e32 vcc_lo, s[2:3], v[4:5]
	global_store_b32 v[2:3], v6, off
	s_wait_alu 0xfffe
	v_add_co_u32 v2, s0, v2, s5
	s_wait_alu 0xf1ff
	v_add_co_ci_u32_e64 v3, null, 0, v3, s0
	s_or_b32 s4, vcc_lo, s4
	s_wait_alu 0xfffe
	s_and_not1_b32 exec_lo, exec_lo, s4
	s_cbranch_execnz .LBB107_24
.LBB107_25:
	s_endpgm
	.section	.rodata,"a",@progbits
	.p2align	6, 0x0
	.amdhsa_kernel _ZN2at6native12_GLOBAL__N_125multi_tensor_apply_kernelINS1_18TensorListMetadataILi1EEENS1_21BinaryOpScalarFunctorIhLi1ELi1ELi0EEEJNS0_7minimumIhEEhEEEvT_T0_DpT1_
		.amdhsa_group_segment_fixed_size 0
		.amdhsa_private_segment_fixed_size 0
		.amdhsa_kernarg_size 3632
		.amdhsa_user_sgpr_count 2
		.amdhsa_user_sgpr_dispatch_ptr 0
		.amdhsa_user_sgpr_queue_ptr 0
		.amdhsa_user_sgpr_kernarg_segment_ptr 1
		.amdhsa_user_sgpr_dispatch_id 0
		.amdhsa_user_sgpr_private_segment_size 0
		.amdhsa_wavefront_size32 1
		.amdhsa_uses_dynamic_stack 0
		.amdhsa_enable_private_segment 0
		.amdhsa_system_sgpr_workgroup_id_x 1
		.amdhsa_system_sgpr_workgroup_id_y 0
		.amdhsa_system_sgpr_workgroup_id_z 0
		.amdhsa_system_sgpr_workgroup_info 0
		.amdhsa_system_vgpr_workitem_id 0
		.amdhsa_next_free_vgpr 21
		.amdhsa_next_free_sgpr 24
		.amdhsa_reserve_vcc 1
		.amdhsa_float_round_mode_32 0
		.amdhsa_float_round_mode_16_64 0
		.amdhsa_float_denorm_mode_32 3
		.amdhsa_float_denorm_mode_16_64 3
		.amdhsa_fp16_overflow 0
		.amdhsa_workgroup_processor_mode 1
		.amdhsa_memory_ordered 1
		.amdhsa_forward_progress 1
		.amdhsa_inst_pref_size 12
		.amdhsa_round_robin_scheduling 0
		.amdhsa_exception_fp_ieee_invalid_op 0
		.amdhsa_exception_fp_denorm_src 0
		.amdhsa_exception_fp_ieee_div_zero 0
		.amdhsa_exception_fp_ieee_overflow 0
		.amdhsa_exception_fp_ieee_underflow 0
		.amdhsa_exception_fp_ieee_inexact 0
		.amdhsa_exception_int_div_zero 0
	.end_amdhsa_kernel
	.section	.text._ZN2at6native12_GLOBAL__N_125multi_tensor_apply_kernelINS1_18TensorListMetadataILi1EEENS1_21BinaryOpScalarFunctorIhLi1ELi1ELi0EEEJNS0_7minimumIhEEhEEEvT_T0_DpT1_,"axG",@progbits,_ZN2at6native12_GLOBAL__N_125multi_tensor_apply_kernelINS1_18TensorListMetadataILi1EEENS1_21BinaryOpScalarFunctorIhLi1ELi1ELi0EEEJNS0_7minimumIhEEhEEEvT_T0_DpT1_,comdat
.Lfunc_end107:
	.size	_ZN2at6native12_GLOBAL__N_125multi_tensor_apply_kernelINS1_18TensorListMetadataILi1EEENS1_21BinaryOpScalarFunctorIhLi1ELi1ELi0EEEJNS0_7minimumIhEEhEEEvT_T0_DpT1_, .Lfunc_end107-_ZN2at6native12_GLOBAL__N_125multi_tensor_apply_kernelINS1_18TensorListMetadataILi1EEENS1_21BinaryOpScalarFunctorIhLi1ELi1ELi0EEEJNS0_7minimumIhEEhEEEvT_T0_DpT1_
                                        ; -- End function
	.set _ZN2at6native12_GLOBAL__N_125multi_tensor_apply_kernelINS1_18TensorListMetadataILi1EEENS1_21BinaryOpScalarFunctorIhLi1ELi1ELi0EEEJNS0_7minimumIhEEhEEEvT_T0_DpT1_.num_vgpr, 21
	.set _ZN2at6native12_GLOBAL__N_125multi_tensor_apply_kernelINS1_18TensorListMetadataILi1EEENS1_21BinaryOpScalarFunctorIhLi1ELi1ELi0EEEJNS0_7minimumIhEEhEEEvT_T0_DpT1_.num_agpr, 0
	.set _ZN2at6native12_GLOBAL__N_125multi_tensor_apply_kernelINS1_18TensorListMetadataILi1EEENS1_21BinaryOpScalarFunctorIhLi1ELi1ELi0EEEJNS0_7minimumIhEEhEEEvT_T0_DpT1_.numbered_sgpr, 24
	.set _ZN2at6native12_GLOBAL__N_125multi_tensor_apply_kernelINS1_18TensorListMetadataILi1EEENS1_21BinaryOpScalarFunctorIhLi1ELi1ELi0EEEJNS0_7minimumIhEEhEEEvT_T0_DpT1_.num_named_barrier, 0
	.set _ZN2at6native12_GLOBAL__N_125multi_tensor_apply_kernelINS1_18TensorListMetadataILi1EEENS1_21BinaryOpScalarFunctorIhLi1ELi1ELi0EEEJNS0_7minimumIhEEhEEEvT_T0_DpT1_.private_seg_size, 0
	.set _ZN2at6native12_GLOBAL__N_125multi_tensor_apply_kernelINS1_18TensorListMetadataILi1EEENS1_21BinaryOpScalarFunctorIhLi1ELi1ELi0EEEJNS0_7minimumIhEEhEEEvT_T0_DpT1_.uses_vcc, 1
	.set _ZN2at6native12_GLOBAL__N_125multi_tensor_apply_kernelINS1_18TensorListMetadataILi1EEENS1_21BinaryOpScalarFunctorIhLi1ELi1ELi0EEEJNS0_7minimumIhEEhEEEvT_T0_DpT1_.uses_flat_scratch, 0
	.set _ZN2at6native12_GLOBAL__N_125multi_tensor_apply_kernelINS1_18TensorListMetadataILi1EEENS1_21BinaryOpScalarFunctorIhLi1ELi1ELi0EEEJNS0_7minimumIhEEhEEEvT_T0_DpT1_.has_dyn_sized_stack, 0
	.set _ZN2at6native12_GLOBAL__N_125multi_tensor_apply_kernelINS1_18TensorListMetadataILi1EEENS1_21BinaryOpScalarFunctorIhLi1ELi1ELi0EEEJNS0_7minimumIhEEhEEEvT_T0_DpT1_.has_recursion, 0
	.set _ZN2at6native12_GLOBAL__N_125multi_tensor_apply_kernelINS1_18TensorListMetadataILi1EEENS1_21BinaryOpScalarFunctorIhLi1ELi1ELi0EEEJNS0_7minimumIhEEhEEEvT_T0_DpT1_.has_indirect_call, 0
	.section	.AMDGPU.csdata,"",@progbits
; Kernel info:
; codeLenInByte = 1480
; TotalNumSgprs: 26
; NumVgprs: 21
; ScratchSize: 0
; MemoryBound: 0
; FloatMode: 240
; IeeeMode: 1
; LDSByteSize: 0 bytes/workgroup (compile time only)
; SGPRBlocks: 0
; VGPRBlocks: 2
; NumSGPRsForWavesPerEU: 26
; NumVGPRsForWavesPerEU: 21
; Occupancy: 16
; WaveLimiterHint : 0
; COMPUTE_PGM_RSRC2:SCRATCH_EN: 0
; COMPUTE_PGM_RSRC2:USER_SGPR: 2
; COMPUTE_PGM_RSRC2:TRAP_HANDLER: 0
; COMPUTE_PGM_RSRC2:TGID_X_EN: 1
; COMPUTE_PGM_RSRC2:TGID_Y_EN: 0
; COMPUTE_PGM_RSRC2:TGID_Z_EN: 0
; COMPUTE_PGM_RSRC2:TIDIG_COMP_CNT: 0
	.section	.text._ZN2at6native12_GLOBAL__N_125multi_tensor_apply_kernelINS1_18TensorListMetadataILi1EEENS1_21BinaryOpScalarFunctorIaLi1ELi1ELi0EEEJNS0_7minimumIaEEaEEEvT_T0_DpT1_,"axG",@progbits,_ZN2at6native12_GLOBAL__N_125multi_tensor_apply_kernelINS1_18TensorListMetadataILi1EEENS1_21BinaryOpScalarFunctorIaLi1ELi1ELi0EEEJNS0_7minimumIaEEaEEEvT_T0_DpT1_,comdat
	.globl	_ZN2at6native12_GLOBAL__N_125multi_tensor_apply_kernelINS1_18TensorListMetadataILi1EEENS1_21BinaryOpScalarFunctorIaLi1ELi1ELi0EEEJNS0_7minimumIaEEaEEEvT_T0_DpT1_ ; -- Begin function _ZN2at6native12_GLOBAL__N_125multi_tensor_apply_kernelINS1_18TensorListMetadataILi1EEENS1_21BinaryOpScalarFunctorIaLi1ELi1ELi0EEEJNS0_7minimumIaEEaEEEvT_T0_DpT1_
	.p2align	8
	.type	_ZN2at6native12_GLOBAL__N_125multi_tensor_apply_kernelINS1_18TensorListMetadataILi1EEENS1_21BinaryOpScalarFunctorIaLi1ELi1ELi0EEEJNS0_7minimumIaEEaEEEvT_T0_DpT1_,@function
_ZN2at6native12_GLOBAL__N_125multi_tensor_apply_kernelINS1_18TensorListMetadataILi1EEENS1_21BinaryOpScalarFunctorIaLi1ELi1ELi0EEEJNS0_7minimumIaEEaEEEvT_T0_DpT1_: ; @_ZN2at6native12_GLOBAL__N_125multi_tensor_apply_kernelINS1_18TensorListMetadataILi1EEENS1_21BinaryOpScalarFunctorIaLi1ELi1ELi0EEEJNS0_7minimumIaEEaEEEvT_T0_DpT1_
; %bb.0:
	s_load_u8 s6, s[0:1], ttmp9 offset:0x6e0
	s_mov_b32 s2, ttmp9
	s_mov_b32 s3, 0
	s_delay_alu instid0(SALU_CYCLE_1) | instskip(SKIP_1) | instid1(SALU_CYCLE_1)
	s_mul_u64 s[4:5], s[2:3], 3
	s_add_nc_u64 s[2:3], s[0:1], s[2:3]
	s_add_nc_u64 s[2:3], s[2:3], s[4:5]
	s_load_b32 s2, s[2:3], 0x820
	s_wait_kmcnt 0x0
	s_lshl_b32 s3, s6, 3
	s_clause 0x2
	s_load_b32 s8, s[0:1], 0xd28
	s_load_b64 s[4:5], s[0:1], s3 offset:0x370
	s_load_b64 s[6:7], s[0:1], s3 offset:0x0
	s_ashr_i32 s3, s2, 31
	s_wait_kmcnt 0x0
	s_lshr_b32 s20, s8, 16
	s_or_b32 s8, s4, s6
	s_delay_alu instid0(SALU_CYCLE_1)
	s_and_b32 s10, s8, 3
	s_lshl_b64 s[8:9], s[2:3], 16
	s_cmp_eq_u32 s10, 0
	s_sub_nc_u64 s[10:11], s[4:5], s[8:9]
	s_cbranch_scc1 .LBB108_21
; %bb.1:
	v_cmp_lt_i64_e64 s2, s[10:11], 1
	s_and_b32 vcc_lo, exec_lo, s2
	s_cbranch_vccnz .LBB108_20
; %bb.2:
	s_load_b32 s2, s[0:1], 0xd3c
	v_cmp_gt_i64_e64 s4, 0x10000, s[10:11]
	s_mov_b32 s3, 0
	v_cmp_gt_u64_e64 s14, 0x10000, s[10:11]
	s_mov_b32 s19, s3
	v_add_co_u32 v11, s5, s8, v0
	s_and_b32 s4, s4, exec_lo
	s_cselect_b32 s13, s11, 0
	s_cselect_b32 s12, s10, 0x10000
	v_add_co_ci_u32_e64 v12, null, s9, 0, s5
	s_mov_b32 s5, s3
	v_add_co_u32 v1, vcc_lo, s6, v11
	s_delay_alu instid0(VALU_DEP_1)
	v_add_co_ci_u32_e64 v2, null, s7, v12, vcc_lo
	s_wait_kmcnt 0x0
	s_and_b32 s2, s2, 0xffff
	s_and_b32 s4, s14, exec_lo
	s_mul_i32 s18, s2, 3
	s_cselect_b32 s15, s11, 0
	s_add_nc_u64 s[22:23], s[8:9], s[18:19]
	s_cselect_b32 s14, s10, 0x10000
	s_add_nc_u64 s[22:23], s[6:7], s[22:23]
	s_lshl_b32 s4, s2, 1
	v_add_co_u32 v3, s17, s22, v0
	s_delay_alu instid0(VALU_DEP_1)
	v_add_co_ci_u32_e64 v4, null, s23, 0, s17
	s_wait_alu 0xfffe
	s_add_nc_u64 s[22:23], s[8:9], s[4:5]
	v_add_co_u32 v5, s5, s18, v0
	s_wait_alu 0xfffe
	s_add_nc_u64 s[18:19], s[6:7], s[22:23]
	v_add_co_ci_u32_e64 v6, null, 0, 0, s5
	s_wait_alu 0xfffe
	v_add_co_u32 v7, s5, s18, v0
	v_add_co_u32 v9, s4, s4, v0
	s_wait_alu 0xf1ff
	v_add_co_ci_u32_e64 v8, null, s19, 0, s5
	v_add_co_ci_u32_e64 v10, null, 0, 0, s4
	s_add_nc_u64 s[4:5], s[6:7], s[2:3]
	s_lshl_b32 s16, s2, 2
	s_wait_alu 0xfffe
	v_add_co_u32 v11, vcc_lo, s4, v11
	v_add_co_u32 v13, s2, v0, s2
	s_wait_alu 0xfffd
	v_add_co_ci_u32_e64 v12, null, s5, v12, vcc_lo
	s_wait_alu 0xf1ff
	v_add_co_ci_u32_e64 v14, null, 0, 0, s2
	s_mov_b32 s17, s3
	s_mov_b64 s[18:19], 0
	s_bfe_i32 s21, s20, 0x80000
	s_branch .LBB108_4
.LBB108_3:                              ;   in Loop: Header=BB108_4 Depth=1
	s_wait_alu 0xfffe
	s_or_b32 exec_lo, exec_lo, s2
	s_add_nc_u64 s[18:19], s[18:19], s[16:17]
	s_wait_alu 0xfffe
	v_cmp_lt_i64_e64 s2, s[18:19], s[12:13]
	s_and_b32 vcc_lo, exec_lo, s2
	s_wait_alu 0xfffe
	s_cbranch_vccz .LBB108_20
.LBB108_4:                              ; =>This Inner Loop Header: Depth=1
	s_wait_loadcnt 0x0
	s_wait_alu 0xfffe
	v_add_co_u32 v15, s2, v0, s18
	s_wait_alu 0xf1ff
	v_add_co_ci_u32_e64 v16, null, 0, s19, s2
	s_delay_alu instid0(VALU_DEP_1)
	v_cmp_gt_u64_e32 vcc_lo, s[14:15], v[15:16]
	v_mov_b32_e32 v16, 0
	s_and_saveexec_b32 s3, vcc_lo
	s_cbranch_execz .LBB108_6
; %bb.5:                                ;   in Loop: Header=BB108_4 Depth=1
	v_add_co_u32 v15, s2, v1, s18
	s_wait_alu 0xf1ff
	v_add_co_ci_u32_e64 v16, null, s19, v2, s2
	global_load_u8 v16, v[15:16], off
.LBB108_6:                              ;   in Loop: Header=BB108_4 Depth=1
	s_wait_alu 0xfffe
	s_or_b32 exec_lo, exec_lo, s3
	v_add_co_u32 v17, s2, v13, s18
	s_wait_alu 0xf1ff
	v_add_co_ci_u32_e64 v18, null, s19, v14, s2
	v_mov_b32_e32 v15, 0
	s_delay_alu instid0(VALU_DEP_2)
	v_cmp_gt_u64_e64 s2, s[14:15], v[17:18]
	v_mov_b32_e32 v17, 0
	s_and_saveexec_b32 s4, s2
	s_cbranch_execz .LBB108_8
; %bb.7:                                ;   in Loop: Header=BB108_4 Depth=1
	v_add_co_u32 v17, s3, v11, s18
	s_wait_alu 0xf1ff
	v_add_co_ci_u32_e64 v18, null, s19, v12, s3
	global_load_u8 v17, v[17:18], off
.LBB108_8:                              ;   in Loop: Header=BB108_4 Depth=1
	s_wait_alu 0xfffe
	s_or_b32 exec_lo, exec_lo, s4
	v_add_co_u32 v18, s3, v9, s18
	s_wait_alu 0xf1ff
	v_add_co_ci_u32_e64 v19, null, s19, v10, s3
	s_delay_alu instid0(VALU_DEP_1)
	v_cmp_gt_u64_e64 s3, s[14:15], v[18:19]
	s_and_saveexec_b32 s5, s3
	s_cbranch_execz .LBB108_10
; %bb.9:                                ;   in Loop: Header=BB108_4 Depth=1
	v_add_co_u32 v18, s4, v7, s18
	s_wait_alu 0xf1ff
	v_add_co_ci_u32_e64 v19, null, s19, v8, s4
	global_load_u8 v15, v[18:19], off
.LBB108_10:                             ;   in Loop: Header=BB108_4 Depth=1
	s_wait_alu 0xfffe
	s_or_b32 exec_lo, exec_lo, s5
	v_add_co_u32 v18, s4, v5, s18
	s_wait_alu 0xf1ff
	v_add_co_ci_u32_e64 v19, null, s19, v6, s4
	s_delay_alu instid0(VALU_DEP_1)
	v_cmp_gt_u64_e64 s4, s[14:15], v[18:19]
	v_mov_b32_e32 v18, 0
	s_and_saveexec_b32 s22, s4
	s_cbranch_execnz .LBB108_15
; %bb.11:                               ;   in Loop: Header=BB108_4 Depth=1
	s_wait_alu 0xfffe
	s_or_b32 exec_lo, exec_lo, s22
	s_and_saveexec_b32 s5, vcc_lo
	s_cbranch_execnz .LBB108_16
.LBB108_12:                             ;   in Loop: Header=BB108_4 Depth=1
	s_wait_alu 0xfffe
	s_or_b32 exec_lo, exec_lo, s5
	s_and_saveexec_b32 s5, s2
	s_cbranch_execnz .LBB108_17
.LBB108_13:                             ;   in Loop: Header=BB108_4 Depth=1
	s_wait_alu 0xfffe
	s_or_b32 exec_lo, exec_lo, s5
	s_and_saveexec_b32 s2, s3
	s_cbranch_execnz .LBB108_18
.LBB108_14:                             ;   in Loop: Header=BB108_4 Depth=1
	s_wait_alu 0xfffe
	s_or_b32 exec_lo, exec_lo, s2
	s_and_saveexec_b32 s2, s4
	s_cbranch_execz .LBB108_3
	s_branch .LBB108_19
.LBB108_15:                             ;   in Loop: Header=BB108_4 Depth=1
	v_add_co_u32 v18, s5, v3, s18
	s_wait_alu 0xf1ff
	v_add_co_ci_u32_e64 v19, null, s19, v4, s5
	global_load_u8 v18, v[18:19], off
	s_wait_alu 0xfffe
	s_or_b32 exec_lo, exec_lo, s22
	s_and_saveexec_b32 s5, vcc_lo
	s_cbranch_execz .LBB108_12
.LBB108_16:                             ;   in Loop: Header=BB108_4 Depth=1
	s_wait_loadcnt 0x0
	v_bfe_i32 v16, v16, 0, 8
	v_add_co_u32 v19, vcc_lo, v1, s18
	s_wait_alu 0xfffd
	v_add_co_ci_u32_e64 v20, null, s19, v2, vcc_lo
	s_delay_alu instid0(VALU_DEP_3)
	v_min_i16 v16, v16, s21
	global_store_b8 v[19:20], v16, off
	s_wait_alu 0xfffe
	s_or_b32 exec_lo, exec_lo, s5
	s_and_saveexec_b32 s5, s2
	s_cbranch_execz .LBB108_13
.LBB108_17:                             ;   in Loop: Header=BB108_4 Depth=1
	s_wait_loadcnt 0x0
	v_bfe_i32 v16, v17, 0, 8
	s_delay_alu instid0(VALU_DEP_1)
	v_min_i16 v19, v16, s21
	v_add_co_u32 v16, vcc_lo, v11, s18
	s_wait_alu 0xfffd
	v_add_co_ci_u32_e64 v17, null, s19, v12, vcc_lo
	global_store_b8 v[16:17], v19, off
	s_wait_alu 0xfffe
	s_or_b32 exec_lo, exec_lo, s5
	s_and_saveexec_b32 s2, s3
	s_cbranch_execz .LBB108_14
.LBB108_18:                             ;   in Loop: Header=BB108_4 Depth=1
	s_wait_loadcnt 0x0
	v_bfe_i32 v15, v15, 0, 8
	s_delay_alu instid0(VALU_DEP_1)
	v_min_i16 v17, v15, s21
	v_add_co_u32 v15, vcc_lo, v7, s18
	s_wait_alu 0xfffd
	v_add_co_ci_u32_e64 v16, null, s19, v8, vcc_lo
	global_store_b8 v[15:16], v17, off
	s_wait_alu 0xfffe
	s_or_b32 exec_lo, exec_lo, s2
	s_and_saveexec_b32 s2, s4
	s_cbranch_execz .LBB108_3
.LBB108_19:                             ;   in Loop: Header=BB108_4 Depth=1
	s_wait_loadcnt 0x0
	v_bfe_i32 v15, v18, 0, 8
	s_delay_alu instid0(VALU_DEP_1)
	v_min_i16 v17, v15, s21
	v_add_co_u32 v15, vcc_lo, v3, s18
	s_wait_alu 0xfffd
	v_add_co_ci_u32_e64 v16, null, s19, v4, vcc_lo
	global_store_b8 v[15:16], v17, off
	s_branch .LBB108_3
.LBB108_20:
	s_cbranch_execz .LBB108_22
	s_branch .LBB108_25
.LBB108_21:
.LBB108_22:
	v_cmp_gt_i64_e64 s2, 0x10000, s[10:11]
	v_dual_mov_b32 v3, 0 :: v_dual_lshlrev_b32 v2, 2, v0
	s_mov_b32 s4, 0
	s_mov_b32 s5, exec_lo
	s_and_b32 s2, s2, exec_lo
	s_cselect_b32 s3, s11, 0
	s_cselect_b32 s2, s10, 0x10000
	s_wait_alu 0xfffe
	v_cmpx_gt_i64_e64 s[2:3], v[2:3]
	s_cbranch_execz .LBB108_25
; %bb.23:
	s_load_b32 s5, s[0:1], 0xd3c
	s_add_nc_u64 s[0:1], s[6:7], s[8:9]
	v_mov_b32_e32 v1, v3
	v_add_co_u32 v2, s0, s0, v2
	s_wait_alu 0xf1ff
	v_add_co_ci_u32_e64 v3, null, s1, 0, s0
	s_bfe_i32 s6, s20, 0x80000
	s_wait_kmcnt 0x0
	s_and_b32 s1, s5, 0xffff
	s_wait_alu 0xfffe
	s_lshl_b32 s5, s1, 2
.LBB108_24:                             ; =>This Inner Loop Header: Depth=1
	global_load_b32 v4, v[2:3], off
	v_add_co_u32 v0, vcc_lo, v0, s1
	s_wait_alu 0xfffd
	v_add_co_ci_u32_e64 v1, null, 0, v1, vcc_lo
	s_wait_loadcnt 0x0
	v_lshrrev_b32_e32 v5, 8, v4
	v_lshrrev_b32_e32 v6, 24, v4
	;; [unrolled: 1-line block ×3, first 2 shown]
	v_bfe_i32 v4, v4, 0, 8
	s_delay_alu instid0(VALU_DEP_4) | instskip(NEXT) | instid1(VALU_DEP_4)
	v_bfe_i32 v5, v5, 0, 8
	v_bfe_i32 v6, v6, 0, 8
	s_delay_alu instid0(VALU_DEP_4) | instskip(NEXT) | instid1(VALU_DEP_4)
	v_bfe_i32 v7, v7, 0, 8
	v_min_i16 v4, v4, s6
	s_delay_alu instid0(VALU_DEP_4) | instskip(NEXT) | instid1(VALU_DEP_4)
	v_min_i16 v5, v5, s6
	v_min_i16 v6, v6, s6
	s_delay_alu instid0(VALU_DEP_4) | instskip(NEXT) | instid1(VALU_DEP_4)
	v_min_i16 v7, v7, s6
	v_and_b32_e32 v4, 0xff, v4
	s_delay_alu instid0(VALU_DEP_4) | instskip(NEXT) | instid1(VALU_DEP_4)
	v_lshlrev_b16 v5, 8, v5
	v_lshlrev_b16 v6, 8, v6
	s_delay_alu instid0(VALU_DEP_4) | instskip(NEXT) | instid1(VALU_DEP_3)
	v_and_b32_e32 v7, 0xff, v7
	v_or_b32_e32 v4, v4, v5
	s_delay_alu instid0(VALU_DEP_2) | instskip(NEXT) | instid1(VALU_DEP_2)
	v_or_b32_e32 v5, v7, v6
	v_and_b32_e32 v6, 0xffff, v4
	s_delay_alu instid0(VALU_DEP_2) | instskip(SKIP_1) | instid1(VALU_DEP_2)
	v_lshlrev_b32_e32 v7, 16, v5
	v_lshlrev_b64_e32 v[4:5], 2, v[0:1]
	v_or_b32_e32 v6, v6, v7
	s_delay_alu instid0(VALU_DEP_2)
	v_cmp_le_i64_e32 vcc_lo, s[2:3], v[4:5]
	global_store_b32 v[2:3], v6, off
	s_wait_alu 0xfffe
	v_add_co_u32 v2, s0, v2, s5
	s_wait_alu 0xf1ff
	v_add_co_ci_u32_e64 v3, null, 0, v3, s0
	s_or_b32 s4, vcc_lo, s4
	s_wait_alu 0xfffe
	s_and_not1_b32 exec_lo, exec_lo, s4
	s_cbranch_execnz .LBB108_24
.LBB108_25:
	s_endpgm
	.section	.rodata,"a",@progbits
	.p2align	6, 0x0
	.amdhsa_kernel _ZN2at6native12_GLOBAL__N_125multi_tensor_apply_kernelINS1_18TensorListMetadataILi1EEENS1_21BinaryOpScalarFunctorIaLi1ELi1ELi0EEEJNS0_7minimumIaEEaEEEvT_T0_DpT1_
		.amdhsa_group_segment_fixed_size 0
		.amdhsa_private_segment_fixed_size 0
		.amdhsa_kernarg_size 3632
		.amdhsa_user_sgpr_count 2
		.amdhsa_user_sgpr_dispatch_ptr 0
		.amdhsa_user_sgpr_queue_ptr 0
		.amdhsa_user_sgpr_kernarg_segment_ptr 1
		.amdhsa_user_sgpr_dispatch_id 0
		.amdhsa_user_sgpr_private_segment_size 0
		.amdhsa_wavefront_size32 1
		.amdhsa_uses_dynamic_stack 0
		.amdhsa_enable_private_segment 0
		.amdhsa_system_sgpr_workgroup_id_x 1
		.amdhsa_system_sgpr_workgroup_id_y 0
		.amdhsa_system_sgpr_workgroup_id_z 0
		.amdhsa_system_sgpr_workgroup_info 0
		.amdhsa_system_vgpr_workitem_id 0
		.amdhsa_next_free_vgpr 21
		.amdhsa_next_free_sgpr 24
		.amdhsa_reserve_vcc 1
		.amdhsa_float_round_mode_32 0
		.amdhsa_float_round_mode_16_64 0
		.amdhsa_float_denorm_mode_32 3
		.amdhsa_float_denorm_mode_16_64 3
		.amdhsa_fp16_overflow 0
		.amdhsa_workgroup_processor_mode 1
		.amdhsa_memory_ordered 1
		.amdhsa_forward_progress 1
		.amdhsa_inst_pref_size 13
		.amdhsa_round_robin_scheduling 0
		.amdhsa_exception_fp_ieee_invalid_op 0
		.amdhsa_exception_fp_denorm_src 0
		.amdhsa_exception_fp_ieee_div_zero 0
		.amdhsa_exception_fp_ieee_overflow 0
		.amdhsa_exception_fp_ieee_underflow 0
		.amdhsa_exception_fp_ieee_inexact 0
		.amdhsa_exception_int_div_zero 0
	.end_amdhsa_kernel
	.section	.text._ZN2at6native12_GLOBAL__N_125multi_tensor_apply_kernelINS1_18TensorListMetadataILi1EEENS1_21BinaryOpScalarFunctorIaLi1ELi1ELi0EEEJNS0_7minimumIaEEaEEEvT_T0_DpT1_,"axG",@progbits,_ZN2at6native12_GLOBAL__N_125multi_tensor_apply_kernelINS1_18TensorListMetadataILi1EEENS1_21BinaryOpScalarFunctorIaLi1ELi1ELi0EEEJNS0_7minimumIaEEaEEEvT_T0_DpT1_,comdat
.Lfunc_end108:
	.size	_ZN2at6native12_GLOBAL__N_125multi_tensor_apply_kernelINS1_18TensorListMetadataILi1EEENS1_21BinaryOpScalarFunctorIaLi1ELi1ELi0EEEJNS0_7minimumIaEEaEEEvT_T0_DpT1_, .Lfunc_end108-_ZN2at6native12_GLOBAL__N_125multi_tensor_apply_kernelINS1_18TensorListMetadataILi1EEENS1_21BinaryOpScalarFunctorIaLi1ELi1ELi0EEEJNS0_7minimumIaEEaEEEvT_T0_DpT1_
                                        ; -- End function
	.set _ZN2at6native12_GLOBAL__N_125multi_tensor_apply_kernelINS1_18TensorListMetadataILi1EEENS1_21BinaryOpScalarFunctorIaLi1ELi1ELi0EEEJNS0_7minimumIaEEaEEEvT_T0_DpT1_.num_vgpr, 21
	.set _ZN2at6native12_GLOBAL__N_125multi_tensor_apply_kernelINS1_18TensorListMetadataILi1EEENS1_21BinaryOpScalarFunctorIaLi1ELi1ELi0EEEJNS0_7minimumIaEEaEEEvT_T0_DpT1_.num_agpr, 0
	.set _ZN2at6native12_GLOBAL__N_125multi_tensor_apply_kernelINS1_18TensorListMetadataILi1EEENS1_21BinaryOpScalarFunctorIaLi1ELi1ELi0EEEJNS0_7minimumIaEEaEEEvT_T0_DpT1_.numbered_sgpr, 24
	.set _ZN2at6native12_GLOBAL__N_125multi_tensor_apply_kernelINS1_18TensorListMetadataILi1EEENS1_21BinaryOpScalarFunctorIaLi1ELi1ELi0EEEJNS0_7minimumIaEEaEEEvT_T0_DpT1_.num_named_barrier, 0
	.set _ZN2at6native12_GLOBAL__N_125multi_tensor_apply_kernelINS1_18TensorListMetadataILi1EEENS1_21BinaryOpScalarFunctorIaLi1ELi1ELi0EEEJNS0_7minimumIaEEaEEEvT_T0_DpT1_.private_seg_size, 0
	.set _ZN2at6native12_GLOBAL__N_125multi_tensor_apply_kernelINS1_18TensorListMetadataILi1EEENS1_21BinaryOpScalarFunctorIaLi1ELi1ELi0EEEJNS0_7minimumIaEEaEEEvT_T0_DpT1_.uses_vcc, 1
	.set _ZN2at6native12_GLOBAL__N_125multi_tensor_apply_kernelINS1_18TensorListMetadataILi1EEENS1_21BinaryOpScalarFunctorIaLi1ELi1ELi0EEEJNS0_7minimumIaEEaEEEvT_T0_DpT1_.uses_flat_scratch, 0
	.set _ZN2at6native12_GLOBAL__N_125multi_tensor_apply_kernelINS1_18TensorListMetadataILi1EEENS1_21BinaryOpScalarFunctorIaLi1ELi1ELi0EEEJNS0_7minimumIaEEaEEEvT_T0_DpT1_.has_dyn_sized_stack, 0
	.set _ZN2at6native12_GLOBAL__N_125multi_tensor_apply_kernelINS1_18TensorListMetadataILi1EEENS1_21BinaryOpScalarFunctorIaLi1ELi1ELi0EEEJNS0_7minimumIaEEaEEEvT_T0_DpT1_.has_recursion, 0
	.set _ZN2at6native12_GLOBAL__N_125multi_tensor_apply_kernelINS1_18TensorListMetadataILi1EEENS1_21BinaryOpScalarFunctorIaLi1ELi1ELi0EEEJNS0_7minimumIaEEaEEEvT_T0_DpT1_.has_indirect_call, 0
	.section	.AMDGPU.csdata,"",@progbits
; Kernel info:
; codeLenInByte = 1564
; TotalNumSgprs: 26
; NumVgprs: 21
; ScratchSize: 0
; MemoryBound: 0
; FloatMode: 240
; IeeeMode: 1
; LDSByteSize: 0 bytes/workgroup (compile time only)
; SGPRBlocks: 0
; VGPRBlocks: 2
; NumSGPRsForWavesPerEU: 26
; NumVGPRsForWavesPerEU: 21
; Occupancy: 16
; WaveLimiterHint : 0
; COMPUTE_PGM_RSRC2:SCRATCH_EN: 0
; COMPUTE_PGM_RSRC2:USER_SGPR: 2
; COMPUTE_PGM_RSRC2:TRAP_HANDLER: 0
; COMPUTE_PGM_RSRC2:TGID_X_EN: 1
; COMPUTE_PGM_RSRC2:TGID_Y_EN: 0
; COMPUTE_PGM_RSRC2:TGID_Z_EN: 0
; COMPUTE_PGM_RSRC2:TIDIG_COMP_CNT: 0
	.section	.text._ZN2at6native12_GLOBAL__N_125multi_tensor_apply_kernelINS1_18TensorListMetadataILi1EEENS1_21BinaryOpScalarFunctorIiLi1ELi1ELi0EEEJNS0_7minimumIiEEiEEEvT_T0_DpT1_,"axG",@progbits,_ZN2at6native12_GLOBAL__N_125multi_tensor_apply_kernelINS1_18TensorListMetadataILi1EEENS1_21BinaryOpScalarFunctorIiLi1ELi1ELi0EEEJNS0_7minimumIiEEiEEEvT_T0_DpT1_,comdat
	.globl	_ZN2at6native12_GLOBAL__N_125multi_tensor_apply_kernelINS1_18TensorListMetadataILi1EEENS1_21BinaryOpScalarFunctorIiLi1ELi1ELi0EEEJNS0_7minimumIiEEiEEEvT_T0_DpT1_ ; -- Begin function _ZN2at6native12_GLOBAL__N_125multi_tensor_apply_kernelINS1_18TensorListMetadataILi1EEENS1_21BinaryOpScalarFunctorIiLi1ELi1ELi0EEEJNS0_7minimumIiEEiEEEvT_T0_DpT1_
	.p2align	8
	.type	_ZN2at6native12_GLOBAL__N_125multi_tensor_apply_kernelINS1_18TensorListMetadataILi1EEENS1_21BinaryOpScalarFunctorIiLi1ELi1ELi0EEEJNS0_7minimumIiEEiEEEvT_T0_DpT1_,@function
_ZN2at6native12_GLOBAL__N_125multi_tensor_apply_kernelINS1_18TensorListMetadataILi1EEENS1_21BinaryOpScalarFunctorIiLi1ELi1ELi0EEEJNS0_7minimumIiEEiEEEvT_T0_DpT1_: ; @_ZN2at6native12_GLOBAL__N_125multi_tensor_apply_kernelINS1_18TensorListMetadataILi1EEENS1_21BinaryOpScalarFunctorIiLi1ELi1ELi0EEEJNS0_7minimumIiEEiEEEvT_T0_DpT1_
; %bb.0:
	s_load_u8 s8, s[0:1], ttmp9 offset:0x6e0
	s_mov_b32 s2, ttmp9
	s_mov_b32 s3, 0
	s_delay_alu instid0(SALU_CYCLE_1)
	s_mul_u64 s[4:5], s[2:3], 3
	s_add_nc_u64 s[6:7], s[0:1], s[2:3]
	s_mov_b32 s13, s3
	s_add_nc_u64 s[4:5], s[6:7], s[4:5]
	s_load_b32 s4, s[4:5], 0x820
	s_wait_kmcnt 0x0
	s_lshl_b32 s2, s8, 3
	s_clause 0x2
	s_load_b64 s[6:7], s[0:1], s2 offset:0x0
	s_load_b64 s[10:11], s[0:1], s2 offset:0x370
	s_load_b32 s22, s[0:1], 0xd2c
	s_ashr_i32 s5, s4, 31
	s_delay_alu instid0(SALU_CYCLE_1)
	s_lshl_b64 s[8:9], s[4:5], 18
	s_lshl_b64 s[4:5], s[4:5], 16
	s_wait_kmcnt 0x0
	s_and_b32 s2, s6, 15
	s_and_b32 s12, s10, 3
	s_sub_nc_u64 s[10:11], s[10:11], s[4:5]
	s_or_b64 s[2:3], s[2:3], s[12:13]
	s_delay_alu instid0(SALU_CYCLE_1)
	s_cmp_eq_u64 s[2:3], 0
	s_cbranch_scc1 .LBB109_21
; %bb.1:
	v_cmp_lt_i64_e64 s2, s[10:11], 1
	s_and_b32 vcc_lo, exec_lo, s2
	s_cbranch_vccnz .LBB109_20
; %bb.2:
	s_load_b32 s2, s[0:1], 0xd3c
	v_cmp_gt_i64_e64 s12, 0x10000, s[10:11]
	v_lshlrev_b32_e32 v1, 2, v0
	s_add_nc_u64 s[4:5], s[6:7], s[8:9]
	s_mov_b32 s3, 0
	v_cmp_gt_u64_e64 s16, 0x10000, s[10:11]
	s_mov_b32 s13, s3
	v_add_co_u32 v1, s14, s4, v1
	s_and_b32 s12, s12, exec_lo
	v_add_co_ci_u32_e64 v2, null, s5, 0, s14
	s_cselect_b32 s15, s11, 0
	s_cselect_b32 s14, s10, 0x10000
	s_wait_kmcnt 0x0
	s_and_b32 s2, s2, 0xffff
	s_and_b32 s12, s16, exec_lo
	s_mul_u64 s[18:19], s[2:3], 12
	v_add_co_u32 v5, s3, v0, s2
	s_cselect_b32 s17, s11, 0
	s_cselect_b32 s16, s10, 0x10000
	s_lshl_b32 s20, s2, 1
	v_lshlrev_b32_e32 v3, 2, v5
	s_mul_i32 s21, s2, 3
	v_add_co_ci_u32_e64 v8, null, 0, 0, s3
	v_add_co_u32 v9, s3, s20, v0
	v_add_co_u32 v6, s21, s21, v0
	s_wait_alu 0xf1ff
	v_add_co_ci_u32_e64 v10, null, 0, 0, s3
	v_add_co_u32 v3, s3, s4, v3
	v_add_co_ci_u32_e64 v7, null, 0, 0, s21
	s_wait_alu 0xf1ff
	v_add_co_ci_u32_e64 v4, null, s5, 0, s3
	s_lshl_b32 s12, s2, 2
	s_lshl_b32 s23, s2, 4
	s_lshl_b32 s24, s2, 3
	s_mov_b64 s[20:21], 0
	s_branch .LBB109_4
.LBB109_3:                              ;   in Loop: Header=BB109_4 Depth=1
	s_wait_alu 0xfffe
	s_or_b32 exec_lo, exec_lo, s2
	s_add_nc_u64 s[20:21], s[20:21], s[12:13]
	v_add_co_u32 v1, vcc_lo, v1, s23
	s_wait_alu 0xfffe
	v_cmp_lt_i64_e64 s2, s[20:21], s[14:15]
	s_wait_alu 0xfffd
	v_add_co_ci_u32_e64 v2, null, 0, v2, vcc_lo
	v_add_co_u32 v3, vcc_lo, v3, s23
	s_wait_alu 0xfffd
	v_add_co_ci_u32_e64 v4, null, 0, v4, vcc_lo
	s_and_b32 vcc_lo, exec_lo, s2
	s_wait_alu 0xfffe
	s_cbranch_vccz .LBB109_20
.LBB109_4:                              ; =>This Inner Loop Header: Depth=1
	s_wait_loadcnt 0x0
	s_wait_alu 0xfffe
	v_add_co_u32 v11, s2, v0, s20
	s_wait_alu 0xf1ff
	v_add_co_ci_u32_e64 v12, null, 0, s21, s2
	s_delay_alu instid0(VALU_DEP_1)
	v_cmp_gt_u64_e32 vcc_lo, s[16:17], v[11:12]
	v_mov_b32_e32 v11, 0
	s_and_saveexec_b32 s2, vcc_lo
	s_cbranch_execz .LBB109_6
; %bb.5:                                ;   in Loop: Header=BB109_4 Depth=1
	global_load_b32 v11, v[1:2], off
.LBB109_6:                              ;   in Loop: Header=BB109_4 Depth=1
	s_wait_alu 0xfffe
	s_or_b32 exec_lo, exec_lo, s2
	v_add_co_u32 v12, s2, v5, s20
	s_wait_alu 0xf1ff
	v_add_co_ci_u32_e64 v13, null, s21, v8, s2
	s_delay_alu instid0(VALU_DEP_1)
	v_cmp_gt_u64_e64 s2, s[16:17], v[12:13]
	v_dual_mov_b32 v12, 0 :: v_dual_mov_b32 v13, 0
	s_and_saveexec_b32 s3, s2
	s_cbranch_execz .LBB109_8
; %bb.7:                                ;   in Loop: Header=BB109_4 Depth=1
	global_load_b32 v13, v[3:4], off
.LBB109_8:                              ;   in Loop: Header=BB109_4 Depth=1
	s_wait_alu 0xfffe
	s_or_b32 exec_lo, exec_lo, s3
	v_add_co_u32 v14, s3, v9, s20
	s_wait_alu 0xf1ff
	v_add_co_ci_u32_e64 v15, null, s21, v10, s3
	s_delay_alu instid0(VALU_DEP_1)
	v_cmp_gt_u64_e64 s3, s[16:17], v[14:15]
	s_and_saveexec_b32 s5, s3
	s_cbranch_execz .LBB109_10
; %bb.9:                                ;   in Loop: Header=BB109_4 Depth=1
	v_add_co_u32 v14, s4, v1, s24
	s_wait_alu 0xf1ff
	v_add_co_ci_u32_e64 v15, null, 0, v2, s4
	global_load_b32 v12, v[14:15], off
.LBB109_10:                             ;   in Loop: Header=BB109_4 Depth=1
	s_wait_alu 0xfffe
	s_or_b32 exec_lo, exec_lo, s5
	v_add_co_u32 v14, s4, v6, s20
	s_wait_alu 0xf1ff
	v_add_co_ci_u32_e64 v15, null, s21, v7, s4
	s_delay_alu instid0(VALU_DEP_1)
	v_cmp_gt_u64_e64 s4, s[16:17], v[14:15]
	v_mov_b32_e32 v14, 0
	s_and_saveexec_b32 s25, s4
	s_cbranch_execnz .LBB109_15
; %bb.11:                               ;   in Loop: Header=BB109_4 Depth=1
	s_wait_alu 0xfffe
	s_or_b32 exec_lo, exec_lo, s25
	s_and_saveexec_b32 s5, vcc_lo
	s_cbranch_execnz .LBB109_16
.LBB109_12:                             ;   in Loop: Header=BB109_4 Depth=1
	s_wait_alu 0xfffe
	s_or_b32 exec_lo, exec_lo, s5
	s_and_saveexec_b32 s5, s2
	s_cbranch_execnz .LBB109_17
.LBB109_13:                             ;   in Loop: Header=BB109_4 Depth=1
	s_wait_alu 0xfffe
	s_or_b32 exec_lo, exec_lo, s5
	s_and_saveexec_b32 s2, s3
	s_cbranch_execnz .LBB109_18
.LBB109_14:                             ;   in Loop: Header=BB109_4 Depth=1
	s_wait_alu 0xfffe
	s_or_b32 exec_lo, exec_lo, s2
	s_and_saveexec_b32 s2, s4
	s_cbranch_execz .LBB109_3
	s_branch .LBB109_19
.LBB109_15:                             ;   in Loop: Header=BB109_4 Depth=1
	v_add_co_u32 v14, s5, v1, s18
	s_wait_alu 0xf1ff
	v_add_co_ci_u32_e64 v15, null, s19, v2, s5
	global_load_b32 v14, v[14:15], off
	s_wait_alu 0xfffe
	s_or_b32 exec_lo, exec_lo, s25
	s_and_saveexec_b32 s5, vcc_lo
	s_cbranch_execz .LBB109_12
.LBB109_16:                             ;   in Loop: Header=BB109_4 Depth=1
	s_wait_loadcnt 0x0
	v_min_i32_e32 v11, s22, v11
	global_store_b32 v[1:2], v11, off
	s_wait_alu 0xfffe
	s_or_b32 exec_lo, exec_lo, s5
	s_and_saveexec_b32 s5, s2
	s_cbranch_execz .LBB109_13
.LBB109_17:                             ;   in Loop: Header=BB109_4 Depth=1
	s_wait_loadcnt 0x0
	v_min_i32_e32 v11, s22, v13
	global_store_b32 v[3:4], v11, off
	s_wait_alu 0xfffe
	s_or_b32 exec_lo, exec_lo, s5
	s_and_saveexec_b32 s2, s3
	s_cbranch_execz .LBB109_14
.LBB109_18:                             ;   in Loop: Header=BB109_4 Depth=1
	s_wait_loadcnt 0x0
	v_add_co_u32 v11, vcc_lo, v1, s24
	v_min_i32_e32 v13, s22, v12
	s_wait_alu 0xfffd
	v_add_co_ci_u32_e64 v12, null, 0, v2, vcc_lo
	global_store_b32 v[11:12], v13, off
	s_wait_alu 0xfffe
	s_or_b32 exec_lo, exec_lo, s2
	s_and_saveexec_b32 s2, s4
	s_cbranch_execz .LBB109_3
.LBB109_19:                             ;   in Loop: Header=BB109_4 Depth=1
	s_wait_loadcnt 0x0
	v_add_co_u32 v11, vcc_lo, v1, s18
	v_min_i32_e32 v13, s22, v14
	s_wait_alu 0xfffd
	v_add_co_ci_u32_e64 v12, null, s19, v2, vcc_lo
	global_store_b32 v[11:12], v13, off
	s_branch .LBB109_3
.LBB109_20:
	s_cbranch_execz .LBB109_22
	s_branch .LBB109_25
.LBB109_21:
.LBB109_22:
	v_cmp_gt_i64_e64 s2, 0x10000, s[10:11]
	v_dual_mov_b32 v2, 0 :: v_dual_lshlrev_b32 v1, 2, v0
	s_mov_b32 s4, 0
	s_mov_b32 s5, exec_lo
	s_and_b32 s2, s2, exec_lo
	s_cselect_b32 s3, s11, 0
	s_cselect_b32 s2, s10, 0x10000
	s_wait_alu 0xfffe
	v_cmpx_gt_i64_e64 s[2:3], v[1:2]
	s_cbranch_execz .LBB109_25
; %bb.23:
	s_load_b32 s5, s[0:1], 0xd3c
	v_lshlrev_b32_e32 v1, 4, v0
	s_add_nc_u64 s[0:1], s[6:7], s[8:9]
	s_delay_alu instid0(VALU_DEP_1) | instid1(SALU_CYCLE_1)
	v_add_co_u32 v3, s0, s0, v1
	s_wait_alu 0xf1ff
	v_add_co_ci_u32_e64 v4, null, s1, 0, s0
	v_mov_b32_e32 v1, v2
	s_delay_alu instid0(VALU_DEP_3) | instskip(SKIP_1) | instid1(VALU_DEP_3)
	v_add_co_u32 v2, vcc_lo, v3, 8
	s_wait_alu 0xfffd
	v_add_co_ci_u32_e64 v3, null, 0, v4, vcc_lo
	s_wait_kmcnt 0x0
	s_and_b32 s1, s5, 0xffff
	s_wait_alu 0xfffe
	s_lshl_b32 s5, s1, 4
.LBB109_24:                             ; =>This Inner Loop Header: Depth=1
	global_load_b128 v[4:7], v[2:3], off offset:-8
	v_add_co_u32 v0, vcc_lo, v0, s1
	s_wait_alu 0xfffd
	v_add_co_ci_u32_e64 v1, null, 0, v1, vcc_lo
	s_delay_alu instid0(VALU_DEP_1) | instskip(NEXT) | instid1(VALU_DEP_1)
	v_lshlrev_b64_e32 v[8:9], 2, v[0:1]
	v_cmp_le_i64_e32 vcc_lo, s[2:3], v[8:9]
	s_or_b32 s4, vcc_lo, s4
	s_wait_loadcnt 0x0
	v_min_i32_e32 v4, s22, v4
	v_min_i32_e32 v5, s22, v5
	;; [unrolled: 1-line block ×4, first 2 shown]
	global_store_b128 v[2:3], v[4:7], off offset:-8
	s_wait_alu 0xfffe
	v_add_co_u32 v2, s0, v2, s5
	s_wait_alu 0xf1ff
	v_add_co_ci_u32_e64 v3, null, 0, v3, s0
	s_and_not1_b32 exec_lo, exec_lo, s4
	s_cbranch_execnz .LBB109_24
.LBB109_25:
	s_endpgm
	.section	.rodata,"a",@progbits
	.p2align	6, 0x0
	.amdhsa_kernel _ZN2at6native12_GLOBAL__N_125multi_tensor_apply_kernelINS1_18TensorListMetadataILi1EEENS1_21BinaryOpScalarFunctorIiLi1ELi1ELi0EEEJNS0_7minimumIiEEiEEEvT_T0_DpT1_
		.amdhsa_group_segment_fixed_size 0
		.amdhsa_private_segment_fixed_size 0
		.amdhsa_kernarg_size 3632
		.amdhsa_user_sgpr_count 2
		.amdhsa_user_sgpr_dispatch_ptr 0
		.amdhsa_user_sgpr_queue_ptr 0
		.amdhsa_user_sgpr_kernarg_segment_ptr 1
		.amdhsa_user_sgpr_dispatch_id 0
		.amdhsa_user_sgpr_private_segment_size 0
		.amdhsa_wavefront_size32 1
		.amdhsa_uses_dynamic_stack 0
		.amdhsa_enable_private_segment 0
		.amdhsa_system_sgpr_workgroup_id_x 1
		.amdhsa_system_sgpr_workgroup_id_y 0
		.amdhsa_system_sgpr_workgroup_id_z 0
		.amdhsa_system_sgpr_workgroup_info 0
		.amdhsa_system_vgpr_workitem_id 0
		.amdhsa_next_free_vgpr 16
		.amdhsa_next_free_sgpr 26
		.amdhsa_reserve_vcc 1
		.amdhsa_float_round_mode_32 0
		.amdhsa_float_round_mode_16_64 0
		.amdhsa_float_denorm_mode_32 3
		.amdhsa_float_denorm_mode_16_64 3
		.amdhsa_fp16_overflow 0
		.amdhsa_workgroup_processor_mode 1
		.amdhsa_memory_ordered 1
		.amdhsa_forward_progress 1
		.amdhsa_inst_pref_size 10
		.amdhsa_round_robin_scheduling 0
		.amdhsa_exception_fp_ieee_invalid_op 0
		.amdhsa_exception_fp_denorm_src 0
		.amdhsa_exception_fp_ieee_div_zero 0
		.amdhsa_exception_fp_ieee_overflow 0
		.amdhsa_exception_fp_ieee_underflow 0
		.amdhsa_exception_fp_ieee_inexact 0
		.amdhsa_exception_int_div_zero 0
	.end_amdhsa_kernel
	.section	.text._ZN2at6native12_GLOBAL__N_125multi_tensor_apply_kernelINS1_18TensorListMetadataILi1EEENS1_21BinaryOpScalarFunctorIiLi1ELi1ELi0EEEJNS0_7minimumIiEEiEEEvT_T0_DpT1_,"axG",@progbits,_ZN2at6native12_GLOBAL__N_125multi_tensor_apply_kernelINS1_18TensorListMetadataILi1EEENS1_21BinaryOpScalarFunctorIiLi1ELi1ELi0EEEJNS0_7minimumIiEEiEEEvT_T0_DpT1_,comdat
.Lfunc_end109:
	.size	_ZN2at6native12_GLOBAL__N_125multi_tensor_apply_kernelINS1_18TensorListMetadataILi1EEENS1_21BinaryOpScalarFunctorIiLi1ELi1ELi0EEEJNS0_7minimumIiEEiEEEvT_T0_DpT1_, .Lfunc_end109-_ZN2at6native12_GLOBAL__N_125multi_tensor_apply_kernelINS1_18TensorListMetadataILi1EEENS1_21BinaryOpScalarFunctorIiLi1ELi1ELi0EEEJNS0_7minimumIiEEiEEEvT_T0_DpT1_
                                        ; -- End function
	.set _ZN2at6native12_GLOBAL__N_125multi_tensor_apply_kernelINS1_18TensorListMetadataILi1EEENS1_21BinaryOpScalarFunctorIiLi1ELi1ELi0EEEJNS0_7minimumIiEEiEEEvT_T0_DpT1_.num_vgpr, 16
	.set _ZN2at6native12_GLOBAL__N_125multi_tensor_apply_kernelINS1_18TensorListMetadataILi1EEENS1_21BinaryOpScalarFunctorIiLi1ELi1ELi0EEEJNS0_7minimumIiEEiEEEvT_T0_DpT1_.num_agpr, 0
	.set _ZN2at6native12_GLOBAL__N_125multi_tensor_apply_kernelINS1_18TensorListMetadataILi1EEENS1_21BinaryOpScalarFunctorIiLi1ELi1ELi0EEEJNS0_7minimumIiEEiEEEvT_T0_DpT1_.numbered_sgpr, 26
	.set _ZN2at6native12_GLOBAL__N_125multi_tensor_apply_kernelINS1_18TensorListMetadataILi1EEENS1_21BinaryOpScalarFunctorIiLi1ELi1ELi0EEEJNS0_7minimumIiEEiEEEvT_T0_DpT1_.num_named_barrier, 0
	.set _ZN2at6native12_GLOBAL__N_125multi_tensor_apply_kernelINS1_18TensorListMetadataILi1EEENS1_21BinaryOpScalarFunctorIiLi1ELi1ELi0EEEJNS0_7minimumIiEEiEEEvT_T0_DpT1_.private_seg_size, 0
	.set _ZN2at6native12_GLOBAL__N_125multi_tensor_apply_kernelINS1_18TensorListMetadataILi1EEENS1_21BinaryOpScalarFunctorIiLi1ELi1ELi0EEEJNS0_7minimumIiEEiEEEvT_T0_DpT1_.uses_vcc, 1
	.set _ZN2at6native12_GLOBAL__N_125multi_tensor_apply_kernelINS1_18TensorListMetadataILi1EEENS1_21BinaryOpScalarFunctorIiLi1ELi1ELi0EEEJNS0_7minimumIiEEiEEEvT_T0_DpT1_.uses_flat_scratch, 0
	.set _ZN2at6native12_GLOBAL__N_125multi_tensor_apply_kernelINS1_18TensorListMetadataILi1EEENS1_21BinaryOpScalarFunctorIiLi1ELi1ELi0EEEJNS0_7minimumIiEEiEEEvT_T0_DpT1_.has_dyn_sized_stack, 0
	.set _ZN2at6native12_GLOBAL__N_125multi_tensor_apply_kernelINS1_18TensorListMetadataILi1EEENS1_21BinaryOpScalarFunctorIiLi1ELi1ELi0EEEJNS0_7minimumIiEEiEEEvT_T0_DpT1_.has_recursion, 0
	.set _ZN2at6native12_GLOBAL__N_125multi_tensor_apply_kernelINS1_18TensorListMetadataILi1EEENS1_21BinaryOpScalarFunctorIiLi1ELi1ELi0EEEJNS0_7minimumIiEEiEEEvT_T0_DpT1_.has_indirect_call, 0
	.section	.AMDGPU.csdata,"",@progbits
; Kernel info:
; codeLenInByte = 1256
; TotalNumSgprs: 28
; NumVgprs: 16
; ScratchSize: 0
; MemoryBound: 0
; FloatMode: 240
; IeeeMode: 1
; LDSByteSize: 0 bytes/workgroup (compile time only)
; SGPRBlocks: 0
; VGPRBlocks: 1
; NumSGPRsForWavesPerEU: 28
; NumVGPRsForWavesPerEU: 16
; Occupancy: 16
; WaveLimiterHint : 0
; COMPUTE_PGM_RSRC2:SCRATCH_EN: 0
; COMPUTE_PGM_RSRC2:USER_SGPR: 2
; COMPUTE_PGM_RSRC2:TRAP_HANDLER: 0
; COMPUTE_PGM_RSRC2:TGID_X_EN: 1
; COMPUTE_PGM_RSRC2:TGID_Y_EN: 0
; COMPUTE_PGM_RSRC2:TGID_Z_EN: 0
; COMPUTE_PGM_RSRC2:TIDIG_COMP_CNT: 0
	.section	.text._ZN2at6native12_GLOBAL__N_125multi_tensor_apply_kernelINS1_18TensorListMetadataILi1EEENS1_21BinaryOpScalarFunctorIlLi1ELi1ELi0EEEJNS0_7minimumIlEElEEEvT_T0_DpT1_,"axG",@progbits,_ZN2at6native12_GLOBAL__N_125multi_tensor_apply_kernelINS1_18TensorListMetadataILi1EEENS1_21BinaryOpScalarFunctorIlLi1ELi1ELi0EEEJNS0_7minimumIlEElEEEvT_T0_DpT1_,comdat
	.globl	_ZN2at6native12_GLOBAL__N_125multi_tensor_apply_kernelINS1_18TensorListMetadataILi1EEENS1_21BinaryOpScalarFunctorIlLi1ELi1ELi0EEEJNS0_7minimumIlEElEEEvT_T0_DpT1_ ; -- Begin function _ZN2at6native12_GLOBAL__N_125multi_tensor_apply_kernelINS1_18TensorListMetadataILi1EEENS1_21BinaryOpScalarFunctorIlLi1ELi1ELi0EEEJNS0_7minimumIlEElEEEvT_T0_DpT1_
	.p2align	8
	.type	_ZN2at6native12_GLOBAL__N_125multi_tensor_apply_kernelINS1_18TensorListMetadataILi1EEENS1_21BinaryOpScalarFunctorIlLi1ELi1ELi0EEEJNS0_7minimumIlEElEEEvT_T0_DpT1_,@function
_ZN2at6native12_GLOBAL__N_125multi_tensor_apply_kernelINS1_18TensorListMetadataILi1EEENS1_21BinaryOpScalarFunctorIlLi1ELi1ELi0EEEJNS0_7minimumIlEElEEEvT_T0_DpT1_: ; @_ZN2at6native12_GLOBAL__N_125multi_tensor_apply_kernelINS1_18TensorListMetadataILi1EEENS1_21BinaryOpScalarFunctorIlLi1ELi1ELi0EEEJNS0_7minimumIlEElEEEvT_T0_DpT1_
; %bb.0:
	s_load_u8 s8, s[0:1], ttmp9 offset:0x6e0
	s_mov_b32 s2, ttmp9
	s_mov_b32 s3, 0
	s_delay_alu instid0(SALU_CYCLE_1)
	s_mul_u64 s[4:5], s[2:3], 3
	s_add_nc_u64 s[6:7], s[0:1], s[2:3]
	s_mov_b32 s15, s3
	s_add_nc_u64 s[4:5], s[6:7], s[4:5]
	s_load_b32 s4, s[4:5], 0x820
	s_wait_kmcnt 0x0
	s_lshl_b32 s2, s8, 3
	s_clause 0x2
	s_load_b64 s[8:9], s[0:1], s2 offset:0x0
	s_load_b64 s[12:13], s[0:1], s2 offset:0x370
	s_load_b64 s[6:7], s[0:1], 0xd30
	s_ashr_i32 s5, s4, 31
	s_delay_alu instid0(SALU_CYCLE_1)
	s_lshl_b64 s[10:11], s[4:5], 19
	s_lshl_b64 s[4:5], s[4:5], 16
	s_wait_kmcnt 0x0
	s_and_b32 s2, s8, 31
	s_and_b32 s14, s12, 3
	s_sub_nc_u64 s[12:13], s[12:13], s[4:5]
	s_or_b64 s[2:3], s[2:3], s[14:15]
	s_delay_alu instid0(SALU_CYCLE_1)
	s_cmp_eq_u64 s[2:3], 0
	s_cbranch_scc1 .LBB110_21
; %bb.1:
	v_cmp_lt_i64_e64 s2, s[12:13], 1
	s_and_b32 vcc_lo, exec_lo, s2
	s_cbranch_vccnz .LBB110_20
; %bb.2:
	s_load_b32 s2, s[0:1], 0xd44
	v_cmp_gt_i64_e64 s14, 0x10000, s[12:13]
	v_lshlrev_b32_e32 v1, 3, v0
	s_add_nc_u64 s[4:5], s[8:9], s[10:11]
	s_mov_b32 s3, 0
	v_cmp_gt_u64_e64 s18, 0x10000, s[12:13]
	s_mov_b32 s15, s3
	v_add_co_u32 v1, s16, s4, v1
	s_and_b32 s14, s14, exec_lo
	v_add_co_ci_u32_e64 v2, null, s5, 0, s16
	s_cselect_b32 s17, s13, 0
	s_cselect_b32 s16, s12, 0x10000
	s_wait_kmcnt 0x0
	s_and_b32 s2, s2, 0xffff
	s_and_b32 s14, s18, exec_lo
	s_mul_u64 s[20:21], s[2:3], 24
	v_add_co_u32 v13, s3, v0, s2
	s_cselect_b32 s19, s13, 0
	s_cselect_b32 s18, s12, 0x10000
	s_lshl_b32 s22, s2, 1
	v_lshlrev_b32_e32 v3, 3, v13
	s_mul_i32 s23, s2, 3
	v_add_co_ci_u32_e64 v16, null, 0, 0, s3
	v_add_co_u32 v17, s3, s22, v0
	v_add_co_u32 v14, s23, s23, v0
	s_wait_alu 0xf1ff
	v_add_co_ci_u32_e64 v18, null, 0, 0, s3
	v_add_co_u32 v3, s3, s4, v3
	v_add_co_ci_u32_e64 v15, null, 0, 0, s23
	s_wait_alu 0xf1ff
	v_add_co_ci_u32_e64 v4, null, s5, 0, s3
	s_lshl_b32 s14, s2, 2
	s_lshl_b32 s24, s2, 5
	s_lshl_b32 s25, s2, 4
	s_mov_b64 s[22:23], 0
	s_branch .LBB110_4
.LBB110_3:                              ;   in Loop: Header=BB110_4 Depth=1
	s_wait_alu 0xfffe
	s_or_b32 exec_lo, exec_lo, s2
	s_add_nc_u64 s[22:23], s[22:23], s[14:15]
	v_add_co_u32 v1, vcc_lo, v1, s24
	s_wait_alu 0xfffe
	v_cmp_lt_i64_e64 s2, s[22:23], s[16:17]
	s_wait_alu 0xfffd
	v_add_co_ci_u32_e64 v2, null, 0, v2, vcc_lo
	v_add_co_u32 v3, vcc_lo, v3, s24
	s_wait_alu 0xfffd
	v_add_co_ci_u32_e64 v4, null, 0, v4, vcc_lo
	s_and_b32 vcc_lo, exec_lo, s2
	s_wait_alu 0xfffe
	s_cbranch_vccz .LBB110_20
.LBB110_4:                              ; =>This Inner Loop Header: Depth=1
	s_wait_loadcnt 0x0
	s_wait_alu 0xfffe
	v_add_co_u32 v7, s2, v0, s22
	s_wait_alu 0xf1ff
	v_add_co_ci_u32_e64 v8, null, 0, s23, s2
	v_mov_b32_e32 v5, 0
	v_dual_mov_b32 v6, 0 :: v_dual_mov_b32 v9, 0
	s_delay_alu instid0(VALU_DEP_3)
	v_cmp_gt_u64_e32 vcc_lo, s[18:19], v[7:8]
	v_mov_b32_e32 v10, 0
	s_and_saveexec_b32 s2, vcc_lo
	s_cbranch_execz .LBB110_6
; %bb.5:                                ;   in Loop: Header=BB110_4 Depth=1
	global_load_b64 v[9:10], v[1:2], off
.LBB110_6:                              ;   in Loop: Header=BB110_4 Depth=1
	s_wait_alu 0xfffe
	s_or_b32 exec_lo, exec_lo, s2
	v_add_co_u32 v7, s2, v13, s22
	s_wait_alu 0xf1ff
	v_add_co_ci_u32_e64 v8, null, s23, v16, s2
	s_delay_alu instid0(VALU_DEP_1)
	v_cmp_gt_u64_e64 s2, s[18:19], v[7:8]
	s_and_saveexec_b32 s3, s2
	s_cbranch_execz .LBB110_8
; %bb.7:                                ;   in Loop: Header=BB110_4 Depth=1
	global_load_b64 v[5:6], v[3:4], off
.LBB110_8:                              ;   in Loop: Header=BB110_4 Depth=1
	s_wait_alu 0xfffe
	s_or_b32 exec_lo, exec_lo, s3
	v_add_co_u32 v11, s3, v17, s22
	s_wait_alu 0xf1ff
	v_add_co_ci_u32_e64 v12, null, s23, v18, s3
	v_mov_b32_e32 v7, 0
	v_mov_b32_e32 v8, 0
	s_delay_alu instid0(VALU_DEP_3)
	v_cmp_gt_u64_e64 s3, s[18:19], v[11:12]
	v_mov_b32_e32 v11, 0
	v_mov_b32_e32 v12, 0
	s_and_saveexec_b32 s5, s3
	s_cbranch_execz .LBB110_10
; %bb.9:                                ;   in Loop: Header=BB110_4 Depth=1
	v_add_co_u32 v11, s4, v1, s25
	s_wait_alu 0xf1ff
	v_add_co_ci_u32_e64 v12, null, 0, v2, s4
	global_load_b64 v[11:12], v[11:12], off
.LBB110_10:                             ;   in Loop: Header=BB110_4 Depth=1
	s_wait_alu 0xfffe
	s_or_b32 exec_lo, exec_lo, s5
	v_add_co_u32 v19, s4, v14, s22
	s_wait_alu 0xf1ff
	v_add_co_ci_u32_e64 v20, null, s23, v15, s4
	s_delay_alu instid0(VALU_DEP_1)
	v_cmp_gt_u64_e64 s4, s[18:19], v[19:20]
	s_and_saveexec_b32 s26, s4
	s_cbranch_execnz .LBB110_15
; %bb.11:                               ;   in Loop: Header=BB110_4 Depth=1
	s_or_b32 exec_lo, exec_lo, s26
	s_and_saveexec_b32 s5, vcc_lo
	s_cbranch_execnz .LBB110_16
.LBB110_12:                             ;   in Loop: Header=BB110_4 Depth=1
	s_wait_alu 0xfffe
	s_or_b32 exec_lo, exec_lo, s5
	s_and_saveexec_b32 s5, s2
	s_cbranch_execnz .LBB110_17
.LBB110_13:                             ;   in Loop: Header=BB110_4 Depth=1
	s_wait_alu 0xfffe
	s_or_b32 exec_lo, exec_lo, s5
	s_and_saveexec_b32 s2, s3
	s_cbranch_execnz .LBB110_18
.LBB110_14:                             ;   in Loop: Header=BB110_4 Depth=1
	s_wait_alu 0xfffe
	s_or_b32 exec_lo, exec_lo, s2
	s_and_saveexec_b32 s2, s4
	s_cbranch_execz .LBB110_3
	s_branch .LBB110_19
.LBB110_15:                             ;   in Loop: Header=BB110_4 Depth=1
	v_add_co_u32 v7, s5, v1, s20
	s_wait_alu 0xf1ff
	v_add_co_ci_u32_e64 v8, null, s21, v2, s5
	global_load_b64 v[7:8], v[7:8], off
	s_or_b32 exec_lo, exec_lo, s26
	s_and_saveexec_b32 s5, vcc_lo
	s_cbranch_execz .LBB110_12
.LBB110_16:                             ;   in Loop: Header=BB110_4 Depth=1
	s_wait_loadcnt 0x0
	v_cmp_gt_i64_e32 vcc_lo, s[6:7], v[9:10]
	s_wait_alu 0xfffd
	v_cndmask_b32_e32 v10, s7, v10, vcc_lo
	v_cndmask_b32_e32 v9, s6, v9, vcc_lo
	global_store_b64 v[1:2], v[9:10], off
	s_wait_alu 0xfffe
	s_or_b32 exec_lo, exec_lo, s5
	s_and_saveexec_b32 s5, s2
	s_cbranch_execz .LBB110_13
.LBB110_17:                             ;   in Loop: Header=BB110_4 Depth=1
	s_wait_loadcnt 0x0
	v_cmp_gt_i64_e32 vcc_lo, s[6:7], v[5:6]
	s_wait_alu 0xfffd
	v_cndmask_b32_e32 v6, s7, v6, vcc_lo
	v_cndmask_b32_e32 v5, s6, v5, vcc_lo
	global_store_b64 v[3:4], v[5:6], off
	s_wait_alu 0xfffe
	s_or_b32 exec_lo, exec_lo, s5
	s_and_saveexec_b32 s2, s3
	s_cbranch_execz .LBB110_14
.LBB110_18:                             ;   in Loop: Header=BB110_4 Depth=1
	s_wait_loadcnt 0x0
	v_cmp_gt_i64_e32 vcc_lo, s[6:7], v[11:12]
	s_wait_alu 0xfffd
	v_cndmask_b32_e32 v6, s7, v12, vcc_lo
	v_cndmask_b32_e32 v5, s6, v11, vcc_lo
	v_add_co_u32 v9, vcc_lo, v1, s25
	s_wait_alu 0xfffd
	v_add_co_ci_u32_e64 v10, null, 0, v2, vcc_lo
	global_store_b64 v[9:10], v[5:6], off
	s_wait_alu 0xfffe
	s_or_b32 exec_lo, exec_lo, s2
	s_and_saveexec_b32 s2, s4
	s_cbranch_execz .LBB110_3
.LBB110_19:                             ;   in Loop: Header=BB110_4 Depth=1
	s_wait_loadcnt 0x0
	v_cmp_gt_i64_e32 vcc_lo, s[6:7], v[7:8]
	s_wait_alu 0xfffd
	v_cndmask_b32_e32 v6, s7, v8, vcc_lo
	v_cndmask_b32_e32 v5, s6, v7, vcc_lo
	v_add_co_u32 v7, vcc_lo, v1, s20
	s_wait_alu 0xfffd
	v_add_co_ci_u32_e64 v8, null, s21, v2, vcc_lo
	global_store_b64 v[7:8], v[5:6], off
	s_branch .LBB110_3
.LBB110_20:
	s_cbranch_execz .LBB110_22
	s_branch .LBB110_25
.LBB110_21:
.LBB110_22:
	v_cmp_gt_i64_e64 s2, 0x10000, s[12:13]
	v_dual_mov_b32 v2, 0 :: v_dual_lshlrev_b32 v1, 2, v0
	s_mov_b32 s3, 0
	s_and_b32 s2, s2, exec_lo
	s_cselect_b32 s5, s13, 0
	s_cselect_b32 s4, s12, 0x10000
	s_mov_b32 s2, exec_lo
	s_wait_alu 0xfffe
	v_cmpx_gt_i64_e64 s[4:5], v[1:2]
	s_cbranch_execz .LBB110_25
; %bb.23:
	s_load_b32 s2, s[0:1], 0xd44
	v_lshlrev_b32_e32 v1, 5, v0
	s_add_nc_u64 s[0:1], s[8:9], s[10:11]
	s_delay_alu instid0(VALU_DEP_1) | instid1(SALU_CYCLE_1)
	v_add_co_u32 v3, s0, s0, v1
	s_wait_alu 0xf1ff
	v_add_co_ci_u32_e64 v4, null, s1, 0, s0
	v_mov_b32_e32 v1, v2
	s_delay_alu instid0(VALU_DEP_3) | instskip(SKIP_1) | instid1(VALU_DEP_3)
	v_add_co_u32 v2, vcc_lo, v3, 16
	s_wait_alu 0xfffd
	v_add_co_ci_u32_e64 v3, null, 0, v4, vcc_lo
	s_wait_kmcnt 0x0
	s_and_b32 s8, s2, 0xffff
	s_delay_alu instid0(SALU_CYCLE_1)
	s_lshl_b32 s9, s8, 5
.LBB110_24:                             ; =>This Inner Loop Header: Depth=1
	s_wait_loadcnt 0x0
	s_clause 0x1
	global_load_b128 v[4:7], v[2:3], off offset:-16
	global_load_b128 v[8:11], v[2:3], off
	v_add_co_u32 v0, vcc_lo, v0, s8
	s_wait_alu 0xfffd
	v_add_co_ci_u32_e64 v1, null, 0, v1, vcc_lo
	s_delay_alu instid0(VALU_DEP_1)
	v_lshlrev_b64_e32 v[12:13], 2, v[0:1]
	s_wait_loadcnt 0x1
	v_cmp_gt_i64_e32 vcc_lo, s[6:7], v[4:5]
	v_cmp_gt_i64_e64 s0, s[6:7], v[6:7]
	s_wait_loadcnt 0x0
	v_cmp_gt_i64_e64 s1, s[6:7], v[8:9]
	v_cmp_gt_i64_e64 s2, s[6:7], v[10:11]
	s_wait_alu 0xfffd
	v_cndmask_b32_e32 v5, s7, v5, vcc_lo
	s_wait_alu 0xf1ff
	v_cndmask_b32_e64 v7, s7, v7, s0
	v_cndmask_b32_e32 v4, s6, v4, vcc_lo
	v_cndmask_b32_e64 v6, s6, v6, s0
	v_cndmask_b32_e64 v9, s7, v9, s1
	;; [unrolled: 1-line block ×5, first 2 shown]
	v_cmp_le_i64_e32 vcc_lo, s[4:5], v[12:13]
	s_clause 0x1
	global_store_b128 v[2:3], v[4:7], off offset:-16
	global_store_b128 v[2:3], v[8:11], off
	v_add_co_u32 v2, s0, v2, s9
	s_wait_alu 0xf1ff
	v_add_co_ci_u32_e64 v3, null, 0, v3, s0
	s_or_b32 s3, vcc_lo, s3
	s_wait_alu 0xfffe
	s_and_not1_b32 exec_lo, exec_lo, s3
	s_cbranch_execnz .LBB110_24
.LBB110_25:
	s_endpgm
	.section	.rodata,"a",@progbits
	.p2align	6, 0x0
	.amdhsa_kernel _ZN2at6native12_GLOBAL__N_125multi_tensor_apply_kernelINS1_18TensorListMetadataILi1EEENS1_21BinaryOpScalarFunctorIlLi1ELi1ELi0EEEJNS0_7minimumIlEElEEEvT_T0_DpT1_
		.amdhsa_group_segment_fixed_size 0
		.amdhsa_private_segment_fixed_size 0
		.amdhsa_kernarg_size 3640
		.amdhsa_user_sgpr_count 2
		.amdhsa_user_sgpr_dispatch_ptr 0
		.amdhsa_user_sgpr_queue_ptr 0
		.amdhsa_user_sgpr_kernarg_segment_ptr 1
		.amdhsa_user_sgpr_dispatch_id 0
		.amdhsa_user_sgpr_private_segment_size 0
		.amdhsa_wavefront_size32 1
		.amdhsa_uses_dynamic_stack 0
		.amdhsa_enable_private_segment 0
		.amdhsa_system_sgpr_workgroup_id_x 1
		.amdhsa_system_sgpr_workgroup_id_y 0
		.amdhsa_system_sgpr_workgroup_id_z 0
		.amdhsa_system_sgpr_workgroup_info 0
		.amdhsa_system_vgpr_workitem_id 0
		.amdhsa_next_free_vgpr 21
		.amdhsa_next_free_sgpr 27
		.amdhsa_reserve_vcc 1
		.amdhsa_float_round_mode_32 0
		.amdhsa_float_round_mode_16_64 0
		.amdhsa_float_denorm_mode_32 3
		.amdhsa_float_denorm_mode_16_64 3
		.amdhsa_fp16_overflow 0
		.amdhsa_workgroup_processor_mode 1
		.amdhsa_memory_ordered 1
		.amdhsa_forward_progress 1
		.amdhsa_inst_pref_size 12
		.amdhsa_round_robin_scheduling 0
		.amdhsa_exception_fp_ieee_invalid_op 0
		.amdhsa_exception_fp_denorm_src 0
		.amdhsa_exception_fp_ieee_div_zero 0
		.amdhsa_exception_fp_ieee_overflow 0
		.amdhsa_exception_fp_ieee_underflow 0
		.amdhsa_exception_fp_ieee_inexact 0
		.amdhsa_exception_int_div_zero 0
	.end_amdhsa_kernel
	.section	.text._ZN2at6native12_GLOBAL__N_125multi_tensor_apply_kernelINS1_18TensorListMetadataILi1EEENS1_21BinaryOpScalarFunctorIlLi1ELi1ELi0EEEJNS0_7minimumIlEElEEEvT_T0_DpT1_,"axG",@progbits,_ZN2at6native12_GLOBAL__N_125multi_tensor_apply_kernelINS1_18TensorListMetadataILi1EEENS1_21BinaryOpScalarFunctorIlLi1ELi1ELi0EEEJNS0_7minimumIlEElEEEvT_T0_DpT1_,comdat
.Lfunc_end110:
	.size	_ZN2at6native12_GLOBAL__N_125multi_tensor_apply_kernelINS1_18TensorListMetadataILi1EEENS1_21BinaryOpScalarFunctorIlLi1ELi1ELi0EEEJNS0_7minimumIlEElEEEvT_T0_DpT1_, .Lfunc_end110-_ZN2at6native12_GLOBAL__N_125multi_tensor_apply_kernelINS1_18TensorListMetadataILi1EEENS1_21BinaryOpScalarFunctorIlLi1ELi1ELi0EEEJNS0_7minimumIlEElEEEvT_T0_DpT1_
                                        ; -- End function
	.set _ZN2at6native12_GLOBAL__N_125multi_tensor_apply_kernelINS1_18TensorListMetadataILi1EEENS1_21BinaryOpScalarFunctorIlLi1ELi1ELi0EEEJNS0_7minimumIlEElEEEvT_T0_DpT1_.num_vgpr, 21
	.set _ZN2at6native12_GLOBAL__N_125multi_tensor_apply_kernelINS1_18TensorListMetadataILi1EEENS1_21BinaryOpScalarFunctorIlLi1ELi1ELi0EEEJNS0_7minimumIlEElEEEvT_T0_DpT1_.num_agpr, 0
	.set _ZN2at6native12_GLOBAL__N_125multi_tensor_apply_kernelINS1_18TensorListMetadataILi1EEENS1_21BinaryOpScalarFunctorIlLi1ELi1ELi0EEEJNS0_7minimumIlEElEEEvT_T0_DpT1_.numbered_sgpr, 27
	.set _ZN2at6native12_GLOBAL__N_125multi_tensor_apply_kernelINS1_18TensorListMetadataILi1EEENS1_21BinaryOpScalarFunctorIlLi1ELi1ELi0EEEJNS0_7minimumIlEElEEEvT_T0_DpT1_.num_named_barrier, 0
	.set _ZN2at6native12_GLOBAL__N_125multi_tensor_apply_kernelINS1_18TensorListMetadataILi1EEENS1_21BinaryOpScalarFunctorIlLi1ELi1ELi0EEEJNS0_7minimumIlEElEEEvT_T0_DpT1_.private_seg_size, 0
	.set _ZN2at6native12_GLOBAL__N_125multi_tensor_apply_kernelINS1_18TensorListMetadataILi1EEENS1_21BinaryOpScalarFunctorIlLi1ELi1ELi0EEEJNS0_7minimumIlEElEEEvT_T0_DpT1_.uses_vcc, 1
	.set _ZN2at6native12_GLOBAL__N_125multi_tensor_apply_kernelINS1_18TensorListMetadataILi1EEENS1_21BinaryOpScalarFunctorIlLi1ELi1ELi0EEEJNS0_7minimumIlEElEEEvT_T0_DpT1_.uses_flat_scratch, 0
	.set _ZN2at6native12_GLOBAL__N_125multi_tensor_apply_kernelINS1_18TensorListMetadataILi1EEENS1_21BinaryOpScalarFunctorIlLi1ELi1ELi0EEEJNS0_7minimumIlEElEEEvT_T0_DpT1_.has_dyn_sized_stack, 0
	.set _ZN2at6native12_GLOBAL__N_125multi_tensor_apply_kernelINS1_18TensorListMetadataILi1EEENS1_21BinaryOpScalarFunctorIlLi1ELi1ELi0EEEJNS0_7minimumIlEElEEEvT_T0_DpT1_.has_recursion, 0
	.set _ZN2at6native12_GLOBAL__N_125multi_tensor_apply_kernelINS1_18TensorListMetadataILi1EEENS1_21BinaryOpScalarFunctorIlLi1ELi1ELi0EEEJNS0_7minimumIlEElEEEvT_T0_DpT1_.has_indirect_call, 0
	.section	.AMDGPU.csdata,"",@progbits
; Kernel info:
; codeLenInByte = 1428
; TotalNumSgprs: 29
; NumVgprs: 21
; ScratchSize: 0
; MemoryBound: 0
; FloatMode: 240
; IeeeMode: 1
; LDSByteSize: 0 bytes/workgroup (compile time only)
; SGPRBlocks: 0
; VGPRBlocks: 2
; NumSGPRsForWavesPerEU: 29
; NumVGPRsForWavesPerEU: 21
; Occupancy: 16
; WaveLimiterHint : 0
; COMPUTE_PGM_RSRC2:SCRATCH_EN: 0
; COMPUTE_PGM_RSRC2:USER_SGPR: 2
; COMPUTE_PGM_RSRC2:TRAP_HANDLER: 0
; COMPUTE_PGM_RSRC2:TGID_X_EN: 1
; COMPUTE_PGM_RSRC2:TGID_Y_EN: 0
; COMPUTE_PGM_RSRC2:TGID_Z_EN: 0
; COMPUTE_PGM_RSRC2:TIDIG_COMP_CNT: 0
	.section	.text._ZN2at6native12_GLOBAL__N_125multi_tensor_apply_kernelINS1_18TensorListMetadataILi1EEENS1_21BinaryOpScalarFunctorIsLi1ELi1ELi0EEEJNS0_7minimumIsEEsEEEvT_T0_DpT1_,"axG",@progbits,_ZN2at6native12_GLOBAL__N_125multi_tensor_apply_kernelINS1_18TensorListMetadataILi1EEENS1_21BinaryOpScalarFunctorIsLi1ELi1ELi0EEEJNS0_7minimumIsEEsEEEvT_T0_DpT1_,comdat
	.globl	_ZN2at6native12_GLOBAL__N_125multi_tensor_apply_kernelINS1_18TensorListMetadataILi1EEENS1_21BinaryOpScalarFunctorIsLi1ELi1ELi0EEEJNS0_7minimumIsEEsEEEvT_T0_DpT1_ ; -- Begin function _ZN2at6native12_GLOBAL__N_125multi_tensor_apply_kernelINS1_18TensorListMetadataILi1EEENS1_21BinaryOpScalarFunctorIsLi1ELi1ELi0EEEJNS0_7minimumIsEEsEEEvT_T0_DpT1_
	.p2align	8
	.type	_ZN2at6native12_GLOBAL__N_125multi_tensor_apply_kernelINS1_18TensorListMetadataILi1EEENS1_21BinaryOpScalarFunctorIsLi1ELi1ELi0EEEJNS0_7minimumIsEEsEEEvT_T0_DpT1_,@function
_ZN2at6native12_GLOBAL__N_125multi_tensor_apply_kernelINS1_18TensorListMetadataILi1EEENS1_21BinaryOpScalarFunctorIsLi1ELi1ELi0EEEJNS0_7minimumIsEEsEEEvT_T0_DpT1_: ; @_ZN2at6native12_GLOBAL__N_125multi_tensor_apply_kernelINS1_18TensorListMetadataILi1EEENS1_21BinaryOpScalarFunctorIsLi1ELi1ELi0EEEJNS0_7minimumIsEEsEEEvT_T0_DpT1_
; %bb.0:
	s_load_u8 s8, s[0:1], ttmp9 offset:0x6e0
	s_mov_b32 s2, ttmp9
	s_mov_b32 s3, 0
	s_delay_alu instid0(SALU_CYCLE_1)
	s_mul_u64 s[4:5], s[2:3], 3
	s_add_nc_u64 s[6:7], s[0:1], s[2:3]
	s_mov_b32 s13, s3
	s_add_nc_u64 s[4:5], s[6:7], s[4:5]
	s_load_b32 s4, s[4:5], 0x820
	s_wait_kmcnt 0x0
	s_lshl_b32 s2, s8, 3
	s_clause 0x2
	s_load_b32 s5, s[0:1], 0xd28
	s_load_b64 s[6:7], s[0:1], s2 offset:0x0
	s_load_b64 s[10:11], s[0:1], s2 offset:0x370
	s_wait_kmcnt 0x0
	s_lshr_b32 s22, s5, 16
	s_ashr_i32 s5, s4, 31
	s_and_b32 s2, s6, 7
	s_and_b32 s12, s10, 3
	s_lshl_b64 s[8:9], s[4:5], 17
	s_or_b64 s[2:3], s[2:3], s[12:13]
	s_lshl_b64 s[4:5], s[4:5], 16
	s_cmp_eq_u64 s[2:3], 0
	s_sub_nc_u64 s[10:11], s[10:11], s[4:5]
	s_cbranch_scc1 .LBB111_21
; %bb.1:
	v_cmp_lt_i64_e64 s2, s[10:11], 1
	s_and_b32 vcc_lo, exec_lo, s2
	s_cbranch_vccnz .LBB111_20
; %bb.2:
	s_load_b32 s2, s[0:1], 0xd3c
	v_cmp_gt_i64_e64 s12, 0x10000, s[10:11]
	v_lshlrev_b32_e32 v1, 1, v0
	s_add_nc_u64 s[4:5], s[6:7], s[8:9]
	v_cmp_gt_u64_e64 s14, 0x10000, s[10:11]
	s_mov_b32 s3, 0
	v_add_co_u32 v1, s13, s4, v1
	s_and_b32 s12, s12, exec_lo
	v_add_co_ci_u32_e64 v2, null, s5, 0, s13
	s_cselect_b32 s13, s11, 0
	s_cselect_b32 s12, s10, 0x10000
	s_wait_kmcnt 0x0
	s_and_b32 s2, s2, 0xffff
	s_and_b32 s14, s14, exec_lo
	v_add_co_u32 v5, s21, v0, s2
	s_cselect_b32 s15, s11, 0
	s_cselect_b32 s14, s10, 0x10000
	s_lshl_b32 s17, s2, 1
	v_lshlrev_b32_e32 v3, 1, v5
	s_mul_i32 s20, s2, 3
	v_add_co_u32 v9, s17, s17, v0
	v_add_co_u32 v6, s20, s20, v0
	s_delay_alu instid0(VALU_DEP_3)
	v_add_co_u32 v3, s4, s4, v3
	s_wait_alu 0xf1ff
	v_add_co_ci_u32_e64 v7, null, 0, 0, s20
	v_add_co_ci_u32_e64 v8, null, 0, 0, s21
	;; [unrolled: 1-line block ×4, first 2 shown]
	s_lshl_b32 s16, s2, 2
	s_mul_u64 s[18:19], s[2:3], 6
	s_mov_b32 s17, s3
	s_lshl_b32 s23, s2, 3
	s_mov_b64 s[20:21], 0
	s_branch .LBB111_4
.LBB111_3:                              ;   in Loop: Header=BB111_4 Depth=1
	s_wait_alu 0xfffe
	s_or_b32 exec_lo, exec_lo, s2
	s_add_nc_u64 s[20:21], s[20:21], s[16:17]
	v_add_co_u32 v1, vcc_lo, v1, s23
	s_wait_alu 0xfffe
	v_cmp_lt_i64_e64 s2, s[20:21], s[12:13]
	s_wait_alu 0xfffd
	v_add_co_ci_u32_e64 v2, null, 0, v2, vcc_lo
	v_add_co_u32 v3, vcc_lo, v3, s23
	s_wait_alu 0xfffd
	v_add_co_ci_u32_e64 v4, null, 0, v4, vcc_lo
	s_and_b32 vcc_lo, exec_lo, s2
	s_wait_alu 0xfffe
	s_cbranch_vccz .LBB111_20
.LBB111_4:                              ; =>This Inner Loop Header: Depth=1
	s_wait_loadcnt 0x0
	s_wait_alu 0xfffe
	v_add_co_u32 v11, s2, v0, s20
	s_wait_alu 0xf1ff
	v_add_co_ci_u32_e64 v12, null, 0, s21, s2
	s_delay_alu instid0(VALU_DEP_1)
	v_cmp_gt_u64_e32 vcc_lo, s[14:15], v[11:12]
	v_mov_b32_e32 v11, 0
	s_and_saveexec_b32 s2, vcc_lo
	s_cbranch_execz .LBB111_6
; %bb.5:                                ;   in Loop: Header=BB111_4 Depth=1
	global_load_u16 v11, v[1:2], off
.LBB111_6:                              ;   in Loop: Header=BB111_4 Depth=1
	s_wait_alu 0xfffe
	s_or_b32 exec_lo, exec_lo, s2
	v_add_co_u32 v12, s2, v5, s20
	s_wait_alu 0xf1ff
	v_add_co_ci_u32_e64 v13, null, s21, v8, s2
	s_delay_alu instid0(VALU_DEP_1)
	v_cmp_gt_u64_e64 s2, s[14:15], v[12:13]
	v_dual_mov_b32 v12, 0 :: v_dual_mov_b32 v13, 0
	s_and_saveexec_b32 s3, s2
	s_cbranch_execz .LBB111_8
; %bb.7:                                ;   in Loop: Header=BB111_4 Depth=1
	global_load_u16 v13, v[3:4], off
.LBB111_8:                              ;   in Loop: Header=BB111_4 Depth=1
	s_wait_alu 0xfffe
	s_or_b32 exec_lo, exec_lo, s3
	v_add_co_u32 v14, s3, v9, s20
	s_wait_alu 0xf1ff
	v_add_co_ci_u32_e64 v15, null, s21, v10, s3
	s_delay_alu instid0(VALU_DEP_1)
	v_cmp_gt_u64_e64 s3, s[14:15], v[14:15]
	s_and_saveexec_b32 s5, s3
	s_cbranch_execz .LBB111_10
; %bb.9:                                ;   in Loop: Header=BB111_4 Depth=1
	v_add_co_u32 v14, s4, v1, s16
	s_wait_alu 0xf1ff
	v_add_co_ci_u32_e64 v15, null, 0, v2, s4
	global_load_u16 v12, v[14:15], off
.LBB111_10:                             ;   in Loop: Header=BB111_4 Depth=1
	s_wait_alu 0xfffe
	s_or_b32 exec_lo, exec_lo, s5
	v_add_co_u32 v14, s4, v6, s20
	s_wait_alu 0xf1ff
	v_add_co_ci_u32_e64 v15, null, s21, v7, s4
	s_delay_alu instid0(VALU_DEP_1)
	v_cmp_gt_u64_e64 s4, s[14:15], v[14:15]
	v_mov_b32_e32 v14, 0
	s_and_saveexec_b32 s24, s4
	s_cbranch_execnz .LBB111_15
; %bb.11:                               ;   in Loop: Header=BB111_4 Depth=1
	s_or_b32 exec_lo, exec_lo, s24
	s_and_saveexec_b32 s5, vcc_lo
	s_cbranch_execnz .LBB111_16
.LBB111_12:                             ;   in Loop: Header=BB111_4 Depth=1
	s_wait_alu 0xfffe
	s_or_b32 exec_lo, exec_lo, s5
	s_and_saveexec_b32 s5, s2
	s_cbranch_execnz .LBB111_17
.LBB111_13:                             ;   in Loop: Header=BB111_4 Depth=1
	s_wait_alu 0xfffe
	s_or_b32 exec_lo, exec_lo, s5
	s_and_saveexec_b32 s2, s3
	s_cbranch_execnz .LBB111_18
.LBB111_14:                             ;   in Loop: Header=BB111_4 Depth=1
	s_wait_alu 0xfffe
	s_or_b32 exec_lo, exec_lo, s2
	s_and_saveexec_b32 s2, s4
	s_cbranch_execz .LBB111_3
	s_branch .LBB111_19
.LBB111_15:                             ;   in Loop: Header=BB111_4 Depth=1
	v_add_co_u32 v14, s5, v1, s18
	s_wait_alu 0xf1ff
	v_add_co_ci_u32_e64 v15, null, s19, v2, s5
	global_load_u16 v14, v[14:15], off
	s_or_b32 exec_lo, exec_lo, s24
	s_and_saveexec_b32 s5, vcc_lo
	s_cbranch_execz .LBB111_12
.LBB111_16:                             ;   in Loop: Header=BB111_4 Depth=1
	s_wait_loadcnt 0x0
	v_min_i16 v11, v11, s22
	global_store_b16 v[1:2], v11, off
	s_wait_alu 0xfffe
	s_or_b32 exec_lo, exec_lo, s5
	s_and_saveexec_b32 s5, s2
	s_cbranch_execz .LBB111_13
.LBB111_17:                             ;   in Loop: Header=BB111_4 Depth=1
	s_wait_loadcnt 0x0
	v_min_i16 v11, v13, s22
	global_store_b16 v[3:4], v11, off
	s_wait_alu 0xfffe
	s_or_b32 exec_lo, exec_lo, s5
	s_and_saveexec_b32 s2, s3
	s_cbranch_execz .LBB111_14
.LBB111_18:                             ;   in Loop: Header=BB111_4 Depth=1
	s_wait_loadcnt 0x0
	v_add_co_u32 v11, vcc_lo, v1, s16
	v_min_i16 v13, v12, s22
	s_wait_alu 0xfffd
	v_add_co_ci_u32_e64 v12, null, 0, v2, vcc_lo
	global_store_b16 v[11:12], v13, off
	s_wait_alu 0xfffe
	s_or_b32 exec_lo, exec_lo, s2
	s_and_saveexec_b32 s2, s4
	s_cbranch_execz .LBB111_3
.LBB111_19:                             ;   in Loop: Header=BB111_4 Depth=1
	s_wait_loadcnt 0x0
	v_add_co_u32 v11, vcc_lo, v1, s18
	v_min_i16 v13, v14, s22
	s_wait_alu 0xfffd
	v_add_co_ci_u32_e64 v12, null, s19, v2, vcc_lo
	global_store_b16 v[11:12], v13, off
	s_branch .LBB111_3
.LBB111_20:
	s_cbranch_execz .LBB111_22
	s_branch .LBB111_25
.LBB111_21:
.LBB111_22:
	v_cmp_gt_i64_e64 s2, 0x10000, s[10:11]
	v_dual_mov_b32 v2, 0 :: v_dual_lshlrev_b32 v1, 2, v0
	s_mov_b32 s4, 0
	s_mov_b32 s5, exec_lo
	s_and_b32 s2, s2, exec_lo
	s_cselect_b32 s3, s11, 0
	s_cselect_b32 s2, s10, 0x10000
	s_wait_alu 0xfffe
	v_cmpx_gt_i64_e64 s[2:3], v[1:2]
	s_cbranch_execz .LBB111_25
; %bb.23:
	s_load_b32 s5, s[0:1], 0xd3c
	v_lshlrev_b32_e32 v3, 3, v0
	s_add_nc_u64 s[0:1], s[6:7], s[8:9]
	v_mov_b32_e32 v1, v2
	s_delay_alu instid0(VALU_DEP_2)
	v_add_co_u32 v2, s0, s0, v3
	s_wait_alu 0xf1ff
	v_add_co_ci_u32_e64 v3, null, s1, 0, s0
	s_wait_kmcnt 0x0
	s_and_b32 s1, s5, 0xffff
	s_pack_ll_b32_b16 s5, s22, s22
	s_wait_alu 0xfffe
	s_lshl_b32 s6, s1, 3
.LBB111_24:                             ; =>This Inner Loop Header: Depth=1
	global_load_b64 v[4:5], v[2:3], off
	v_add_co_u32 v0, vcc_lo, v0, s1
	s_wait_alu 0xfffd
	v_add_co_ci_u32_e64 v1, null, 0, v1, vcc_lo
	s_delay_alu instid0(VALU_DEP_1) | instskip(NEXT) | instid1(VALU_DEP_1)
	v_lshlrev_b64_e32 v[6:7], 2, v[0:1]
	v_cmp_le_i64_e32 vcc_lo, s[2:3], v[6:7]
	s_or_b32 s4, vcc_lo, s4
	s_wait_loadcnt 0x0
	v_bfi_b32 v4, 0xffff, v4, v4
	v_pk_min_i16 v5, v5, s5
	s_delay_alu instid0(VALU_DEP_2)
	v_pk_min_i16 v4, v4, s5
	global_store_b64 v[2:3], v[4:5], off
	v_add_co_u32 v2, s0, v2, s6
	s_wait_alu 0xf1ff
	v_add_co_ci_u32_e64 v3, null, 0, v3, s0
	s_wait_alu 0xfffe
	s_and_not1_b32 exec_lo, exec_lo, s4
	s_cbranch_execnz .LBB111_24
.LBB111_25:
	s_endpgm
	.section	.rodata,"a",@progbits
	.p2align	6, 0x0
	.amdhsa_kernel _ZN2at6native12_GLOBAL__N_125multi_tensor_apply_kernelINS1_18TensorListMetadataILi1EEENS1_21BinaryOpScalarFunctorIsLi1ELi1ELi0EEEJNS0_7minimumIsEEsEEEvT_T0_DpT1_
		.amdhsa_group_segment_fixed_size 0
		.amdhsa_private_segment_fixed_size 0
		.amdhsa_kernarg_size 3632
		.amdhsa_user_sgpr_count 2
		.amdhsa_user_sgpr_dispatch_ptr 0
		.amdhsa_user_sgpr_queue_ptr 0
		.amdhsa_user_sgpr_kernarg_segment_ptr 1
		.amdhsa_user_sgpr_dispatch_id 0
		.amdhsa_user_sgpr_private_segment_size 0
		.amdhsa_wavefront_size32 1
		.amdhsa_uses_dynamic_stack 0
		.amdhsa_enable_private_segment 0
		.amdhsa_system_sgpr_workgroup_id_x 1
		.amdhsa_system_sgpr_workgroup_id_y 0
		.amdhsa_system_sgpr_workgroup_id_z 0
		.amdhsa_system_sgpr_workgroup_info 0
		.amdhsa_system_vgpr_workitem_id 0
		.amdhsa_next_free_vgpr 16
		.amdhsa_next_free_sgpr 25
		.amdhsa_reserve_vcc 1
		.amdhsa_float_round_mode_32 0
		.amdhsa_float_round_mode_16_64 0
		.amdhsa_float_denorm_mode_32 3
		.amdhsa_float_denorm_mode_16_64 3
		.amdhsa_fp16_overflow 0
		.amdhsa_workgroup_processor_mode 1
		.amdhsa_memory_ordered 1
		.amdhsa_forward_progress 1
		.amdhsa_inst_pref_size 10
		.amdhsa_round_robin_scheduling 0
		.amdhsa_exception_fp_ieee_invalid_op 0
		.amdhsa_exception_fp_denorm_src 0
		.amdhsa_exception_fp_ieee_div_zero 0
		.amdhsa_exception_fp_ieee_overflow 0
		.amdhsa_exception_fp_ieee_underflow 0
		.amdhsa_exception_fp_ieee_inexact 0
		.amdhsa_exception_int_div_zero 0
	.end_amdhsa_kernel
	.section	.text._ZN2at6native12_GLOBAL__N_125multi_tensor_apply_kernelINS1_18TensorListMetadataILi1EEENS1_21BinaryOpScalarFunctorIsLi1ELi1ELi0EEEJNS0_7minimumIsEEsEEEvT_T0_DpT1_,"axG",@progbits,_ZN2at6native12_GLOBAL__N_125multi_tensor_apply_kernelINS1_18TensorListMetadataILi1EEENS1_21BinaryOpScalarFunctorIsLi1ELi1ELi0EEEJNS0_7minimumIsEEsEEEvT_T0_DpT1_,comdat
.Lfunc_end111:
	.size	_ZN2at6native12_GLOBAL__N_125multi_tensor_apply_kernelINS1_18TensorListMetadataILi1EEENS1_21BinaryOpScalarFunctorIsLi1ELi1ELi0EEEJNS0_7minimumIsEEsEEEvT_T0_DpT1_, .Lfunc_end111-_ZN2at6native12_GLOBAL__N_125multi_tensor_apply_kernelINS1_18TensorListMetadataILi1EEENS1_21BinaryOpScalarFunctorIsLi1ELi1ELi0EEEJNS0_7minimumIsEEsEEEvT_T0_DpT1_
                                        ; -- End function
	.set _ZN2at6native12_GLOBAL__N_125multi_tensor_apply_kernelINS1_18TensorListMetadataILi1EEENS1_21BinaryOpScalarFunctorIsLi1ELi1ELi0EEEJNS0_7minimumIsEEsEEEvT_T0_DpT1_.num_vgpr, 16
	.set _ZN2at6native12_GLOBAL__N_125multi_tensor_apply_kernelINS1_18TensorListMetadataILi1EEENS1_21BinaryOpScalarFunctorIsLi1ELi1ELi0EEEJNS0_7minimumIsEEsEEEvT_T0_DpT1_.num_agpr, 0
	.set _ZN2at6native12_GLOBAL__N_125multi_tensor_apply_kernelINS1_18TensorListMetadataILi1EEENS1_21BinaryOpScalarFunctorIsLi1ELi1ELi0EEEJNS0_7minimumIsEEsEEEvT_T0_DpT1_.numbered_sgpr, 25
	.set _ZN2at6native12_GLOBAL__N_125multi_tensor_apply_kernelINS1_18TensorListMetadataILi1EEENS1_21BinaryOpScalarFunctorIsLi1ELi1ELi0EEEJNS0_7minimumIsEEsEEEvT_T0_DpT1_.num_named_barrier, 0
	.set _ZN2at6native12_GLOBAL__N_125multi_tensor_apply_kernelINS1_18TensorListMetadataILi1EEENS1_21BinaryOpScalarFunctorIsLi1ELi1ELi0EEEJNS0_7minimumIsEEsEEEvT_T0_DpT1_.private_seg_size, 0
	.set _ZN2at6native12_GLOBAL__N_125multi_tensor_apply_kernelINS1_18TensorListMetadataILi1EEENS1_21BinaryOpScalarFunctorIsLi1ELi1ELi0EEEJNS0_7minimumIsEEsEEEvT_T0_DpT1_.uses_vcc, 1
	.set _ZN2at6native12_GLOBAL__N_125multi_tensor_apply_kernelINS1_18TensorListMetadataILi1EEENS1_21BinaryOpScalarFunctorIsLi1ELi1ELi0EEEJNS0_7minimumIsEEsEEEvT_T0_DpT1_.uses_flat_scratch, 0
	.set _ZN2at6native12_GLOBAL__N_125multi_tensor_apply_kernelINS1_18TensorListMetadataILi1EEENS1_21BinaryOpScalarFunctorIsLi1ELi1ELi0EEEJNS0_7minimumIsEEsEEEvT_T0_DpT1_.has_dyn_sized_stack, 0
	.set _ZN2at6native12_GLOBAL__N_125multi_tensor_apply_kernelINS1_18TensorListMetadataILi1EEENS1_21BinaryOpScalarFunctorIsLi1ELi1ELi0EEEJNS0_7minimumIsEEsEEEvT_T0_DpT1_.has_recursion, 0
	.set _ZN2at6native12_GLOBAL__N_125multi_tensor_apply_kernelINS1_18TensorListMetadataILi1EEENS1_21BinaryOpScalarFunctorIsLi1ELi1ELi0EEEJNS0_7minimumIsEEsEEEvT_T0_DpT1_.has_indirect_call, 0
	.section	.AMDGPU.csdata,"",@progbits
; Kernel info:
; codeLenInByte = 1252
; TotalNumSgprs: 27
; NumVgprs: 16
; ScratchSize: 0
; MemoryBound: 0
; FloatMode: 240
; IeeeMode: 1
; LDSByteSize: 0 bytes/workgroup (compile time only)
; SGPRBlocks: 0
; VGPRBlocks: 1
; NumSGPRsForWavesPerEU: 27
; NumVGPRsForWavesPerEU: 16
; Occupancy: 16
; WaveLimiterHint : 0
; COMPUTE_PGM_RSRC2:SCRATCH_EN: 0
; COMPUTE_PGM_RSRC2:USER_SGPR: 2
; COMPUTE_PGM_RSRC2:TRAP_HANDLER: 0
; COMPUTE_PGM_RSRC2:TGID_X_EN: 1
; COMPUTE_PGM_RSRC2:TGID_Y_EN: 0
; COMPUTE_PGM_RSRC2:TGID_Z_EN: 0
; COMPUTE_PGM_RSRC2:TIDIG_COMP_CNT: 0
	.section	.text._ZN2at6native12_GLOBAL__N_125multi_tensor_apply_kernelINS1_18TensorListMetadataILi1EEENS1_21BinaryOpScalarFunctorIdLi1ELi1ELi0EEEJNS0_7minimumIdEEdEEEvT_T0_DpT1_,"axG",@progbits,_ZN2at6native12_GLOBAL__N_125multi_tensor_apply_kernelINS1_18TensorListMetadataILi1EEENS1_21BinaryOpScalarFunctorIdLi1ELi1ELi0EEEJNS0_7minimumIdEEdEEEvT_T0_DpT1_,comdat
	.globl	_ZN2at6native12_GLOBAL__N_125multi_tensor_apply_kernelINS1_18TensorListMetadataILi1EEENS1_21BinaryOpScalarFunctorIdLi1ELi1ELi0EEEJNS0_7minimumIdEEdEEEvT_T0_DpT1_ ; -- Begin function _ZN2at6native12_GLOBAL__N_125multi_tensor_apply_kernelINS1_18TensorListMetadataILi1EEENS1_21BinaryOpScalarFunctorIdLi1ELi1ELi0EEEJNS0_7minimumIdEEdEEEvT_T0_DpT1_
	.p2align	8
	.type	_ZN2at6native12_GLOBAL__N_125multi_tensor_apply_kernelINS1_18TensorListMetadataILi1EEENS1_21BinaryOpScalarFunctorIdLi1ELi1ELi0EEEJNS0_7minimumIdEEdEEEvT_T0_DpT1_,@function
_ZN2at6native12_GLOBAL__N_125multi_tensor_apply_kernelINS1_18TensorListMetadataILi1EEENS1_21BinaryOpScalarFunctorIdLi1ELi1ELi0EEEJNS0_7minimumIdEEdEEEvT_T0_DpT1_: ; @_ZN2at6native12_GLOBAL__N_125multi_tensor_apply_kernelINS1_18TensorListMetadataILi1EEENS1_21BinaryOpScalarFunctorIdLi1ELi1ELi0EEEJNS0_7minimumIdEEdEEEvT_T0_DpT1_
; %bb.0:
	s_load_u8 s8, s[0:1], ttmp9 offset:0x6e0
	s_mov_b32 s2, ttmp9
	s_mov_b32 s3, 0
	s_delay_alu instid0(SALU_CYCLE_1)
	s_mul_u64 s[4:5], s[2:3], 3
	s_add_nc_u64 s[6:7], s[0:1], s[2:3]
	s_mov_b32 s15, s3
	s_add_nc_u64 s[4:5], s[6:7], s[4:5]
	s_load_b32 s4, s[4:5], 0x820
	s_wait_kmcnt 0x0
	s_lshl_b32 s2, s8, 3
	s_clause 0x2
	s_load_b64 s[6:7], s[0:1], s2 offset:0x0
	s_load_b64 s[12:13], s[0:1], s2 offset:0x370
	s_load_b64 s[8:9], s[0:1], 0xd30
	s_ashr_i32 s5, s4, 31
	s_delay_alu instid0(SALU_CYCLE_1)
	s_lshl_b64 s[10:11], s[4:5], 19
	s_lshl_b64 s[4:5], s[4:5], 16
	s_wait_kmcnt 0x0
	s_and_b32 s2, s6, 31
	s_and_b32 s14, s12, 3
	s_sub_nc_u64 s[12:13], s[12:13], s[4:5]
	s_or_b64 s[2:3], s[2:3], s[14:15]
	s_delay_alu instid0(SALU_CYCLE_1)
	s_cmp_eq_u64 s[2:3], 0
	s_cbranch_scc1 .LBB112_21
; %bb.1:
	v_cmp_lt_i64_e64 s2, s[12:13], 1
	s_and_b32 vcc_lo, exec_lo, s2
	s_cbranch_vccnz .LBB112_20
; %bb.2:
	s_load_b32 s2, s[0:1], 0xd44
	v_cmp_gt_i64_e64 s14, 0x10000, s[12:13]
	v_lshlrev_b32_e32 v1, 3, v0
	s_add_nc_u64 s[4:5], s[6:7], s[10:11]
	s_mov_b32 s3, 0
	v_cmp_gt_u64_e64 s18, 0x10000, s[12:13]
	s_mov_b32 s15, s3
	v_add_co_u32 v1, s16, s4, v1
	s_and_b32 s14, s14, exec_lo
	v_add_co_ci_u32_e64 v2, null, s5, 0, s16
	s_cselect_b32 s17, s13, 0
	s_cselect_b32 s16, s12, 0x10000
	s_wait_kmcnt 0x0
	s_and_b32 s2, s2, 0xffff
	s_and_b32 s14, s18, exec_lo
	s_mul_u64 s[20:21], s[2:3], 24
	v_add_co_u32 v13, s3, v0, s2
	s_cselect_b32 s19, s13, 0
	s_cselect_b32 s18, s12, 0x10000
	s_lshl_b32 s22, s2, 1
	v_lshlrev_b32_e32 v3, 3, v13
	s_mul_i32 s23, s2, 3
	v_add_co_ci_u32_e64 v16, null, 0, 0, s3
	v_add_co_u32 v17, s3, s22, v0
	v_add_co_u32 v14, s23, s23, v0
	s_wait_alu 0xf1ff
	v_add_co_ci_u32_e64 v18, null, 0, 0, s3
	v_add_co_u32 v3, s3, s4, v3
	v_add_co_ci_u32_e64 v15, null, 0, 0, s23
	s_wait_alu 0xf1ff
	v_add_co_ci_u32_e64 v4, null, s5, 0, s3
	s_lshl_b32 s14, s2, 2
	s_lshl_b32 s24, s2, 5
	;; [unrolled: 1-line block ×3, first 2 shown]
	s_mov_b64 s[22:23], 0
	s_branch .LBB112_4
.LBB112_3:                              ;   in Loop: Header=BB112_4 Depth=1
	s_wait_alu 0xfffe
	s_or_b32 exec_lo, exec_lo, s3
	s_add_nc_u64 s[22:23], s[22:23], s[14:15]
	v_add_co_u32 v1, vcc_lo, v1, s24
	s_wait_alu 0xfffe
	v_cmp_lt_i64_e64 s2, s[22:23], s[16:17]
	s_wait_alu 0xfffd
	v_add_co_ci_u32_e64 v2, null, 0, v2, vcc_lo
	v_add_co_u32 v3, vcc_lo, v3, s24
	s_wait_alu 0xfffd
	v_add_co_ci_u32_e64 v4, null, 0, v4, vcc_lo
	s_and_b32 vcc_lo, exec_lo, s2
	s_wait_alu 0xfffe
	s_cbranch_vccz .LBB112_20
.LBB112_4:                              ; =>This Inner Loop Header: Depth=1
	s_wait_loadcnt 0x0
	s_wait_alu 0xfffe
	v_add_co_u32 v7, s2, v0, s22
	s_wait_alu 0xf1ff
	v_add_co_ci_u32_e64 v8, null, 0, s23, s2
	v_mov_b32_e32 v5, 0
	v_dual_mov_b32 v6, 0 :: v_dual_mov_b32 v9, 0
	s_delay_alu instid0(VALU_DEP_3)
	v_cmp_gt_u64_e32 vcc_lo, s[18:19], v[7:8]
	v_mov_b32_e32 v10, 0
	s_and_saveexec_b32 s2, vcc_lo
	s_cbranch_execz .LBB112_6
; %bb.5:                                ;   in Loop: Header=BB112_4 Depth=1
	global_load_b64 v[9:10], v[1:2], off
.LBB112_6:                              ;   in Loop: Header=BB112_4 Depth=1
	s_wait_alu 0xfffe
	s_or_b32 exec_lo, exec_lo, s2
	v_add_co_u32 v7, s2, v13, s22
	s_wait_alu 0xf1ff
	v_add_co_ci_u32_e64 v8, null, s23, v16, s2
	s_delay_alu instid0(VALU_DEP_1)
	v_cmp_gt_u64_e64 s2, s[18:19], v[7:8]
	s_and_saveexec_b32 s3, s2
	s_cbranch_execz .LBB112_8
; %bb.7:                                ;   in Loop: Header=BB112_4 Depth=1
	global_load_b64 v[5:6], v[3:4], off
.LBB112_8:                              ;   in Loop: Header=BB112_4 Depth=1
	s_wait_alu 0xfffe
	s_or_b32 exec_lo, exec_lo, s3
	v_add_co_u32 v11, s3, v17, s22
	s_wait_alu 0xf1ff
	v_add_co_ci_u32_e64 v12, null, s23, v18, s3
	v_mov_b32_e32 v7, 0
	v_mov_b32_e32 v8, 0
	s_delay_alu instid0(VALU_DEP_3)
	v_cmp_gt_u64_e64 s3, s[18:19], v[11:12]
	v_mov_b32_e32 v11, 0
	v_mov_b32_e32 v12, 0
	s_and_saveexec_b32 s5, s3
	s_cbranch_execz .LBB112_10
; %bb.9:                                ;   in Loop: Header=BB112_4 Depth=1
	v_add_co_u32 v11, s4, v1, s25
	s_wait_alu 0xf1ff
	v_add_co_ci_u32_e64 v12, null, 0, v2, s4
	global_load_b64 v[11:12], v[11:12], off
.LBB112_10:                             ;   in Loop: Header=BB112_4 Depth=1
	s_wait_alu 0xfffe
	s_or_b32 exec_lo, exec_lo, s5
	v_add_co_u32 v19, s4, v14, s22
	s_wait_alu 0xf1ff
	v_add_co_ci_u32_e64 v20, null, s23, v15, s4
	s_delay_alu instid0(VALU_DEP_1)
	v_cmp_gt_u64_e64 s4, s[18:19], v[19:20]
	s_and_saveexec_b32 s26, s4
	s_cbranch_execnz .LBB112_15
; %bb.11:                               ;   in Loop: Header=BB112_4 Depth=1
	s_or_b32 exec_lo, exec_lo, s26
	s_and_saveexec_b32 s26, vcc_lo
	s_cbranch_execnz .LBB112_16
.LBB112_12:                             ;   in Loop: Header=BB112_4 Depth=1
	s_or_b32 exec_lo, exec_lo, s26
	s_and_saveexec_b32 s5, s2
	s_cbranch_execnz .LBB112_17
.LBB112_13:                             ;   in Loop: Header=BB112_4 Depth=1
	s_wait_alu 0xfffe
	s_or_b32 exec_lo, exec_lo, s5
	s_and_saveexec_b32 s5, s3
	s_cbranch_execnz .LBB112_18
.LBB112_14:                             ;   in Loop: Header=BB112_4 Depth=1
	s_wait_alu 0xfffe
	s_or_b32 exec_lo, exec_lo, s5
	s_and_saveexec_b32 s3, s4
	s_cbranch_execz .LBB112_3
	s_branch .LBB112_19
.LBB112_15:                             ;   in Loop: Header=BB112_4 Depth=1
	v_add_co_u32 v7, s5, v1, s20
	s_wait_alu 0xf1ff
	v_add_co_ci_u32_e64 v8, null, s21, v2, s5
	global_load_b64 v[7:8], v[7:8], off
	s_or_b32 exec_lo, exec_lo, s26
	s_and_saveexec_b32 s26, vcc_lo
	s_cbranch_execz .LBB112_12
.LBB112_16:                             ;   in Loop: Header=BB112_4 Depth=1
	s_wait_loadcnt 0x0
	v_cmp_u_f64_e32 vcc_lo, v[9:10], v[9:10]
	v_cmp_gt_f64_e64 s5, s[8:9], v[9:10]
	s_or_b32 vcc_lo, vcc_lo, s5
	s_wait_alu 0xfffe
	v_cndmask_b32_e32 v10, s9, v10, vcc_lo
	v_cndmask_b32_e32 v9, s8, v9, vcc_lo
	global_store_b64 v[1:2], v[9:10], off
	s_or_b32 exec_lo, exec_lo, s26
	s_and_saveexec_b32 s5, s2
	s_cbranch_execz .LBB112_13
.LBB112_17:                             ;   in Loop: Header=BB112_4 Depth=1
	s_wait_loadcnt 0x0
	v_cmp_u_f64_e32 vcc_lo, v[5:6], v[5:6]
	v_cmp_gt_f64_e64 s2, s[8:9], v[5:6]
	s_or_b32 vcc_lo, vcc_lo, s2
	s_wait_alu 0xfffe
	v_cndmask_b32_e32 v6, s9, v6, vcc_lo
	v_cndmask_b32_e32 v5, s8, v5, vcc_lo
	global_store_b64 v[3:4], v[5:6], off
	s_or_b32 exec_lo, exec_lo, s5
	s_and_saveexec_b32 s5, s3
	s_cbranch_execz .LBB112_14
.LBB112_18:                             ;   in Loop: Header=BB112_4 Depth=1
	s_wait_loadcnt 0x0
	v_cmp_u_f64_e32 vcc_lo, v[11:12], v[11:12]
	v_cmp_gt_f64_e64 s2, s[8:9], v[11:12]
	s_or_b32 vcc_lo, vcc_lo, s2
	s_wait_alu 0xfffe
	v_cndmask_b32_e32 v6, s9, v12, vcc_lo
	v_cndmask_b32_e32 v5, s8, v11, vcc_lo
	v_add_co_u32 v9, vcc_lo, v1, s25
	s_wait_alu 0xfffd
	v_add_co_ci_u32_e64 v10, null, 0, v2, vcc_lo
	global_store_b64 v[9:10], v[5:6], off
	s_or_b32 exec_lo, exec_lo, s5
	s_and_saveexec_b32 s3, s4
	s_cbranch_execz .LBB112_3
.LBB112_19:                             ;   in Loop: Header=BB112_4 Depth=1
	s_wait_loadcnt 0x0
	v_cmp_u_f64_e32 vcc_lo, v[7:8], v[7:8]
	v_cmp_gt_f64_e64 s2, s[8:9], v[7:8]
	s_or_b32 vcc_lo, vcc_lo, s2
	s_wait_alu 0xfffe
	v_cndmask_b32_e32 v6, s9, v8, vcc_lo
	v_cndmask_b32_e32 v5, s8, v7, vcc_lo
	v_add_co_u32 v7, vcc_lo, v1, s20
	s_wait_alu 0xfffd
	v_add_co_ci_u32_e64 v8, null, s21, v2, vcc_lo
	global_store_b64 v[7:8], v[5:6], off
	s_branch .LBB112_3
.LBB112_20:
	s_cbranch_execz .LBB112_22
	s_branch .LBB112_25
.LBB112_21:
.LBB112_22:
	v_cmp_gt_i64_e64 s2, 0x10000, s[12:13]
	v_dual_mov_b32 v2, 0 :: v_dual_lshlrev_b32 v1, 2, v0
	s_mov_b32 s14, 0
	s_and_b32 s2, s2, exec_lo
	s_cselect_b32 s13, s13, 0
	s_cselect_b32 s12, s12, 0x10000
	s_mov_b32 s2, exec_lo
	s_wait_alu 0xfffe
	v_cmpx_gt_i64_e64 s[12:13], v[1:2]
	s_cbranch_execz .LBB112_25
; %bb.23:
	s_load_b32 s2, s[0:1], 0xd44
	v_lshlrev_b32_e32 v1, 5, v0
	s_add_nc_u64 s[0:1], s[6:7], s[10:11]
	s_delay_alu instid0(VALU_DEP_1) | instid1(SALU_CYCLE_1)
	v_add_co_u32 v3, s0, s0, v1
	s_wait_alu 0xf1ff
	v_add_co_ci_u32_e64 v4, null, s1, 0, s0
	v_mov_b32_e32 v1, v2
	s_delay_alu instid0(VALU_DEP_3) | instskip(SKIP_1) | instid1(VALU_DEP_3)
	v_add_co_u32 v2, vcc_lo, v3, 16
	s_wait_alu 0xfffd
	v_add_co_ci_u32_e64 v3, null, 0, v4, vcc_lo
	s_wait_kmcnt 0x0
	s_and_b32 s10, s2, 0xffff
	s_delay_alu instid0(SALU_CYCLE_1)
	s_lshl_b32 s11, s10, 5
.LBB112_24:                             ; =>This Inner Loop Header: Depth=1
	s_wait_loadcnt 0x0
	s_clause 0x1
	global_load_b128 v[4:7], v[2:3], off offset:-16
	global_load_b128 v[8:11], v[2:3], off
	v_add_co_u32 v0, s7, v0, s10
	s_wait_alu 0xf1ff
	v_add_co_ci_u32_e64 v1, null, 0, v1, s7
	s_delay_alu instid0(VALU_DEP_1)
	v_lshlrev_b64_e32 v[12:13], 2, v[0:1]
	s_wait_loadcnt 0x1
	v_cmp_u_f64_e32 vcc_lo, v[4:5], v[4:5]
	v_cmp_gt_f64_e64 s0, s[8:9], v[4:5]
	v_cmp_u_f64_e64 s1, v[6:7], v[6:7]
	v_cmp_gt_f64_e64 s2, s[8:9], v[6:7]
	s_wait_loadcnt 0x0
	v_cmp_u_f64_e64 s3, v[8:9], v[8:9]
	v_cmp_gt_f64_e64 s4, s[8:9], v[8:9]
	v_cmp_u_f64_e64 s5, v[10:11], v[10:11]
	v_cmp_gt_f64_e64 s6, s[8:9], v[10:11]
	s_or_b32 vcc_lo, vcc_lo, s0
	s_or_b32 s0, s1, s2
	s_wait_alu 0xfffe
	v_cndmask_b32_e32 v5, s9, v5, vcc_lo
	s_or_b32 s1, s3, s4
	v_cndmask_b32_e64 v7, s9, v7, s0
	s_or_b32 s2, s5, s6
	v_cndmask_b32_e32 v4, s8, v4, vcc_lo
	v_cndmask_b32_e64 v6, s8, v6, s0
	s_wait_alu 0xfffe
	v_cndmask_b32_e64 v9, s9, v9, s1
	v_cndmask_b32_e64 v11, s9, v11, s2
	;; [unrolled: 1-line block ×4, first 2 shown]
	v_cmp_le_i64_e32 vcc_lo, s[12:13], v[12:13]
	s_clause 0x1
	global_store_b128 v[2:3], v[4:7], off offset:-16
	global_store_b128 v[2:3], v[8:11], off
	v_add_co_u32 v2, s0, v2, s11
	s_wait_alu 0xf1ff
	v_add_co_ci_u32_e64 v3, null, 0, v3, s0
	s_or_b32 s14, vcc_lo, s14
	s_delay_alu instid0(SALU_CYCLE_1)
	s_and_not1_b32 exec_lo, exec_lo, s14
	s_cbranch_execnz .LBB112_24
.LBB112_25:
	s_endpgm
	.section	.rodata,"a",@progbits
	.p2align	6, 0x0
	.amdhsa_kernel _ZN2at6native12_GLOBAL__N_125multi_tensor_apply_kernelINS1_18TensorListMetadataILi1EEENS1_21BinaryOpScalarFunctorIdLi1ELi1ELi0EEEJNS0_7minimumIdEEdEEEvT_T0_DpT1_
		.amdhsa_group_segment_fixed_size 0
		.amdhsa_private_segment_fixed_size 0
		.amdhsa_kernarg_size 3640
		.amdhsa_user_sgpr_count 2
		.amdhsa_user_sgpr_dispatch_ptr 0
		.amdhsa_user_sgpr_queue_ptr 0
		.amdhsa_user_sgpr_kernarg_segment_ptr 1
		.amdhsa_user_sgpr_dispatch_id 0
		.amdhsa_user_sgpr_private_segment_size 0
		.amdhsa_wavefront_size32 1
		.amdhsa_uses_dynamic_stack 0
		.amdhsa_enable_private_segment 0
		.amdhsa_system_sgpr_workgroup_id_x 1
		.amdhsa_system_sgpr_workgroup_id_y 0
		.amdhsa_system_sgpr_workgroup_id_z 0
		.amdhsa_system_sgpr_workgroup_info 0
		.amdhsa_system_vgpr_workitem_id 0
		.amdhsa_next_free_vgpr 21
		.amdhsa_next_free_sgpr 27
		.amdhsa_reserve_vcc 1
		.amdhsa_float_round_mode_32 0
		.amdhsa_float_round_mode_16_64 0
		.amdhsa_float_denorm_mode_32 3
		.amdhsa_float_denorm_mode_16_64 3
		.amdhsa_fp16_overflow 0
		.amdhsa_workgroup_processor_mode 1
		.amdhsa_memory_ordered 1
		.amdhsa_forward_progress 1
		.amdhsa_inst_pref_size 12
		.amdhsa_round_robin_scheduling 0
		.amdhsa_exception_fp_ieee_invalid_op 0
		.amdhsa_exception_fp_denorm_src 0
		.amdhsa_exception_fp_ieee_div_zero 0
		.amdhsa_exception_fp_ieee_overflow 0
		.amdhsa_exception_fp_ieee_underflow 0
		.amdhsa_exception_fp_ieee_inexact 0
		.amdhsa_exception_int_div_zero 0
	.end_amdhsa_kernel
	.section	.text._ZN2at6native12_GLOBAL__N_125multi_tensor_apply_kernelINS1_18TensorListMetadataILi1EEENS1_21BinaryOpScalarFunctorIdLi1ELi1ELi0EEEJNS0_7minimumIdEEdEEEvT_T0_DpT1_,"axG",@progbits,_ZN2at6native12_GLOBAL__N_125multi_tensor_apply_kernelINS1_18TensorListMetadataILi1EEENS1_21BinaryOpScalarFunctorIdLi1ELi1ELi0EEEJNS0_7minimumIdEEdEEEvT_T0_DpT1_,comdat
.Lfunc_end112:
	.size	_ZN2at6native12_GLOBAL__N_125multi_tensor_apply_kernelINS1_18TensorListMetadataILi1EEENS1_21BinaryOpScalarFunctorIdLi1ELi1ELi0EEEJNS0_7minimumIdEEdEEEvT_T0_DpT1_, .Lfunc_end112-_ZN2at6native12_GLOBAL__N_125multi_tensor_apply_kernelINS1_18TensorListMetadataILi1EEENS1_21BinaryOpScalarFunctorIdLi1ELi1ELi0EEEJNS0_7minimumIdEEdEEEvT_T0_DpT1_
                                        ; -- End function
	.set _ZN2at6native12_GLOBAL__N_125multi_tensor_apply_kernelINS1_18TensorListMetadataILi1EEENS1_21BinaryOpScalarFunctorIdLi1ELi1ELi0EEEJNS0_7minimumIdEEdEEEvT_T0_DpT1_.num_vgpr, 21
	.set _ZN2at6native12_GLOBAL__N_125multi_tensor_apply_kernelINS1_18TensorListMetadataILi1EEENS1_21BinaryOpScalarFunctorIdLi1ELi1ELi0EEEJNS0_7minimumIdEEdEEEvT_T0_DpT1_.num_agpr, 0
	.set _ZN2at6native12_GLOBAL__N_125multi_tensor_apply_kernelINS1_18TensorListMetadataILi1EEENS1_21BinaryOpScalarFunctorIdLi1ELi1ELi0EEEJNS0_7minimumIdEEdEEEvT_T0_DpT1_.numbered_sgpr, 27
	.set _ZN2at6native12_GLOBAL__N_125multi_tensor_apply_kernelINS1_18TensorListMetadataILi1EEENS1_21BinaryOpScalarFunctorIdLi1ELi1ELi0EEEJNS0_7minimumIdEEdEEEvT_T0_DpT1_.num_named_barrier, 0
	.set _ZN2at6native12_GLOBAL__N_125multi_tensor_apply_kernelINS1_18TensorListMetadataILi1EEENS1_21BinaryOpScalarFunctorIdLi1ELi1ELi0EEEJNS0_7minimumIdEEdEEEvT_T0_DpT1_.private_seg_size, 0
	.set _ZN2at6native12_GLOBAL__N_125multi_tensor_apply_kernelINS1_18TensorListMetadataILi1EEENS1_21BinaryOpScalarFunctorIdLi1ELi1ELi0EEEJNS0_7minimumIdEEdEEEvT_T0_DpT1_.uses_vcc, 1
	.set _ZN2at6native12_GLOBAL__N_125multi_tensor_apply_kernelINS1_18TensorListMetadataILi1EEENS1_21BinaryOpScalarFunctorIdLi1ELi1ELi0EEEJNS0_7minimumIdEEdEEEvT_T0_DpT1_.uses_flat_scratch, 0
	.set _ZN2at6native12_GLOBAL__N_125multi_tensor_apply_kernelINS1_18TensorListMetadataILi1EEENS1_21BinaryOpScalarFunctorIdLi1ELi1ELi0EEEJNS0_7minimumIdEEdEEEvT_T0_DpT1_.has_dyn_sized_stack, 0
	.set _ZN2at6native12_GLOBAL__N_125multi_tensor_apply_kernelINS1_18TensorListMetadataILi1EEENS1_21BinaryOpScalarFunctorIdLi1ELi1ELi0EEEJNS0_7minimumIdEEdEEEvT_T0_DpT1_.has_recursion, 0
	.set _ZN2at6native12_GLOBAL__N_125multi_tensor_apply_kernelINS1_18TensorListMetadataILi1EEENS1_21BinaryOpScalarFunctorIdLi1ELi1ELi0EEEJNS0_7minimumIdEEdEEEvT_T0_DpT1_.has_indirect_call, 0
	.section	.AMDGPU.csdata,"",@progbits
; Kernel info:
; codeLenInByte = 1508
; TotalNumSgprs: 29
; NumVgprs: 21
; ScratchSize: 0
; MemoryBound: 0
; FloatMode: 240
; IeeeMode: 1
; LDSByteSize: 0 bytes/workgroup (compile time only)
; SGPRBlocks: 0
; VGPRBlocks: 2
; NumSGPRsForWavesPerEU: 29
; NumVGPRsForWavesPerEU: 21
; Occupancy: 16
; WaveLimiterHint : 0
; COMPUTE_PGM_RSRC2:SCRATCH_EN: 0
; COMPUTE_PGM_RSRC2:USER_SGPR: 2
; COMPUTE_PGM_RSRC2:TRAP_HANDLER: 0
; COMPUTE_PGM_RSRC2:TGID_X_EN: 1
; COMPUTE_PGM_RSRC2:TGID_Y_EN: 0
; COMPUTE_PGM_RSRC2:TGID_Z_EN: 0
; COMPUTE_PGM_RSRC2:TIDIG_COMP_CNT: 0
	.section	.text._ZN2at6native12_GLOBAL__N_125multi_tensor_apply_kernelINS1_18TensorListMetadataILi1EEENS1_21BinaryOpScalarFunctorIfLi1ELi1ELi0EEEJNS0_7minimumIfEEfEEEvT_T0_DpT1_,"axG",@progbits,_ZN2at6native12_GLOBAL__N_125multi_tensor_apply_kernelINS1_18TensorListMetadataILi1EEENS1_21BinaryOpScalarFunctorIfLi1ELi1ELi0EEEJNS0_7minimumIfEEfEEEvT_T0_DpT1_,comdat
	.globl	_ZN2at6native12_GLOBAL__N_125multi_tensor_apply_kernelINS1_18TensorListMetadataILi1EEENS1_21BinaryOpScalarFunctorIfLi1ELi1ELi0EEEJNS0_7minimumIfEEfEEEvT_T0_DpT1_ ; -- Begin function _ZN2at6native12_GLOBAL__N_125multi_tensor_apply_kernelINS1_18TensorListMetadataILi1EEENS1_21BinaryOpScalarFunctorIfLi1ELi1ELi0EEEJNS0_7minimumIfEEfEEEvT_T0_DpT1_
	.p2align	8
	.type	_ZN2at6native12_GLOBAL__N_125multi_tensor_apply_kernelINS1_18TensorListMetadataILi1EEENS1_21BinaryOpScalarFunctorIfLi1ELi1ELi0EEEJNS0_7minimumIfEEfEEEvT_T0_DpT1_,@function
_ZN2at6native12_GLOBAL__N_125multi_tensor_apply_kernelINS1_18TensorListMetadataILi1EEENS1_21BinaryOpScalarFunctorIfLi1ELi1ELi0EEEJNS0_7minimumIfEEfEEEvT_T0_DpT1_: ; @_ZN2at6native12_GLOBAL__N_125multi_tensor_apply_kernelINS1_18TensorListMetadataILi1EEENS1_21BinaryOpScalarFunctorIfLi1ELi1ELi0EEEJNS0_7minimumIfEEfEEEvT_T0_DpT1_
; %bb.0:
	s_load_u8 s8, s[0:1], ttmp9 offset:0x6e0
	s_mov_b32 s2, ttmp9
	s_mov_b32 s3, 0
	s_delay_alu instid0(SALU_CYCLE_1)
	s_mul_u64 s[4:5], s[2:3], 3
	s_add_nc_u64 s[6:7], s[0:1], s[2:3]
	s_mov_b32 s13, s3
	s_add_nc_u64 s[4:5], s[6:7], s[4:5]
	s_load_b32 s4, s[4:5], 0x820
	s_wait_kmcnt 0x0
	s_lshl_b32 s2, s8, 3
	s_clause 0x2
	s_load_b64 s[6:7], s[0:1], s2 offset:0x0
	s_load_b64 s[10:11], s[0:1], s2 offset:0x370
	s_load_b32 s22, s[0:1], 0xd2c
	s_ashr_i32 s5, s4, 31
	s_delay_alu instid0(SALU_CYCLE_1)
	s_lshl_b64 s[8:9], s[4:5], 18
	s_lshl_b64 s[4:5], s[4:5], 16
	s_wait_kmcnt 0x0
	s_and_b32 s2, s6, 15
	s_and_b32 s12, s10, 3
	s_sub_nc_u64 s[10:11], s[10:11], s[4:5]
	s_or_b64 s[2:3], s[2:3], s[12:13]
	s_delay_alu instid0(SALU_CYCLE_1)
	s_cmp_eq_u64 s[2:3], 0
	s_cbranch_scc1 .LBB113_21
; %bb.1:
	v_cmp_lt_i64_e64 s2, s[10:11], 1
	s_and_b32 vcc_lo, exec_lo, s2
	s_cbranch_vccnz .LBB113_20
; %bb.2:
	s_load_b32 s2, s[0:1], 0xd3c
	v_cmp_gt_i64_e64 s12, 0x10000, s[10:11]
	v_lshlrev_b32_e32 v1, 2, v0
	s_add_nc_u64 s[4:5], s[6:7], s[8:9]
	s_mov_b32 s3, 0
	v_cmp_gt_u64_e64 s16, 0x10000, s[10:11]
	s_mov_b32 s13, s3
	v_add_co_u32 v1, s14, s4, v1
	s_and_b32 s12, s12, exec_lo
	v_add_co_ci_u32_e64 v2, null, s5, 0, s14
	s_cselect_b32 s15, s11, 0
	s_cselect_b32 s14, s10, 0x10000
	s_wait_kmcnt 0x0
	s_and_b32 s2, s2, 0xffff
	s_and_b32 s12, s16, exec_lo
	s_mul_u64 s[18:19], s[2:3], 12
	v_add_co_u32 v5, s3, v0, s2
	s_cselect_b32 s17, s11, 0
	s_cselect_b32 s16, s10, 0x10000
	s_lshl_b32 s20, s2, 1
	v_lshlrev_b32_e32 v3, 2, v5
	s_mul_i32 s21, s2, 3
	v_add_co_ci_u32_e64 v8, null, 0, 0, s3
	v_add_co_u32 v9, s3, s20, v0
	v_add_co_u32 v6, s21, s21, v0
	s_wait_alu 0xf1ff
	v_add_co_ci_u32_e64 v10, null, 0, 0, s3
	v_add_co_u32 v3, s3, s4, v3
	v_add_co_ci_u32_e64 v7, null, 0, 0, s21
	s_wait_alu 0xf1ff
	v_add_co_ci_u32_e64 v4, null, s5, 0, s3
	s_lshl_b32 s12, s2, 2
	s_lshl_b32 s23, s2, 4
	;; [unrolled: 1-line block ×3, first 2 shown]
	s_mov_b64 s[20:21], 0
	s_branch .LBB113_4
.LBB113_3:                              ;   in Loop: Header=BB113_4 Depth=1
	s_wait_alu 0xfffe
	s_or_b32 exec_lo, exec_lo, s3
	s_add_nc_u64 s[20:21], s[20:21], s[12:13]
	v_add_co_u32 v1, vcc_lo, v1, s23
	s_wait_alu 0xfffe
	v_cmp_lt_i64_e64 s2, s[20:21], s[14:15]
	s_wait_alu 0xfffd
	v_add_co_ci_u32_e64 v2, null, 0, v2, vcc_lo
	v_add_co_u32 v3, vcc_lo, v3, s23
	s_wait_alu 0xfffd
	v_add_co_ci_u32_e64 v4, null, 0, v4, vcc_lo
	s_and_b32 vcc_lo, exec_lo, s2
	s_wait_alu 0xfffe
	s_cbranch_vccz .LBB113_20
.LBB113_4:                              ; =>This Inner Loop Header: Depth=1
	s_wait_loadcnt 0x0
	s_wait_alu 0xfffe
	v_add_co_u32 v11, s2, v0, s20
	s_wait_alu 0xf1ff
	v_add_co_ci_u32_e64 v12, null, 0, s21, s2
	s_delay_alu instid0(VALU_DEP_1)
	v_cmp_gt_u64_e32 vcc_lo, s[16:17], v[11:12]
	v_mov_b32_e32 v12, 0
	s_and_saveexec_b32 s2, vcc_lo
	s_cbranch_execz .LBB113_6
; %bb.5:                                ;   in Loop: Header=BB113_4 Depth=1
	global_load_b32 v12, v[1:2], off
.LBB113_6:                              ;   in Loop: Header=BB113_4 Depth=1
	s_wait_alu 0xfffe
	s_or_b32 exec_lo, exec_lo, s2
	v_add_co_u32 v13, s2, v5, s20
	s_wait_alu 0xf1ff
	v_add_co_ci_u32_e64 v14, null, s21, v8, s2
	v_mov_b32_e32 v11, 0
	s_delay_alu instid0(VALU_DEP_2)
	v_cmp_gt_u64_e64 s2, s[16:17], v[13:14]
	v_mov_b32_e32 v13, 0
	s_and_saveexec_b32 s3, s2
	s_cbranch_execz .LBB113_8
; %bb.7:                                ;   in Loop: Header=BB113_4 Depth=1
	global_load_b32 v13, v[3:4], off
.LBB113_8:                              ;   in Loop: Header=BB113_4 Depth=1
	s_wait_alu 0xfffe
	s_or_b32 exec_lo, exec_lo, s3
	v_add_co_u32 v14, s3, v9, s20
	s_wait_alu 0xf1ff
	v_add_co_ci_u32_e64 v15, null, s21, v10, s3
	s_delay_alu instid0(VALU_DEP_1)
	v_cmp_gt_u64_e64 s3, s[16:17], v[14:15]
	s_and_saveexec_b32 s5, s3
	s_cbranch_execz .LBB113_10
; %bb.9:                                ;   in Loop: Header=BB113_4 Depth=1
	v_add_co_u32 v14, s4, v1, s24
	s_wait_alu 0xf1ff
	v_add_co_ci_u32_e64 v15, null, 0, v2, s4
	global_load_b32 v11, v[14:15], off
.LBB113_10:                             ;   in Loop: Header=BB113_4 Depth=1
	s_wait_alu 0xfffe
	s_or_b32 exec_lo, exec_lo, s5
	v_add_co_u32 v14, s4, v6, s20
	s_wait_alu 0xf1ff
	v_add_co_ci_u32_e64 v15, null, s21, v7, s4
	s_delay_alu instid0(VALU_DEP_1)
	v_cmp_gt_u64_e64 s4, s[16:17], v[14:15]
	v_mov_b32_e32 v14, 0
	s_and_saveexec_b32 s25, s4
	s_cbranch_execnz .LBB113_15
; %bb.11:                               ;   in Loop: Header=BB113_4 Depth=1
	s_wait_alu 0xfffe
	s_or_b32 exec_lo, exec_lo, s25
	s_and_saveexec_b32 s25, vcc_lo
	s_cbranch_execnz .LBB113_16
.LBB113_12:                             ;   in Loop: Header=BB113_4 Depth=1
	s_wait_alu 0xfffe
	s_or_b32 exec_lo, exec_lo, s25
	s_and_saveexec_b32 s5, s2
	s_cbranch_execnz .LBB113_17
.LBB113_13:                             ;   in Loop: Header=BB113_4 Depth=1
	s_wait_alu 0xfffe
	s_or_b32 exec_lo, exec_lo, s5
	s_and_saveexec_b32 s5, s3
	s_cbranch_execnz .LBB113_18
.LBB113_14:                             ;   in Loop: Header=BB113_4 Depth=1
	s_wait_alu 0xfffe
	s_or_b32 exec_lo, exec_lo, s5
	s_and_saveexec_b32 s3, s4
	s_cbranch_execz .LBB113_3
	s_branch .LBB113_19
.LBB113_15:                             ;   in Loop: Header=BB113_4 Depth=1
	v_add_co_u32 v14, s5, v1, s18
	s_wait_alu 0xf1ff
	v_add_co_ci_u32_e64 v15, null, s19, v2, s5
	global_load_b32 v14, v[14:15], off
	s_wait_alu 0xfffe
	s_or_b32 exec_lo, exec_lo, s25
	s_and_saveexec_b32 s25, vcc_lo
	s_cbranch_execz .LBB113_12
.LBB113_16:                             ;   in Loop: Header=BB113_4 Depth=1
	s_wait_loadcnt 0x0
	v_cmp_u_f32_e32 vcc_lo, v12, v12
	v_cmp_gt_f32_e64 s5, s22, v12
	s_or_b32 vcc_lo, vcc_lo, s5
	s_wait_alu 0xfffe
	v_cndmask_b32_e32 v12, s22, v12, vcc_lo
	global_store_b32 v[1:2], v12, off
	s_or_b32 exec_lo, exec_lo, s25
	s_and_saveexec_b32 s5, s2
	s_cbranch_execz .LBB113_13
.LBB113_17:                             ;   in Loop: Header=BB113_4 Depth=1
	s_wait_loadcnt 0x0
	v_cmp_u_f32_e32 vcc_lo, v13, v13
	v_cmp_gt_f32_e64 s2, s22, v13
	s_or_b32 vcc_lo, vcc_lo, s2
	s_wait_alu 0xfffe
	v_cndmask_b32_e32 v12, s22, v13, vcc_lo
	global_store_b32 v[3:4], v12, off
	s_or_b32 exec_lo, exec_lo, s5
	s_and_saveexec_b32 s5, s3
	s_cbranch_execz .LBB113_14
.LBB113_18:                             ;   in Loop: Header=BB113_4 Depth=1
	s_wait_loadcnt 0x0
	v_cmp_u_f32_e32 vcc_lo, v11, v11
	v_cmp_gt_f32_e64 s2, s22, v11
	s_or_b32 vcc_lo, vcc_lo, s2
	s_wait_alu 0xfffe
	v_cndmask_b32_e32 v13, s22, v11, vcc_lo
	v_add_co_u32 v11, vcc_lo, v1, s24
	s_wait_alu 0xfffd
	v_add_co_ci_u32_e64 v12, null, 0, v2, vcc_lo
	global_store_b32 v[11:12], v13, off
	s_or_b32 exec_lo, exec_lo, s5
	s_and_saveexec_b32 s3, s4
	s_cbranch_execz .LBB113_3
.LBB113_19:                             ;   in Loop: Header=BB113_4 Depth=1
	s_wait_loadcnt 0x0
	v_cmp_u_f32_e32 vcc_lo, v14, v14
	v_cmp_gt_f32_e64 s2, s22, v14
	s_or_b32 vcc_lo, vcc_lo, s2
	s_wait_alu 0xfffe
	v_cndmask_b32_e32 v13, s22, v14, vcc_lo
	v_add_co_u32 v11, vcc_lo, v1, s18
	s_wait_alu 0xfffd
	v_add_co_ci_u32_e64 v12, null, s19, v2, vcc_lo
	global_store_b32 v[11:12], v13, off
	s_branch .LBB113_3
.LBB113_20:
	s_cbranch_execz .LBB113_22
	s_branch .LBB113_25
.LBB113_21:
.LBB113_22:
	v_cmp_gt_i64_e64 s2, 0x10000, s[10:11]
	v_dual_mov_b32 v2, 0 :: v_dual_lshlrev_b32 v1, 2, v0
	s_mov_b32 s12, 0
	s_and_b32 s2, s2, exec_lo
	s_cselect_b32 s11, s11, 0
	s_cselect_b32 s10, s10, 0x10000
	s_mov_b32 s2, exec_lo
	s_wait_alu 0xfffe
	v_cmpx_gt_i64_e64 s[10:11], v[1:2]
	s_cbranch_execz .LBB113_25
; %bb.23:
	s_load_b32 s2, s[0:1], 0xd3c
	v_lshlrev_b32_e32 v1, 4, v0
	s_add_nc_u64 s[0:1], s[6:7], s[8:9]
	s_delay_alu instid0(VALU_DEP_1) | instid1(SALU_CYCLE_1)
	v_add_co_u32 v3, s0, s0, v1
	s_wait_alu 0xf1ff
	v_add_co_ci_u32_e64 v4, null, s1, 0, s0
	v_mov_b32_e32 v1, v2
	s_delay_alu instid0(VALU_DEP_3) | instskip(SKIP_1) | instid1(VALU_DEP_3)
	v_add_co_u32 v2, vcc_lo, v3, 8
	s_wait_alu 0xfffd
	v_add_co_ci_u32_e64 v3, null, 0, v4, vcc_lo
	s_wait_kmcnt 0x0
	s_and_b32 s7, s2, 0xffff
	s_delay_alu instid0(SALU_CYCLE_1)
	s_lshl_b32 s8, s7, 4
.LBB113_24:                             ; =>This Inner Loop Header: Depth=1
	global_load_b128 v[4:7], v[2:3], off offset:-8
	v_add_co_u32 v0, vcc_lo, v0, s7
	s_wait_alu 0xfffd
	v_add_co_ci_u32_e64 v1, null, 0, v1, vcc_lo
	s_delay_alu instid0(VALU_DEP_1)
	v_lshlrev_b64_e32 v[8:9], 2, v[0:1]
	s_wait_loadcnt 0x0
	v_cmp_u_f32_e32 vcc_lo, v4, v4
	v_cmp_gt_f32_e64 s0, s22, v4
	v_cmp_u_f32_e64 s1, v5, v5
	v_cmp_gt_f32_e64 s2, s22, v5
	v_cmp_u_f32_e64 s3, v6, v6
	v_cmp_gt_f32_e64 s4, s22, v6
	s_or_b32 vcc_lo, vcc_lo, s0
	v_cmp_u_f32_e64 s5, v7, v7
	v_cmp_gt_f32_e64 s6, s22, v7
	s_wait_alu 0xfffe
	v_cndmask_b32_e32 v4, s22, v4, vcc_lo
	s_or_b32 vcc_lo, s1, s2
	s_wait_alu 0xfffe
	v_cndmask_b32_e32 v5, s22, v5, vcc_lo
	s_or_b32 vcc_lo, s3, s4
	;; [unrolled: 3-line block ×3, first 2 shown]
	s_wait_alu 0xfffe
	v_cndmask_b32_e32 v7, s22, v7, vcc_lo
	v_cmp_le_i64_e32 vcc_lo, s[10:11], v[8:9]
	global_store_b128 v[2:3], v[4:7], off offset:-8
	v_add_co_u32 v2, s0, v2, s8
	s_wait_alu 0xf1ff
	v_add_co_ci_u32_e64 v3, null, 0, v3, s0
	s_or_b32 s12, vcc_lo, s12
	s_delay_alu instid0(SALU_CYCLE_1)
	s_and_not1_b32 exec_lo, exec_lo, s12
	s_cbranch_execnz .LBB113_24
.LBB113_25:
	s_endpgm
	.section	.rodata,"a",@progbits
	.p2align	6, 0x0
	.amdhsa_kernel _ZN2at6native12_GLOBAL__N_125multi_tensor_apply_kernelINS1_18TensorListMetadataILi1EEENS1_21BinaryOpScalarFunctorIfLi1ELi1ELi0EEEJNS0_7minimumIfEEfEEEvT_T0_DpT1_
		.amdhsa_group_segment_fixed_size 0
		.amdhsa_private_segment_fixed_size 0
		.amdhsa_kernarg_size 3632
		.amdhsa_user_sgpr_count 2
		.amdhsa_user_sgpr_dispatch_ptr 0
		.amdhsa_user_sgpr_queue_ptr 0
		.amdhsa_user_sgpr_kernarg_segment_ptr 1
		.amdhsa_user_sgpr_dispatch_id 0
		.amdhsa_user_sgpr_private_segment_size 0
		.amdhsa_wavefront_size32 1
		.amdhsa_uses_dynamic_stack 0
		.amdhsa_enable_private_segment 0
		.amdhsa_system_sgpr_workgroup_id_x 1
		.amdhsa_system_sgpr_workgroup_id_y 0
		.amdhsa_system_sgpr_workgroup_id_z 0
		.amdhsa_system_sgpr_workgroup_info 0
		.amdhsa_system_vgpr_workitem_id 0
		.amdhsa_next_free_vgpr 16
		.amdhsa_next_free_sgpr 26
		.amdhsa_reserve_vcc 1
		.amdhsa_float_round_mode_32 0
		.amdhsa_float_round_mode_16_64 0
		.amdhsa_float_denorm_mode_32 3
		.amdhsa_float_denorm_mode_16_64 3
		.amdhsa_fp16_overflow 0
		.amdhsa_workgroup_processor_mode 1
		.amdhsa_memory_ordered 1
		.amdhsa_forward_progress 1
		.amdhsa_inst_pref_size 12
		.amdhsa_round_robin_scheduling 0
		.amdhsa_exception_fp_ieee_invalid_op 0
		.amdhsa_exception_fp_denorm_src 0
		.amdhsa_exception_fp_ieee_div_zero 0
		.amdhsa_exception_fp_ieee_overflow 0
		.amdhsa_exception_fp_ieee_underflow 0
		.amdhsa_exception_fp_ieee_inexact 0
		.amdhsa_exception_int_div_zero 0
	.end_amdhsa_kernel
	.section	.text._ZN2at6native12_GLOBAL__N_125multi_tensor_apply_kernelINS1_18TensorListMetadataILi1EEENS1_21BinaryOpScalarFunctorIfLi1ELi1ELi0EEEJNS0_7minimumIfEEfEEEvT_T0_DpT1_,"axG",@progbits,_ZN2at6native12_GLOBAL__N_125multi_tensor_apply_kernelINS1_18TensorListMetadataILi1EEENS1_21BinaryOpScalarFunctorIfLi1ELi1ELi0EEEJNS0_7minimumIfEEfEEEvT_T0_DpT1_,comdat
.Lfunc_end113:
	.size	_ZN2at6native12_GLOBAL__N_125multi_tensor_apply_kernelINS1_18TensorListMetadataILi1EEENS1_21BinaryOpScalarFunctorIfLi1ELi1ELi0EEEJNS0_7minimumIfEEfEEEvT_T0_DpT1_, .Lfunc_end113-_ZN2at6native12_GLOBAL__N_125multi_tensor_apply_kernelINS1_18TensorListMetadataILi1EEENS1_21BinaryOpScalarFunctorIfLi1ELi1ELi0EEEJNS0_7minimumIfEEfEEEvT_T0_DpT1_
                                        ; -- End function
	.set _ZN2at6native12_GLOBAL__N_125multi_tensor_apply_kernelINS1_18TensorListMetadataILi1EEENS1_21BinaryOpScalarFunctorIfLi1ELi1ELi0EEEJNS0_7minimumIfEEfEEEvT_T0_DpT1_.num_vgpr, 16
	.set _ZN2at6native12_GLOBAL__N_125multi_tensor_apply_kernelINS1_18TensorListMetadataILi1EEENS1_21BinaryOpScalarFunctorIfLi1ELi1ELi0EEEJNS0_7minimumIfEEfEEEvT_T0_DpT1_.num_agpr, 0
	.set _ZN2at6native12_GLOBAL__N_125multi_tensor_apply_kernelINS1_18TensorListMetadataILi1EEENS1_21BinaryOpScalarFunctorIfLi1ELi1ELi0EEEJNS0_7minimumIfEEfEEEvT_T0_DpT1_.numbered_sgpr, 26
	.set _ZN2at6native12_GLOBAL__N_125multi_tensor_apply_kernelINS1_18TensorListMetadataILi1EEENS1_21BinaryOpScalarFunctorIfLi1ELi1ELi0EEEJNS0_7minimumIfEEfEEEvT_T0_DpT1_.num_named_barrier, 0
	.set _ZN2at6native12_GLOBAL__N_125multi_tensor_apply_kernelINS1_18TensorListMetadataILi1EEENS1_21BinaryOpScalarFunctorIfLi1ELi1ELi0EEEJNS0_7minimumIfEEfEEEvT_T0_DpT1_.private_seg_size, 0
	.set _ZN2at6native12_GLOBAL__N_125multi_tensor_apply_kernelINS1_18TensorListMetadataILi1EEENS1_21BinaryOpScalarFunctorIfLi1ELi1ELi0EEEJNS0_7minimumIfEEfEEEvT_T0_DpT1_.uses_vcc, 1
	.set _ZN2at6native12_GLOBAL__N_125multi_tensor_apply_kernelINS1_18TensorListMetadataILi1EEENS1_21BinaryOpScalarFunctorIfLi1ELi1ELi0EEEJNS0_7minimumIfEEfEEEvT_T0_DpT1_.uses_flat_scratch, 0
	.set _ZN2at6native12_GLOBAL__N_125multi_tensor_apply_kernelINS1_18TensorListMetadataILi1EEENS1_21BinaryOpScalarFunctorIfLi1ELi1ELi0EEEJNS0_7minimumIfEEfEEEvT_T0_DpT1_.has_dyn_sized_stack, 0
	.set _ZN2at6native12_GLOBAL__N_125multi_tensor_apply_kernelINS1_18TensorListMetadataILi1EEENS1_21BinaryOpScalarFunctorIfLi1ELi1ELi0EEEJNS0_7minimumIfEEfEEEvT_T0_DpT1_.has_recursion, 0
	.set _ZN2at6native12_GLOBAL__N_125multi_tensor_apply_kernelINS1_18TensorListMetadataILi1EEENS1_21BinaryOpScalarFunctorIfLi1ELi1ELi0EEEJNS0_7minimumIfEEfEEEvT_T0_DpT1_.has_indirect_call, 0
	.section	.AMDGPU.csdata,"",@progbits
; Kernel info:
; codeLenInByte = 1416
; TotalNumSgprs: 28
; NumVgprs: 16
; ScratchSize: 0
; MemoryBound: 0
; FloatMode: 240
; IeeeMode: 1
; LDSByteSize: 0 bytes/workgroup (compile time only)
; SGPRBlocks: 0
; VGPRBlocks: 1
; NumSGPRsForWavesPerEU: 28
; NumVGPRsForWavesPerEU: 16
; Occupancy: 16
; WaveLimiterHint : 0
; COMPUTE_PGM_RSRC2:SCRATCH_EN: 0
; COMPUTE_PGM_RSRC2:USER_SGPR: 2
; COMPUTE_PGM_RSRC2:TRAP_HANDLER: 0
; COMPUTE_PGM_RSRC2:TGID_X_EN: 1
; COMPUTE_PGM_RSRC2:TGID_Y_EN: 0
; COMPUTE_PGM_RSRC2:TGID_Z_EN: 0
; COMPUTE_PGM_RSRC2:TIDIG_COMP_CNT: 0
	.section	.text._ZN2at6native12_GLOBAL__N_125multi_tensor_apply_kernelINS1_18TensorListMetadataILi1EEENS1_21BinaryOpScalarFunctorIN3c104HalfELi1ELi1ELi0EEEJNS0_7minimumIfEEfEEEvT_T0_DpT1_,"axG",@progbits,_ZN2at6native12_GLOBAL__N_125multi_tensor_apply_kernelINS1_18TensorListMetadataILi1EEENS1_21BinaryOpScalarFunctorIN3c104HalfELi1ELi1ELi0EEEJNS0_7minimumIfEEfEEEvT_T0_DpT1_,comdat
	.globl	_ZN2at6native12_GLOBAL__N_125multi_tensor_apply_kernelINS1_18TensorListMetadataILi1EEENS1_21BinaryOpScalarFunctorIN3c104HalfELi1ELi1ELi0EEEJNS0_7minimumIfEEfEEEvT_T0_DpT1_ ; -- Begin function _ZN2at6native12_GLOBAL__N_125multi_tensor_apply_kernelINS1_18TensorListMetadataILi1EEENS1_21BinaryOpScalarFunctorIN3c104HalfELi1ELi1ELi0EEEJNS0_7minimumIfEEfEEEvT_T0_DpT1_
	.p2align	8
	.type	_ZN2at6native12_GLOBAL__N_125multi_tensor_apply_kernelINS1_18TensorListMetadataILi1EEENS1_21BinaryOpScalarFunctorIN3c104HalfELi1ELi1ELi0EEEJNS0_7minimumIfEEfEEEvT_T0_DpT1_,@function
_ZN2at6native12_GLOBAL__N_125multi_tensor_apply_kernelINS1_18TensorListMetadataILi1EEENS1_21BinaryOpScalarFunctorIN3c104HalfELi1ELi1ELi0EEEJNS0_7minimumIfEEfEEEvT_T0_DpT1_: ; @_ZN2at6native12_GLOBAL__N_125multi_tensor_apply_kernelINS1_18TensorListMetadataILi1EEENS1_21BinaryOpScalarFunctorIN3c104HalfELi1ELi1ELi0EEEJNS0_7minimumIfEEfEEEvT_T0_DpT1_
; %bb.0:
	s_load_u8 s8, s[0:1], ttmp9 offset:0x6e0
	s_mov_b32 s2, ttmp9
	s_mov_b32 s3, 0
	s_delay_alu instid0(SALU_CYCLE_1)
	s_mul_u64 s[4:5], s[2:3], 3
	s_add_nc_u64 s[6:7], s[0:1], s[2:3]
	s_mov_b32 s13, s3
	s_add_nc_u64 s[4:5], s[6:7], s[4:5]
	s_load_b32 s4, s[4:5], 0x820
	s_wait_kmcnt 0x0
	s_lshl_b32 s2, s8, 3
	s_clause 0x2
	s_load_b64 s[6:7], s[0:1], s2 offset:0x0
	s_load_b64 s[10:11], s[0:1], s2 offset:0x370
	s_load_b32 s22, s[0:1], 0xd2c
	s_ashr_i32 s5, s4, 31
	s_delay_alu instid0(SALU_CYCLE_1)
	s_lshl_b64 s[8:9], s[4:5], 17
	s_lshl_b64 s[4:5], s[4:5], 16
	s_wait_kmcnt 0x0
	s_and_b32 s2, s6, 7
	s_and_b32 s12, s10, 3
	s_sub_nc_u64 s[10:11], s[10:11], s[4:5]
	s_or_b64 s[2:3], s[2:3], s[12:13]
	s_delay_alu instid0(SALU_CYCLE_1)
	s_cmp_eq_u64 s[2:3], 0
	s_cbranch_scc1 .LBB114_21
; %bb.1:
	v_cmp_lt_i64_e64 s2, s[10:11], 1
	s_and_b32 vcc_lo, exec_lo, s2
	s_cbranch_vccnz .LBB114_20
; %bb.2:
	s_load_b32 s2, s[0:1], 0xd3c
	v_cmp_gt_i64_e64 s12, 0x10000, s[10:11]
	v_lshlrev_b32_e32 v1, 1, v0
	s_add_nc_u64 s[4:5], s[6:7], s[8:9]
	v_cmp_gt_u64_e64 s14, 0x10000, s[10:11]
	s_mov_b32 s3, 0
	s_cvt_f16_f32 s23, s22
	v_add_co_u32 v1, s13, s4, v1
	s_and_b32 s12, s12, exec_lo
	v_add_co_ci_u32_e64 v2, null, s5, 0, s13
	s_cselect_b32 s13, s11, 0
	s_cselect_b32 s12, s10, 0x10000
	s_wait_kmcnt 0x0
	s_and_b32 s2, s2, 0xffff
	s_and_b32 s14, s14, exec_lo
	v_add_co_u32 v5, s21, v0, s2
	s_cselect_b32 s15, s11, 0
	s_cselect_b32 s14, s10, 0x10000
	s_lshl_b32 s17, s2, 1
	v_lshlrev_b32_e32 v3, 1, v5
	s_mul_i32 s20, s2, 3
	v_add_co_u32 v9, s17, s17, v0
	v_add_co_u32 v6, s20, s20, v0
	s_delay_alu instid0(VALU_DEP_3)
	v_add_co_u32 v3, s4, s4, v3
	s_wait_alu 0xf1ff
	v_add_co_ci_u32_e64 v7, null, 0, 0, s20
	v_add_co_ci_u32_e64 v8, null, 0, 0, s21
	;; [unrolled: 1-line block ×4, first 2 shown]
	s_lshl_b32 s16, s2, 2
	s_mul_u64 s[18:19], s[2:3], 6
	s_mov_b32 s17, s3
	s_lshl_b32 s24, s2, 3
	s_mov_b64 s[20:21], 0
	s_branch .LBB114_4
.LBB114_3:                              ;   in Loop: Header=BB114_4 Depth=1
	s_wait_alu 0xfffe
	s_or_b32 exec_lo, exec_lo, s3
	s_add_nc_u64 s[20:21], s[20:21], s[16:17]
	v_add_co_u32 v1, vcc_lo, v1, s24
	s_wait_alu 0xfffe
	v_cmp_lt_i64_e64 s2, s[20:21], s[12:13]
	s_wait_alu 0xfffd
	v_add_co_ci_u32_e64 v2, null, 0, v2, vcc_lo
	v_add_co_u32 v3, vcc_lo, v3, s24
	s_wait_alu 0xfffd
	v_add_co_ci_u32_e64 v4, null, 0, v4, vcc_lo
	s_and_b32 vcc_lo, exec_lo, s2
	s_wait_alu 0xfffe
	s_cbranch_vccz .LBB114_20
.LBB114_4:                              ; =>This Inner Loop Header: Depth=1
	s_wait_loadcnt 0x0
	s_wait_alu 0xfffe
	v_add_co_u32 v11, s2, v0, s20
	s_wait_alu 0xf1ff
	v_add_co_ci_u32_e64 v12, null, 0, s21, s2
	s_delay_alu instid0(VALU_DEP_1)
	v_cmp_gt_u64_e32 vcc_lo, s[14:15], v[11:12]
	v_mov_b32_e32 v12, 0
	s_and_saveexec_b32 s2, vcc_lo
	s_cbranch_execz .LBB114_6
; %bb.5:                                ;   in Loop: Header=BB114_4 Depth=1
	global_load_u16 v12, v[1:2], off
.LBB114_6:                              ;   in Loop: Header=BB114_4 Depth=1
	s_wait_alu 0xfffe
	s_or_b32 exec_lo, exec_lo, s2
	v_add_co_u32 v13, s2, v5, s20
	s_wait_alu 0xf1ff
	v_add_co_ci_u32_e64 v14, null, s21, v8, s2
	v_mov_b32_e32 v11, 0
	s_delay_alu instid0(VALU_DEP_2)
	v_cmp_gt_u64_e64 s2, s[14:15], v[13:14]
	v_mov_b32_e32 v13, 0
	s_and_saveexec_b32 s3, s2
	s_cbranch_execz .LBB114_8
; %bb.7:                                ;   in Loop: Header=BB114_4 Depth=1
	global_load_u16 v13, v[3:4], off
.LBB114_8:                              ;   in Loop: Header=BB114_4 Depth=1
	s_wait_alu 0xfffe
	s_or_b32 exec_lo, exec_lo, s3
	v_add_co_u32 v14, s3, v9, s20
	s_wait_alu 0xf1ff
	v_add_co_ci_u32_e64 v15, null, s21, v10, s3
	s_delay_alu instid0(VALU_DEP_1)
	v_cmp_gt_u64_e64 s3, s[14:15], v[14:15]
	s_and_saveexec_b32 s5, s3
	s_cbranch_execz .LBB114_10
; %bb.9:                                ;   in Loop: Header=BB114_4 Depth=1
	v_add_co_u32 v14, s4, v1, s16
	s_wait_alu 0xf1ff
	v_add_co_ci_u32_e64 v15, null, 0, v2, s4
	global_load_u16 v11, v[14:15], off
.LBB114_10:                             ;   in Loop: Header=BB114_4 Depth=1
	s_wait_alu 0xfffe
	s_or_b32 exec_lo, exec_lo, s5
	v_add_co_u32 v14, s4, v6, s20
	s_wait_alu 0xf1ff
	v_add_co_ci_u32_e64 v15, null, s21, v7, s4
	s_delay_alu instid0(VALU_DEP_1)
	v_cmp_gt_u64_e64 s4, s[14:15], v[14:15]
	v_mov_b32_e32 v14, 0
	s_and_saveexec_b32 s25, s4
	s_cbranch_execnz .LBB114_15
; %bb.11:                               ;   in Loop: Header=BB114_4 Depth=1
	s_wait_alu 0xfffe
	s_or_b32 exec_lo, exec_lo, s25
	s_and_saveexec_b32 s25, vcc_lo
	s_cbranch_execnz .LBB114_16
.LBB114_12:                             ;   in Loop: Header=BB114_4 Depth=1
	s_wait_alu 0xfffe
	s_or_b32 exec_lo, exec_lo, s25
	s_and_saveexec_b32 s5, s2
	s_cbranch_execnz .LBB114_17
.LBB114_13:                             ;   in Loop: Header=BB114_4 Depth=1
	s_wait_alu 0xfffe
	s_or_b32 exec_lo, exec_lo, s5
	s_and_saveexec_b32 s5, s3
	s_cbranch_execnz .LBB114_18
.LBB114_14:                             ;   in Loop: Header=BB114_4 Depth=1
	s_wait_alu 0xfffe
	s_or_b32 exec_lo, exec_lo, s5
	s_and_saveexec_b32 s3, s4
	s_cbranch_execz .LBB114_3
	s_branch .LBB114_19
.LBB114_15:                             ;   in Loop: Header=BB114_4 Depth=1
	v_add_co_u32 v14, s5, v1, s18
	s_wait_alu 0xf1ff
	v_add_co_ci_u32_e64 v15, null, s19, v2, s5
	global_load_u16 v14, v[14:15], off
	s_wait_alu 0xfffe
	s_or_b32 exec_lo, exec_lo, s25
	s_and_saveexec_b32 s25, vcc_lo
	s_cbranch_execz .LBB114_12
.LBB114_16:                             ;   in Loop: Header=BB114_4 Depth=1
	s_wait_loadcnt 0x0
	v_cvt_f32_f16_e32 v15, v12
	v_cmp_u_f16_e32 vcc_lo, v12, v12
	s_delay_alu instid0(VALU_DEP_2)
	v_cmp_gt_f32_e64 s5, s22, v15
	s_or_b32 vcc_lo, vcc_lo, s5
	s_wait_alu 0xfffe
	v_cndmask_b32_e32 v12, s23, v12, vcc_lo
	global_store_b16 v[1:2], v12, off
	s_or_b32 exec_lo, exec_lo, s25
	s_and_saveexec_b32 s5, s2
	s_cbranch_execz .LBB114_13
.LBB114_17:                             ;   in Loop: Header=BB114_4 Depth=1
	s_wait_loadcnt 0x0
	v_cvt_f32_f16_e32 v12, v13
	v_cmp_u_f16_e32 vcc_lo, v13, v13
	s_delay_alu instid0(VALU_DEP_2)
	v_cmp_gt_f32_e64 s2, s22, v12
	s_or_b32 vcc_lo, vcc_lo, s2
	s_wait_alu 0xfffe
	v_cndmask_b32_e32 v12, s23, v13, vcc_lo
	global_store_b16 v[3:4], v12, off
	s_or_b32 exec_lo, exec_lo, s5
	s_and_saveexec_b32 s5, s3
	s_cbranch_execz .LBB114_14
.LBB114_18:                             ;   in Loop: Header=BB114_4 Depth=1
	s_wait_loadcnt 0x0
	v_cvt_f32_f16_e32 v12, v11
	v_cmp_u_f16_e32 vcc_lo, v11, v11
	s_delay_alu instid0(VALU_DEP_2)
	v_cmp_gt_f32_e64 s2, s22, v12
	s_or_b32 vcc_lo, vcc_lo, s2
	s_wait_alu 0xfffe
	v_cndmask_b32_e32 v13, s23, v11, vcc_lo
	v_add_co_u32 v11, vcc_lo, v1, s16
	s_wait_alu 0xfffd
	v_add_co_ci_u32_e64 v12, null, 0, v2, vcc_lo
	global_store_b16 v[11:12], v13, off
	s_or_b32 exec_lo, exec_lo, s5
	s_and_saveexec_b32 s3, s4
	s_cbranch_execz .LBB114_3
.LBB114_19:                             ;   in Loop: Header=BB114_4 Depth=1
	s_wait_loadcnt 0x0
	v_cvt_f32_f16_e32 v11, v14
	v_cmp_u_f16_e32 vcc_lo, v14, v14
	s_delay_alu instid0(VALU_DEP_2)
	v_cmp_gt_f32_e64 s2, s22, v11
	s_or_b32 vcc_lo, vcc_lo, s2
	s_wait_alu 0xfffe
	v_cndmask_b32_e32 v13, s23, v14, vcc_lo
	v_add_co_u32 v11, vcc_lo, v1, s18
	s_wait_alu 0xfffd
	v_add_co_ci_u32_e64 v12, null, s19, v2, vcc_lo
	global_store_b16 v[11:12], v13, off
	s_branch .LBB114_3
.LBB114_20:
	s_cbranch_execz .LBB114_22
	s_branch .LBB114_25
.LBB114_21:
.LBB114_22:
	v_cmp_gt_i64_e64 s2, 0x10000, s[10:11]
	v_dual_mov_b32 v2, 0 :: v_dual_lshlrev_b32 v1, 2, v0
	s_mov_b32 s12, 0
	s_and_b32 s2, s2, exec_lo
	s_cselect_b32 s11, s11, 0
	s_cselect_b32 s10, s10, 0x10000
	s_mov_b32 s2, exec_lo
	s_wait_alu 0xfffe
	v_cmpx_gt_i64_e64 s[10:11], v[1:2]
	s_cbranch_execz .LBB114_25
; %bb.23:
	s_load_b32 s2, s[0:1], 0xd3c
	v_lshlrev_b32_e32 v3, 3, v0
	s_add_nc_u64 s[0:1], s[6:7], s[8:9]
	v_mov_b32_e32 v1, v2
	s_cvt_f16_f32 s13, s22
	s_mov_b32 s6, s22
	v_add_co_u32 v2, s0, s0, v3
	s_wait_alu 0xf1ff
	v_add_co_ci_u32_e64 v3, null, s1, 0, s0
	s_wait_alu 0xfffe
	s_pack_ll_b32_b16 s8, s13, s13
	v_add_co_u32 v2, vcc_lo, v2, 6
	s_wait_alu 0xfffd
	v_add_co_ci_u32_e64 v3, null, 0, v3, vcc_lo
	s_lshr_b32 s14, s8, 16
	s_wait_kmcnt 0x0
	s_and_b32 s7, s2, 0xffff
	s_delay_alu instid0(SALU_CYCLE_1)
	s_lshl_b32 s9, s7, 3
.LBB114_24:                             ; =>This Inner Loop Header: Depth=1
	global_load_b64 v[4:5], v[2:3], off offset:-6
	v_add_co_u32 v0, vcc_lo, v0, s7
	s_wait_alu 0xfffd
	v_add_co_ci_u32_e64 v1, null, 0, v1, vcc_lo
	s_wait_loadcnt 0x0
	v_cvt_f32_f16_e32 v6, v4
	v_lshrrev_b32_e32 v7, 16, v5
	v_lshrrev_b32_e32 v8, 16, v4
	v_cmp_u_f16_e32 vcc_lo, v4, v4
	v_cvt_f32_f16_e32 v9, v5
	v_cmp_gt_f32_e64 s1, s22, v6
	v_cvt_f32_f16_e32 v6, v7
	v_cvt_f32_f16_e32 v10, v8
	v_cmp_u_f16_e64 s0, v5, v5
	v_cmp_gt_f32_e64 s4, s6, v9
	s_or_b32 vcc_lo, vcc_lo, s1
	v_cmp_u_f16_e64 s2, v7, v7
	v_cmp_u_f16_e64 s3, v8, v8
	v_cmp_gt_f32_e64 s5, s22, v6
	s_wait_alu 0xfffe
	v_cndmask_b32_e32 v6, s13, v4, vcc_lo
	v_cmp_gt_f32_e32 vcc_lo, s22, v10
	s_or_b32 s0, s0, s4
	s_wait_alu 0xfffe
	v_cndmask_b32_e64 v9, s14, v5, s0
	s_or_b32 s0, s2, s5
	s_or_b32 vcc_lo, s3, vcc_lo
	s_wait_alu 0xfffe
	v_cndmask_b32_e64 v7, s13, v7, s0
	v_cndmask_b32_e32 v8, s8, v8, vcc_lo
	v_lshlrev_b64_e32 v[4:5], 2, v[0:1]
	s_delay_alu instid0(VALU_DEP_3) | instskip(NEXT) | instid1(VALU_DEP_3)
	v_perm_b32 v7, v7, v9, 0x5040100
	v_perm_b32 v6, v8, v6, 0x5040100
	s_delay_alu instid0(VALU_DEP_3)
	v_cmp_le_i64_e32 vcc_lo, s[10:11], v[4:5]
	global_store_b64 v[2:3], v[6:7], off offset:-6
	v_add_co_u32 v2, s0, v2, s9
	s_wait_alu 0xf1ff
	v_add_co_ci_u32_e64 v3, null, 0, v3, s0
	s_or_b32 s12, vcc_lo, s12
	s_wait_alu 0xfffe
	s_and_not1_b32 exec_lo, exec_lo, s12
	s_cbranch_execnz .LBB114_24
.LBB114_25:
	s_endpgm
	.section	.rodata,"a",@progbits
	.p2align	6, 0x0
	.amdhsa_kernel _ZN2at6native12_GLOBAL__N_125multi_tensor_apply_kernelINS1_18TensorListMetadataILi1EEENS1_21BinaryOpScalarFunctorIN3c104HalfELi1ELi1ELi0EEEJNS0_7minimumIfEEfEEEvT_T0_DpT1_
		.amdhsa_group_segment_fixed_size 0
		.amdhsa_private_segment_fixed_size 0
		.amdhsa_kernarg_size 3632
		.amdhsa_user_sgpr_count 2
		.amdhsa_user_sgpr_dispatch_ptr 0
		.amdhsa_user_sgpr_queue_ptr 0
		.amdhsa_user_sgpr_kernarg_segment_ptr 1
		.amdhsa_user_sgpr_dispatch_id 0
		.amdhsa_user_sgpr_private_segment_size 0
		.amdhsa_wavefront_size32 1
		.amdhsa_uses_dynamic_stack 0
		.amdhsa_enable_private_segment 0
		.amdhsa_system_sgpr_workgroup_id_x 1
		.amdhsa_system_sgpr_workgroup_id_y 0
		.amdhsa_system_sgpr_workgroup_id_z 0
		.amdhsa_system_sgpr_workgroup_info 0
		.amdhsa_system_vgpr_workitem_id 0
		.amdhsa_next_free_vgpr 16
		.amdhsa_next_free_sgpr 26
		.amdhsa_reserve_vcc 1
		.amdhsa_float_round_mode_32 0
		.amdhsa_float_round_mode_16_64 0
		.amdhsa_float_denorm_mode_32 3
		.amdhsa_float_denorm_mode_16_64 3
		.amdhsa_fp16_overflow 0
		.amdhsa_workgroup_processor_mode 1
		.amdhsa_memory_ordered 1
		.amdhsa_forward_progress 1
		.amdhsa_inst_pref_size 12
		.amdhsa_round_robin_scheduling 0
		.amdhsa_exception_fp_ieee_invalid_op 0
		.amdhsa_exception_fp_denorm_src 0
		.amdhsa_exception_fp_ieee_div_zero 0
		.amdhsa_exception_fp_ieee_overflow 0
		.amdhsa_exception_fp_ieee_underflow 0
		.amdhsa_exception_fp_ieee_inexact 0
		.amdhsa_exception_int_div_zero 0
	.end_amdhsa_kernel
	.section	.text._ZN2at6native12_GLOBAL__N_125multi_tensor_apply_kernelINS1_18TensorListMetadataILi1EEENS1_21BinaryOpScalarFunctorIN3c104HalfELi1ELi1ELi0EEEJNS0_7minimumIfEEfEEEvT_T0_DpT1_,"axG",@progbits,_ZN2at6native12_GLOBAL__N_125multi_tensor_apply_kernelINS1_18TensorListMetadataILi1EEENS1_21BinaryOpScalarFunctorIN3c104HalfELi1ELi1ELi0EEEJNS0_7minimumIfEEfEEEvT_T0_DpT1_,comdat
.Lfunc_end114:
	.size	_ZN2at6native12_GLOBAL__N_125multi_tensor_apply_kernelINS1_18TensorListMetadataILi1EEENS1_21BinaryOpScalarFunctorIN3c104HalfELi1ELi1ELi0EEEJNS0_7minimumIfEEfEEEvT_T0_DpT1_, .Lfunc_end114-_ZN2at6native12_GLOBAL__N_125multi_tensor_apply_kernelINS1_18TensorListMetadataILi1EEENS1_21BinaryOpScalarFunctorIN3c104HalfELi1ELi1ELi0EEEJNS0_7minimumIfEEfEEEvT_T0_DpT1_
                                        ; -- End function
	.set _ZN2at6native12_GLOBAL__N_125multi_tensor_apply_kernelINS1_18TensorListMetadataILi1EEENS1_21BinaryOpScalarFunctorIN3c104HalfELi1ELi1ELi0EEEJNS0_7minimumIfEEfEEEvT_T0_DpT1_.num_vgpr, 16
	.set _ZN2at6native12_GLOBAL__N_125multi_tensor_apply_kernelINS1_18TensorListMetadataILi1EEENS1_21BinaryOpScalarFunctorIN3c104HalfELi1ELi1ELi0EEEJNS0_7minimumIfEEfEEEvT_T0_DpT1_.num_agpr, 0
	.set _ZN2at6native12_GLOBAL__N_125multi_tensor_apply_kernelINS1_18TensorListMetadataILi1EEENS1_21BinaryOpScalarFunctorIN3c104HalfELi1ELi1ELi0EEEJNS0_7minimumIfEEfEEEvT_T0_DpT1_.numbered_sgpr, 26
	.set _ZN2at6native12_GLOBAL__N_125multi_tensor_apply_kernelINS1_18TensorListMetadataILi1EEENS1_21BinaryOpScalarFunctorIN3c104HalfELi1ELi1ELi0EEEJNS0_7minimumIfEEfEEEvT_T0_DpT1_.num_named_barrier, 0
	.set _ZN2at6native12_GLOBAL__N_125multi_tensor_apply_kernelINS1_18TensorListMetadataILi1EEENS1_21BinaryOpScalarFunctorIN3c104HalfELi1ELi1ELi0EEEJNS0_7minimumIfEEfEEEvT_T0_DpT1_.private_seg_size, 0
	.set _ZN2at6native12_GLOBAL__N_125multi_tensor_apply_kernelINS1_18TensorListMetadataILi1EEENS1_21BinaryOpScalarFunctorIN3c104HalfELi1ELi1ELi0EEEJNS0_7minimumIfEEfEEEvT_T0_DpT1_.uses_vcc, 1
	.set _ZN2at6native12_GLOBAL__N_125multi_tensor_apply_kernelINS1_18TensorListMetadataILi1EEENS1_21BinaryOpScalarFunctorIN3c104HalfELi1ELi1ELi0EEEJNS0_7minimumIfEEfEEEvT_T0_DpT1_.uses_flat_scratch, 0
	.set _ZN2at6native12_GLOBAL__N_125multi_tensor_apply_kernelINS1_18TensorListMetadataILi1EEENS1_21BinaryOpScalarFunctorIN3c104HalfELi1ELi1ELi0EEEJNS0_7minimumIfEEfEEEvT_T0_DpT1_.has_dyn_sized_stack, 0
	.set _ZN2at6native12_GLOBAL__N_125multi_tensor_apply_kernelINS1_18TensorListMetadataILi1EEENS1_21BinaryOpScalarFunctorIN3c104HalfELi1ELi1ELi0EEEJNS0_7minimumIfEEfEEEvT_T0_DpT1_.has_recursion, 0
	.set _ZN2at6native12_GLOBAL__N_125multi_tensor_apply_kernelINS1_18TensorListMetadataILi1EEENS1_21BinaryOpScalarFunctorIN3c104HalfELi1ELi1ELi0EEEJNS0_7minimumIfEEfEEEvT_T0_DpT1_.has_indirect_call, 0
	.section	.AMDGPU.csdata,"",@progbits
; Kernel info:
; codeLenInByte = 1512
; TotalNumSgprs: 28
; NumVgprs: 16
; ScratchSize: 0
; MemoryBound: 0
; FloatMode: 240
; IeeeMode: 1
; LDSByteSize: 0 bytes/workgroup (compile time only)
; SGPRBlocks: 0
; VGPRBlocks: 1
; NumSGPRsForWavesPerEU: 28
; NumVGPRsForWavesPerEU: 16
; Occupancy: 16
; WaveLimiterHint : 0
; COMPUTE_PGM_RSRC2:SCRATCH_EN: 0
; COMPUTE_PGM_RSRC2:USER_SGPR: 2
; COMPUTE_PGM_RSRC2:TRAP_HANDLER: 0
; COMPUTE_PGM_RSRC2:TGID_X_EN: 1
; COMPUTE_PGM_RSRC2:TGID_Y_EN: 0
; COMPUTE_PGM_RSRC2:TGID_Z_EN: 0
; COMPUTE_PGM_RSRC2:TIDIG_COMP_CNT: 0
	.section	.text._ZN2at6native12_GLOBAL__N_125multi_tensor_apply_kernelINS1_18TensorListMetadataILi1EEENS1_21BinaryOpScalarFunctorIN3c108BFloat16ELi1ELi1ELi0EEEJNS0_7minimumIfEEfEEEvT_T0_DpT1_,"axG",@progbits,_ZN2at6native12_GLOBAL__N_125multi_tensor_apply_kernelINS1_18TensorListMetadataILi1EEENS1_21BinaryOpScalarFunctorIN3c108BFloat16ELi1ELi1ELi0EEEJNS0_7minimumIfEEfEEEvT_T0_DpT1_,comdat
	.globl	_ZN2at6native12_GLOBAL__N_125multi_tensor_apply_kernelINS1_18TensorListMetadataILi1EEENS1_21BinaryOpScalarFunctorIN3c108BFloat16ELi1ELi1ELi0EEEJNS0_7minimumIfEEfEEEvT_T0_DpT1_ ; -- Begin function _ZN2at6native12_GLOBAL__N_125multi_tensor_apply_kernelINS1_18TensorListMetadataILi1EEENS1_21BinaryOpScalarFunctorIN3c108BFloat16ELi1ELi1ELi0EEEJNS0_7minimumIfEEfEEEvT_T0_DpT1_
	.p2align	8
	.type	_ZN2at6native12_GLOBAL__N_125multi_tensor_apply_kernelINS1_18TensorListMetadataILi1EEENS1_21BinaryOpScalarFunctorIN3c108BFloat16ELi1ELi1ELi0EEEJNS0_7minimumIfEEfEEEvT_T0_DpT1_,@function
_ZN2at6native12_GLOBAL__N_125multi_tensor_apply_kernelINS1_18TensorListMetadataILi1EEENS1_21BinaryOpScalarFunctorIN3c108BFloat16ELi1ELi1ELi0EEEJNS0_7minimumIfEEfEEEvT_T0_DpT1_: ; @_ZN2at6native12_GLOBAL__N_125multi_tensor_apply_kernelINS1_18TensorListMetadataILi1EEENS1_21BinaryOpScalarFunctorIN3c108BFloat16ELi1ELi1ELi0EEEJNS0_7minimumIfEEfEEEvT_T0_DpT1_
; %bb.0:
	s_load_u8 s8, s[0:1], ttmp9 offset:0x6e0
	s_mov_b32 s2, ttmp9
	s_mov_b32 s3, 0
	s_delay_alu instid0(SALU_CYCLE_1)
	s_mul_u64 s[4:5], s[2:3], 3
	s_add_nc_u64 s[6:7], s[0:1], s[2:3]
	s_mov_b32 s13, s3
	s_add_nc_u64 s[4:5], s[6:7], s[4:5]
	s_load_b32 s4, s[4:5], 0x820
	s_wait_kmcnt 0x0
	s_lshl_b32 s2, s8, 3
	s_clause 0x2
	s_load_b64 s[6:7], s[0:1], s2 offset:0x0
	s_load_b64 s[10:11], s[0:1], s2 offset:0x370
	s_load_b32 s22, s[0:1], 0xd2c
	s_ashr_i32 s5, s4, 31
	s_delay_alu instid0(SALU_CYCLE_1)
	s_lshl_b64 s[8:9], s[4:5], 17
	s_lshl_b64 s[4:5], s[4:5], 16
	s_wait_kmcnt 0x0
	s_and_b32 s2, s6, 7
	s_and_b32 s12, s10, 3
	s_sub_nc_u64 s[10:11], s[10:11], s[4:5]
	s_or_b64 s[2:3], s[2:3], s[12:13]
	s_delay_alu instid0(SALU_CYCLE_1)
	s_cmp_eq_u64 s[2:3], 0
	s_cbranch_scc1 .LBB115_21
; %bb.1:
	v_cmp_lt_i64_e64 s2, s[10:11], 1
	s_and_b32 vcc_lo, exec_lo, s2
	s_cbranch_vccnz .LBB115_20
; %bb.2:
	s_load_b32 s2, s[0:1], 0xd3c
	v_cmp_gt_i64_e64 s12, 0x10000, s[10:11]
	v_lshlrev_b32_e32 v1, 1, v0
	s_add_nc_u64 s[4:5], s[6:7], s[8:9]
	v_cmp_gt_u64_e64 s14, 0x10000, s[10:11]
	s_mov_b32 s3, 0
	v_add_co_u32 v1, s13, s4, v1
	s_and_b32 s12, s12, exec_lo
	v_add_co_ci_u32_e64 v2, null, s5, 0, s13
	s_cselect_b32 s13, s11, 0
	s_cselect_b32 s12, s10, 0x10000
	s_wait_kmcnt 0x0
	s_and_b32 s2, s2, 0xffff
	s_and_b32 s14, s14, exec_lo
	v_add_co_u32 v5, s21, v0, s2
	s_cselect_b32 s15, s11, 0
	s_cselect_b32 s14, s10, 0x10000
	s_lshl_b32 s17, s2, 1
	v_lshlrev_b32_e32 v3, 1, v5
	s_mul_i32 s20, s2, 3
	v_add_co_u32 v9, s17, s17, v0
	v_add_co_u32 v6, s20, s20, v0
	s_delay_alu instid0(VALU_DEP_3)
	v_add_co_u32 v3, s4, s4, v3
	s_wait_alu 0xf1ff
	v_add_co_ci_u32_e64 v7, null, 0, 0, s20
	v_add_co_ci_u32_e64 v8, null, 0, 0, s21
	;; [unrolled: 1-line block ×4, first 2 shown]
	s_lshl_b32 s16, s2, 2
	s_mul_u64 s[18:19], s[2:3], 6
	s_mov_b32 s17, s3
	s_lshl_b32 s23, s2, 3
	s_mov_b64 s[20:21], 0
	s_branch .LBB115_4
.LBB115_3:                              ;   in Loop: Header=BB115_4 Depth=1
	s_wait_alu 0xfffe
	s_or_b32 exec_lo, exec_lo, s3
	s_add_nc_u64 s[20:21], s[20:21], s[16:17]
	v_add_co_u32 v1, vcc_lo, v1, s23
	s_wait_alu 0xfffe
	v_cmp_lt_i64_e64 s2, s[20:21], s[12:13]
	s_wait_alu 0xfffd
	v_add_co_ci_u32_e64 v2, null, 0, v2, vcc_lo
	v_add_co_u32 v3, vcc_lo, v3, s23
	s_wait_alu 0xfffd
	v_add_co_ci_u32_e64 v4, null, 0, v4, vcc_lo
	s_and_b32 vcc_lo, exec_lo, s2
	s_wait_alu 0xfffe
	s_cbranch_vccz .LBB115_20
.LBB115_4:                              ; =>This Inner Loop Header: Depth=1
	s_wait_alu 0xfffe
	v_add_co_u32 v11, s2, v0, s20
	s_wait_alu 0xf1ff
	v_add_co_ci_u32_e64 v12, null, 0, s21, s2
	s_delay_alu instid0(VALU_DEP_1)
	v_cmp_gt_u64_e32 vcc_lo, s[14:15], v[11:12]
	v_mov_b32_e32 v12, 0
	s_and_saveexec_b32 s2, vcc_lo
	s_cbranch_execz .LBB115_6
; %bb.5:                                ;   in Loop: Header=BB115_4 Depth=1
	global_load_u16 v11, v[1:2], off
	s_wait_loadcnt 0x0
	v_lshlrev_b32_e32 v12, 16, v11
.LBB115_6:                              ;   in Loop: Header=BB115_4 Depth=1
	s_wait_alu 0xfffe
	s_or_b32 exec_lo, exec_lo, s2
	v_add_co_u32 v13, s2, v5, s20
	s_wait_alu 0xf1ff
	v_add_co_ci_u32_e64 v14, null, s21, v8, s2
	v_mov_b32_e32 v11, 0
	s_delay_alu instid0(VALU_DEP_2)
	v_cmp_gt_u64_e64 s2, s[14:15], v[13:14]
	v_mov_b32_e32 v13, 0
	s_and_saveexec_b32 s3, s2
	s_cbranch_execz .LBB115_8
; %bb.7:                                ;   in Loop: Header=BB115_4 Depth=1
	global_load_u16 v13, v[3:4], off
	s_wait_loadcnt 0x0
	v_lshlrev_b32_e32 v13, 16, v13
.LBB115_8:                              ;   in Loop: Header=BB115_4 Depth=1
	s_wait_alu 0xfffe
	s_or_b32 exec_lo, exec_lo, s3
	v_add_co_u32 v14, s3, v9, s20
	s_wait_alu 0xf1ff
	v_add_co_ci_u32_e64 v15, null, s21, v10, s3
	s_delay_alu instid0(VALU_DEP_1)
	v_cmp_gt_u64_e64 s3, s[14:15], v[14:15]
	s_and_saveexec_b32 s5, s3
	s_cbranch_execz .LBB115_10
; %bb.9:                                ;   in Loop: Header=BB115_4 Depth=1
	v_add_co_u32 v14, s4, v1, s16
	s_wait_alu 0xf1ff
	v_add_co_ci_u32_e64 v15, null, 0, v2, s4
	global_load_u16 v11, v[14:15], off
	s_wait_loadcnt 0x0
	v_lshlrev_b32_e32 v11, 16, v11
.LBB115_10:                             ;   in Loop: Header=BB115_4 Depth=1
	s_wait_alu 0xfffe
	s_or_b32 exec_lo, exec_lo, s5
	v_add_co_u32 v14, s4, v6, s20
	s_wait_alu 0xf1ff
	v_add_co_ci_u32_e64 v15, null, s21, v7, s4
	s_delay_alu instid0(VALU_DEP_1)
	v_cmp_gt_u64_e64 s4, s[14:15], v[14:15]
	v_mov_b32_e32 v14, 0
	s_and_saveexec_b32 s24, s4
	s_cbranch_execnz .LBB115_15
; %bb.11:                               ;   in Loop: Header=BB115_4 Depth=1
	s_or_b32 exec_lo, exec_lo, s24
	s_and_saveexec_b32 s24, vcc_lo
	s_cbranch_execnz .LBB115_16
.LBB115_12:                             ;   in Loop: Header=BB115_4 Depth=1
	s_or_b32 exec_lo, exec_lo, s24
	s_and_saveexec_b32 s5, s2
	s_cbranch_execnz .LBB115_17
.LBB115_13:                             ;   in Loop: Header=BB115_4 Depth=1
	s_wait_alu 0xfffe
	s_or_b32 exec_lo, exec_lo, s5
	s_and_saveexec_b32 s5, s3
	s_cbranch_execnz .LBB115_18
.LBB115_14:                             ;   in Loop: Header=BB115_4 Depth=1
	s_wait_alu 0xfffe
	s_or_b32 exec_lo, exec_lo, s5
	s_and_saveexec_b32 s3, s4
	s_cbranch_execz .LBB115_3
	s_branch .LBB115_19
.LBB115_15:                             ;   in Loop: Header=BB115_4 Depth=1
	v_add_co_u32 v14, s5, v1, s18
	s_wait_alu 0xf1ff
	v_add_co_ci_u32_e64 v15, null, s19, v2, s5
	global_load_u16 v14, v[14:15], off
	s_wait_loadcnt 0x0
	v_lshlrev_b32_e32 v14, 16, v14
	s_or_b32 exec_lo, exec_lo, s24
	s_and_saveexec_b32 s24, vcc_lo
	s_cbranch_execz .LBB115_12
.LBB115_16:                             ;   in Loop: Header=BB115_4 Depth=1
	v_cmp_u_f32_e32 vcc_lo, v12, v12
	v_cmp_gt_f32_e64 s5, s22, v12
	s_or_b32 vcc_lo, vcc_lo, s5
	s_wait_alu 0xfffe
	v_cndmask_b32_e32 v12, s22, v12, vcc_lo
	s_delay_alu instid0(VALU_DEP_1) | instskip(SKIP_1) | instid1(VALU_DEP_2)
	v_bfe_u32 v15, v12, 16, 1
	v_cmp_o_f32_e32 vcc_lo, v12, v12
	v_add3_u32 v15, v12, v15, 0x7fff
	s_delay_alu instid0(VALU_DEP_1) | instskip(SKIP_1) | instid1(VALU_DEP_1)
	v_lshrrev_b32_e32 v15, 16, v15
	s_wait_alu 0xfffd
	v_cndmask_b32_e32 v12, 0x7fc0, v15, vcc_lo
	global_store_b16 v[1:2], v12, off
	s_or_b32 exec_lo, exec_lo, s24
	s_and_saveexec_b32 s5, s2
	s_cbranch_execz .LBB115_13
.LBB115_17:                             ;   in Loop: Header=BB115_4 Depth=1
	v_cmp_u_f32_e32 vcc_lo, v13, v13
	v_cmp_gt_f32_e64 s2, s22, v13
	s_or_b32 vcc_lo, vcc_lo, s2
	s_wait_alu 0xfffe
	v_cndmask_b32_e32 v12, s22, v13, vcc_lo
	s_delay_alu instid0(VALU_DEP_1) | instskip(SKIP_1) | instid1(VALU_DEP_2)
	v_bfe_u32 v13, v12, 16, 1
	v_cmp_o_f32_e32 vcc_lo, v12, v12
	v_add3_u32 v13, v12, v13, 0x7fff
	s_delay_alu instid0(VALU_DEP_1) | instskip(SKIP_1) | instid1(VALU_DEP_1)
	v_lshrrev_b32_e32 v13, 16, v13
	s_wait_alu 0xfffd
	v_cndmask_b32_e32 v12, 0x7fc0, v13, vcc_lo
	global_store_b16 v[3:4], v12, off
	s_or_b32 exec_lo, exec_lo, s5
	s_and_saveexec_b32 s5, s3
	s_cbranch_execz .LBB115_14
.LBB115_18:                             ;   in Loop: Header=BB115_4 Depth=1
	v_cmp_u_f32_e32 vcc_lo, v11, v11
	v_cmp_gt_f32_e64 s2, s22, v11
	s_or_b32 vcc_lo, vcc_lo, s2
	s_wait_alu 0xfffe
	v_cndmask_b32_e32 v11, s22, v11, vcc_lo
	s_delay_alu instid0(VALU_DEP_1) | instskip(SKIP_1) | instid1(VALU_DEP_2)
	v_bfe_u32 v12, v11, 16, 1
	v_cmp_o_f32_e32 vcc_lo, v11, v11
	v_add3_u32 v12, v11, v12, 0x7fff
	s_delay_alu instid0(VALU_DEP_1) | instskip(SKIP_1) | instid1(VALU_DEP_1)
	v_lshrrev_b32_e32 v12, 16, v12
	s_wait_alu 0xfffd
	v_cndmask_b32_e32 v13, 0x7fc0, v12, vcc_lo
	v_add_co_u32 v11, vcc_lo, v1, s16
	s_wait_alu 0xfffd
	v_add_co_ci_u32_e64 v12, null, 0, v2, vcc_lo
	global_store_b16 v[11:12], v13, off
	s_or_b32 exec_lo, exec_lo, s5
	s_and_saveexec_b32 s3, s4
	s_cbranch_execz .LBB115_3
.LBB115_19:                             ;   in Loop: Header=BB115_4 Depth=1
	v_cmp_u_f32_e32 vcc_lo, v14, v14
	v_cmp_gt_f32_e64 s2, s22, v14
	s_or_b32 vcc_lo, vcc_lo, s2
	s_wait_alu 0xfffe
	v_cndmask_b32_e32 v11, s22, v14, vcc_lo
	s_delay_alu instid0(VALU_DEP_1) | instskip(SKIP_1) | instid1(VALU_DEP_2)
	v_bfe_u32 v12, v11, 16, 1
	v_cmp_o_f32_e32 vcc_lo, v11, v11
	v_add3_u32 v12, v11, v12, 0x7fff
	s_delay_alu instid0(VALU_DEP_1) | instskip(SKIP_1) | instid1(VALU_DEP_1)
	v_lshrrev_b32_e32 v12, 16, v12
	s_wait_alu 0xfffd
	v_cndmask_b32_e32 v13, 0x7fc0, v12, vcc_lo
	v_add_co_u32 v11, vcc_lo, v1, s18
	s_wait_alu 0xfffd
	v_add_co_ci_u32_e64 v12, null, s19, v2, vcc_lo
	global_store_b16 v[11:12], v13, off
	s_branch .LBB115_3
.LBB115_20:
	s_cbranch_execz .LBB115_22
	s_branch .LBB115_25
.LBB115_21:
.LBB115_22:
	v_cmp_gt_i64_e64 s2, 0x10000, s[10:11]
	v_dual_mov_b32 v2, 0 :: v_dual_lshlrev_b32 v1, 2, v0
	s_mov_b32 s5, 0
	s_and_b32 s2, s2, exec_lo
	s_cselect_b32 s11, s11, 0
	s_cselect_b32 s10, s10, 0x10000
	s_mov_b32 s2, exec_lo
	s_wait_alu 0xfffe
	v_cmpx_gt_i64_e64 s[10:11], v[1:2]
	s_cbranch_execz .LBB115_25
; %bb.23:
	s_load_b32 s2, s[0:1], 0xd3c
	v_lshlrev_b32_e32 v3, 3, v0
	s_add_nc_u64 s[0:1], s[6:7], s[8:9]
	v_mov_b32_e32 v1, v2
	s_delay_alu instid0(VALU_DEP_2) | instskip(SKIP_4) | instid1(SALU_CYCLE_1)
	v_add_co_u32 v2, s0, s0, v3
	s_wait_alu 0xf1ff
	v_add_co_ci_u32_e64 v3, null, s1, 0, s0
	s_wait_kmcnt 0x0
	s_and_b32 s6, s2, 0xffff
	s_lshl_b32 s7, s6, 3
.LBB115_24:                             ; =>This Inner Loop Header: Depth=1
	global_load_b64 v[4:5], v[2:3], off
	s_wait_loadcnt 0x0
	v_and_b32_e32 v7, 0xffff0000, v4
	s_delay_alu instid0(VALU_DEP_1) | instskip(SKIP_4) | instid1(VALU_DEP_1)
	v_cmp_u_f32_e64 s1, v7, v7
	v_cmp_gt_f32_e64 s2, s22, v7
	s_or_b32 s1, s1, s2
	s_wait_alu 0xfffe
	v_cndmask_b32_e64 v7, s22, v7, s1
	v_bfe_u32 v9, v7, 16, 1
	s_delay_alu instid0(VALU_DEP_1) | instskip(NEXT) | instid1(VALU_DEP_1)
	v_add3_u32 v9, v7, v9, 0x7fff
	v_and_b32_e32 v9, 0xffff0000, v9
	v_lshlrev_b32_e32 v6, 16, v4
	v_alignbit_b32 v4, v5, v4, 16
	v_and_b32_e32 v5, 0xffff0000, v5
	s_delay_alu instid0(VALU_DEP_3) | instskip(SKIP_1) | instid1(VALU_DEP_4)
	v_cmp_u_f32_e32 vcc_lo, v6, v6
	v_cmp_gt_f32_e64 s0, s22, v6
	v_and_b32_e32 v4, 0xffff0000, v4
	s_delay_alu instid0(VALU_DEP_4)
	v_cmp_u_f32_e64 s3, v5, v5
	v_cmp_gt_f32_e64 s4, s22, v5
	s_or_b32 vcc_lo, vcc_lo, s0
	v_cmp_gt_f32_e64 s0, s22, v4
	s_wait_alu 0xfffe
	v_cndmask_b32_e32 v6, s22, v6, vcc_lo
	v_cmp_u_f32_e32 vcc_lo, v4, v4
	s_or_b32 s1, s3, s4
	s_wait_alu 0xfffe
	v_cndmask_b32_e64 v5, s22, v5, s1
	v_bfe_u32 v8, v6, 16, 1
	s_or_b32 vcc_lo, vcc_lo, s0
	s_wait_alu 0xfffe
	v_cndmask_b32_e32 v4, s22, v4, vcc_lo
	v_add_co_u32 v0, vcc_lo, v0, s6
	v_bfe_u32 v10, v5, 16, 1
	v_add3_u32 v8, v6, v8, 0x7fff
	s_wait_alu 0xfffd
	v_add_co_ci_u32_e64 v1, null, 0, v1, vcc_lo
	v_cmp_o_f32_e32 vcc_lo, v7, v7
	v_bfe_u32 v11, v4, 16, 1
	v_add3_u32 v10, v5, v10, 0x7fff
	v_lshrrev_b32_e32 v8, 16, v8
	s_wait_alu 0xfffd
	v_cndmask_b32_e32 v7, 0x7fc00000, v9, vcc_lo
	v_cmp_o_f32_e32 vcc_lo, v6, v6
	v_add3_u32 v11, v4, v11, 0x7fff
	v_and_b32_e32 v10, 0xffff0000, v10
	s_wait_alu 0xfffd
	v_cndmask_b32_e32 v6, 0x7fc0, v8, vcc_lo
	v_cmp_o_f32_e32 vcc_lo, v5, v5
	v_lshrrev_b32_e32 v11, 16, v11
	s_delay_alu instid0(VALU_DEP_3)
	v_or_b32_e32 v6, v6, v7
	s_wait_alu 0xfffd
	v_cndmask_b32_e32 v8, 0x7fc00000, v10, vcc_lo
	v_cmp_o_f32_e32 vcc_lo, v4, v4
	v_lshlrev_b64_e32 v[4:5], 2, v[0:1]
	v_or3_b32 v6, v6, 0, 0
	s_wait_alu 0xfffd
	v_cndmask_b32_e32 v9, 0x7fc0, v11, vcc_lo
	s_delay_alu instid0(VALU_DEP_3) | instskip(NEXT) | instid1(VALU_DEP_2)
	v_cmp_le_i64_e32 vcc_lo, s[10:11], v[4:5]
	v_or3_b32 v7, 0, v9, v8
	s_or_b32 s5, vcc_lo, s5
	global_store_b64 v[2:3], v[6:7], off
	v_add_co_u32 v2, s0, v2, s7
	s_wait_alu 0xf1ff
	v_add_co_ci_u32_e64 v3, null, 0, v3, s0
	s_wait_alu 0xfffe
	s_and_not1_b32 exec_lo, exec_lo, s5
	s_cbranch_execnz .LBB115_24
.LBB115_25:
	s_endpgm
	.section	.rodata,"a",@progbits
	.p2align	6, 0x0
	.amdhsa_kernel _ZN2at6native12_GLOBAL__N_125multi_tensor_apply_kernelINS1_18TensorListMetadataILi1EEENS1_21BinaryOpScalarFunctorIN3c108BFloat16ELi1ELi1ELi0EEEJNS0_7minimumIfEEfEEEvT_T0_DpT1_
		.amdhsa_group_segment_fixed_size 0
		.amdhsa_private_segment_fixed_size 0
		.amdhsa_kernarg_size 3632
		.amdhsa_user_sgpr_count 2
		.amdhsa_user_sgpr_dispatch_ptr 0
		.amdhsa_user_sgpr_queue_ptr 0
		.amdhsa_user_sgpr_kernarg_segment_ptr 1
		.amdhsa_user_sgpr_dispatch_id 0
		.amdhsa_user_sgpr_private_segment_size 0
		.amdhsa_wavefront_size32 1
		.amdhsa_uses_dynamic_stack 0
		.amdhsa_enable_private_segment 0
		.amdhsa_system_sgpr_workgroup_id_x 1
		.amdhsa_system_sgpr_workgroup_id_y 0
		.amdhsa_system_sgpr_workgroup_id_z 0
		.amdhsa_system_sgpr_workgroup_info 0
		.amdhsa_system_vgpr_workitem_id 0
		.amdhsa_next_free_vgpr 16
		.amdhsa_next_free_sgpr 25
		.amdhsa_reserve_vcc 1
		.amdhsa_float_round_mode_32 0
		.amdhsa_float_round_mode_16_64 0
		.amdhsa_float_denorm_mode_32 3
		.amdhsa_float_denorm_mode_16_64 3
		.amdhsa_fp16_overflow 0
		.amdhsa_workgroup_processor_mode 1
		.amdhsa_memory_ordered 1
		.amdhsa_forward_progress 1
		.amdhsa_inst_pref_size 15
		.amdhsa_round_robin_scheduling 0
		.amdhsa_exception_fp_ieee_invalid_op 0
		.amdhsa_exception_fp_denorm_src 0
		.amdhsa_exception_fp_ieee_div_zero 0
		.amdhsa_exception_fp_ieee_overflow 0
		.amdhsa_exception_fp_ieee_underflow 0
		.amdhsa_exception_fp_ieee_inexact 0
		.amdhsa_exception_int_div_zero 0
	.end_amdhsa_kernel
	.section	.text._ZN2at6native12_GLOBAL__N_125multi_tensor_apply_kernelINS1_18TensorListMetadataILi1EEENS1_21BinaryOpScalarFunctorIN3c108BFloat16ELi1ELi1ELi0EEEJNS0_7minimumIfEEfEEEvT_T0_DpT1_,"axG",@progbits,_ZN2at6native12_GLOBAL__N_125multi_tensor_apply_kernelINS1_18TensorListMetadataILi1EEENS1_21BinaryOpScalarFunctorIN3c108BFloat16ELi1ELi1ELi0EEEJNS0_7minimumIfEEfEEEvT_T0_DpT1_,comdat
.Lfunc_end115:
	.size	_ZN2at6native12_GLOBAL__N_125multi_tensor_apply_kernelINS1_18TensorListMetadataILi1EEENS1_21BinaryOpScalarFunctorIN3c108BFloat16ELi1ELi1ELi0EEEJNS0_7minimumIfEEfEEEvT_T0_DpT1_, .Lfunc_end115-_ZN2at6native12_GLOBAL__N_125multi_tensor_apply_kernelINS1_18TensorListMetadataILi1EEENS1_21BinaryOpScalarFunctorIN3c108BFloat16ELi1ELi1ELi0EEEJNS0_7minimumIfEEfEEEvT_T0_DpT1_
                                        ; -- End function
	.set _ZN2at6native12_GLOBAL__N_125multi_tensor_apply_kernelINS1_18TensorListMetadataILi1EEENS1_21BinaryOpScalarFunctorIN3c108BFloat16ELi1ELi1ELi0EEEJNS0_7minimumIfEEfEEEvT_T0_DpT1_.num_vgpr, 16
	.set _ZN2at6native12_GLOBAL__N_125multi_tensor_apply_kernelINS1_18TensorListMetadataILi1EEENS1_21BinaryOpScalarFunctorIN3c108BFloat16ELi1ELi1ELi0EEEJNS0_7minimumIfEEfEEEvT_T0_DpT1_.num_agpr, 0
	.set _ZN2at6native12_GLOBAL__N_125multi_tensor_apply_kernelINS1_18TensorListMetadataILi1EEENS1_21BinaryOpScalarFunctorIN3c108BFloat16ELi1ELi1ELi0EEEJNS0_7minimumIfEEfEEEvT_T0_DpT1_.numbered_sgpr, 25
	.set _ZN2at6native12_GLOBAL__N_125multi_tensor_apply_kernelINS1_18TensorListMetadataILi1EEENS1_21BinaryOpScalarFunctorIN3c108BFloat16ELi1ELi1ELi0EEEJNS0_7minimumIfEEfEEEvT_T0_DpT1_.num_named_barrier, 0
	.set _ZN2at6native12_GLOBAL__N_125multi_tensor_apply_kernelINS1_18TensorListMetadataILi1EEENS1_21BinaryOpScalarFunctorIN3c108BFloat16ELi1ELi1ELi0EEEJNS0_7minimumIfEEfEEEvT_T0_DpT1_.private_seg_size, 0
	.set _ZN2at6native12_GLOBAL__N_125multi_tensor_apply_kernelINS1_18TensorListMetadataILi1EEENS1_21BinaryOpScalarFunctorIN3c108BFloat16ELi1ELi1ELi0EEEJNS0_7minimumIfEEfEEEvT_T0_DpT1_.uses_vcc, 1
	.set _ZN2at6native12_GLOBAL__N_125multi_tensor_apply_kernelINS1_18TensorListMetadataILi1EEENS1_21BinaryOpScalarFunctorIN3c108BFloat16ELi1ELi1ELi0EEEJNS0_7minimumIfEEfEEEvT_T0_DpT1_.uses_flat_scratch, 0
	.set _ZN2at6native12_GLOBAL__N_125multi_tensor_apply_kernelINS1_18TensorListMetadataILi1EEENS1_21BinaryOpScalarFunctorIN3c108BFloat16ELi1ELi1ELi0EEEJNS0_7minimumIfEEfEEEvT_T0_DpT1_.has_dyn_sized_stack, 0
	.set _ZN2at6native12_GLOBAL__N_125multi_tensor_apply_kernelINS1_18TensorListMetadataILi1EEENS1_21BinaryOpScalarFunctorIN3c108BFloat16ELi1ELi1ELi0EEEJNS0_7minimumIfEEfEEEvT_T0_DpT1_.has_recursion, 0
	.set _ZN2at6native12_GLOBAL__N_125multi_tensor_apply_kernelINS1_18TensorListMetadataILi1EEENS1_21BinaryOpScalarFunctorIN3c108BFloat16ELi1ELi1ELi0EEEJNS0_7minimumIfEEfEEEvT_T0_DpT1_.has_indirect_call, 0
	.section	.AMDGPU.csdata,"",@progbits
; Kernel info:
; codeLenInByte = 1824
; TotalNumSgprs: 27
; NumVgprs: 16
; ScratchSize: 0
; MemoryBound: 0
; FloatMode: 240
; IeeeMode: 1
; LDSByteSize: 0 bytes/workgroup (compile time only)
; SGPRBlocks: 0
; VGPRBlocks: 1
; NumSGPRsForWavesPerEU: 27
; NumVGPRsForWavesPerEU: 16
; Occupancy: 16
; WaveLimiterHint : 0
; COMPUTE_PGM_RSRC2:SCRATCH_EN: 0
; COMPUTE_PGM_RSRC2:USER_SGPR: 2
; COMPUTE_PGM_RSRC2:TRAP_HANDLER: 0
; COMPUTE_PGM_RSRC2:TGID_X_EN: 1
; COMPUTE_PGM_RSRC2:TGID_Y_EN: 0
; COMPUTE_PGM_RSRC2:TGID_Z_EN: 0
; COMPUTE_PGM_RSRC2:TIDIG_COMP_CNT: 0
	.section	.text._ZN2at6native12_GLOBAL__N_125multi_tensor_apply_kernelINS1_18TensorListMetadataILi2EEENS1_21BinaryOpScalarFunctorIhLi2ELi1ELi1EEEJNS0_7minimumIhEEhEEEvT_T0_DpT1_,"axG",@progbits,_ZN2at6native12_GLOBAL__N_125multi_tensor_apply_kernelINS1_18TensorListMetadataILi2EEENS1_21BinaryOpScalarFunctorIhLi2ELi1ELi1EEEJNS0_7minimumIhEEhEEEvT_T0_DpT1_,comdat
	.globl	_ZN2at6native12_GLOBAL__N_125multi_tensor_apply_kernelINS1_18TensorListMetadataILi2EEENS1_21BinaryOpScalarFunctorIhLi2ELi1ELi1EEEJNS0_7minimumIhEEhEEEvT_T0_DpT1_ ; -- Begin function _ZN2at6native12_GLOBAL__N_125multi_tensor_apply_kernelINS1_18TensorListMetadataILi2EEENS1_21BinaryOpScalarFunctorIhLi2ELi1ELi1EEEJNS0_7minimumIhEEhEEEvT_T0_DpT1_
	.p2align	8
	.type	_ZN2at6native12_GLOBAL__N_125multi_tensor_apply_kernelINS1_18TensorListMetadataILi2EEENS1_21BinaryOpScalarFunctorIhLi2ELi1ELi1EEEJNS0_7minimumIhEEhEEEvT_T0_DpT1_,@function
_ZN2at6native12_GLOBAL__N_125multi_tensor_apply_kernelINS1_18TensorListMetadataILi2EEENS1_21BinaryOpScalarFunctorIhLi2ELi1ELi1EEEJNS0_7minimumIhEEhEEEvT_T0_DpT1_: ; @_ZN2at6native12_GLOBAL__N_125multi_tensor_apply_kernelINS1_18TensorListMetadataILi2EEENS1_21BinaryOpScalarFunctorIhLi2ELi1ELi1EEEJNS0_7minimumIhEEhEEEvT_T0_DpT1_
; %bb.0:
	s_load_u8 s6, s[0:1], ttmp9 offset:0x600
	s_mov_b32 s2, ttmp9
	s_mov_b32 s3, 0
	s_delay_alu instid0(SALU_CYCLE_1) | instskip(SKIP_1) | instid1(SALU_CYCLE_1)
	s_mul_u64 s[4:5], s[2:3], 3
	s_add_nc_u64 s[2:3], s[0:1], s[2:3]
	s_add_nc_u64 s[2:3], s[2:3], s[4:5]
	s_load_b32 s2, s[2:3], 0x740
	s_wait_kmcnt 0x0
	s_lshl_b32 s3, s6, 3
	s_clause 0x3
	s_load_b64 s[4:5], s[0:1], s3 offset:0x400
	s_load_b64 s[6:7], s[0:1], s3 offset:0x0
	;; [unrolled: 1-line block ×3, first 2 shown]
	s_load_b32 s12, s[0:1], 0xc48
	s_ashr_i32 s3, s2, 31
	s_delay_alu instid0(SALU_CYCLE_1)
	s_lshl_b64 s[10:11], s[2:3], 16
	s_wait_kmcnt 0x0
	s_add_nc_u64 s[2:3], s[6:7], s[10:11]
	s_or_b32 s3, s4, s8
	s_lshr_b32 s22, s12, 16
	s_or_b32 s2, s3, s2
	s_sub_nc_u64 s[12:13], s[4:5], s[10:11]
	s_and_b32 s2, s2, 3
	s_delay_alu instid0(SALU_CYCLE_1)
	s_cmp_eq_u32 s2, 0
	s_mov_b32 s2, -1
	s_cbranch_scc1 .LBB116_21
; %bb.1:
	v_cmp_lt_i64_e64 s2, s[12:13], 1
	s_and_b32 vcc_lo, exec_lo, s2
	s_cbranch_vccnz .LBB116_20
; %bb.2:
	s_load_b32 s2, s[0:1], 0xc5c
	v_cmp_gt_i64_e64 s4, 0x10000, s[12:13]
	v_cmp_gt_u64_e64 s16, 0x10000, s[12:13]
	s_mov_b32 s3, 0
	v_add_co_u32 v15, s5, s10, v0
	s_delay_alu instid0(VALU_DEP_1)
	v_add_co_ci_u32_e64 v16, null, s11, 0, s5
	s_and_b32 s4, s4, exec_lo
	s_cselect_b32 s15, s13, 0
	s_cselect_b32 s14, s12, 0x10000
	s_mov_b32 s5, s3
	v_add_co_u32 v1, vcc_lo, s6, v15
	s_delay_alu instid0(VALU_DEP_1)
	v_add_co_ci_u32_e64 v2, null, s7, v16, vcc_lo
	v_add_co_u32 v3, vcc_lo, s8, v15
	s_wait_alu 0xfffd
	v_add_co_ci_u32_e64 v4, null, s9, v16, vcc_lo
	s_wait_kmcnt 0x0
	s_and_b32 s19, s2, 0xffff
	s_and_b32 s2, s16, exec_lo
	s_mul_i32 s4, s19, 3
	s_cselect_b32 s17, s13, 0
	s_wait_alu 0xfffe
	s_add_nc_u64 s[20:21], s[10:11], s[4:5]
	s_cselect_b32 s16, s12, 0x10000
	s_lshl_b32 s2, s19, 1
	v_add_co_u32 v7, s5, s20, v0
	s_wait_alu 0xf1ff
	v_add_co_ci_u32_e64 v8, null, s21, 0, s5
	s_add_nc_u64 s[20:21], s[10:11], s[2:3]
	v_add_co_u32 v5, vcc_lo, s6, v7
	s_wait_alu 0xfffe
	v_add_co_u32 v13, s5, s20, v0
	s_wait_alu 0xf1ff
	v_add_co_ci_u32_e64 v14, null, s21, 0, s5
	s_wait_alu 0xfffd
	v_add_co_ci_u32_e64 v6, null, s7, v8, vcc_lo
	v_add_co_u32 v7, vcc_lo, s8, v7
	s_wait_alu 0xfffd
	v_add_co_ci_u32_e64 v8, null, s9, v8, vcc_lo
	v_add_co_u32 v11, vcc_lo, s6, v13
	s_wait_alu 0xfffd
	v_add_co_ci_u32_e64 v12, null, s7, v14, vcc_lo
	v_add_co_u32 v13, vcc_lo, s8, v13
	s_wait_alu 0xfffd
	v_add_co_ci_u32_e64 v14, null, s9, v14, vcc_lo
	v_add_co_u32 v19, vcc_lo, v15, s19
	s_wait_alu 0xfffd
	v_add_co_ci_u32_e64 v20, null, 0, v16, vcc_lo
	v_add_co_u32 v15, s2, s2, v0
	s_delay_alu instid0(VALU_DEP_3)
	v_add_co_u32 v17, vcc_lo, s6, v19
	v_add_co_u32 v9, s4, s4, v0
	s_wait_alu 0xf1ff
	v_add_co_ci_u32_e64 v16, null, 0, 0, s2
	s_wait_alu 0xfffd
	v_add_co_ci_u32_e64 v18, null, s7, v20, vcc_lo
	v_add_co_u32 v19, vcc_lo, s8, v19
	v_add_co_u32 v21, s2, v0, s19
	v_add_co_ci_u32_e64 v10, null, 0, 0, s4
	s_wait_alu 0xfffd
	v_add_co_ci_u32_e64 v20, null, s9, v20, vcc_lo
	s_wait_alu 0xf1ff
	v_add_co_ci_u32_e64 v22, null, 0, 0, s2
	s_lshl_b32 s18, s19, 2
	s_mov_b32 s19, s3
	s_mov_b64 s[20:21], 0
	s_and_b32 s23, s22, 0xff
	s_branch .LBB116_4
.LBB116_3:                              ;   in Loop: Header=BB116_4 Depth=1
	s_wait_alu 0xfffe
	s_or_b32 exec_lo, exec_lo, s2
	s_add_nc_u64 s[20:21], s[20:21], s[18:19]
	s_wait_alu 0xfffe
	v_cmp_lt_i64_e64 s2, s[20:21], s[14:15]
	s_and_b32 vcc_lo, exec_lo, s2
	s_wait_alu 0xfffe
	s_cbranch_vccz .LBB116_20
.LBB116_4:                              ; =>This Inner Loop Header: Depth=1
	s_wait_alu 0xfffe
	v_add_co_u32 v23, s2, v0, s20
	s_wait_alu 0xf1ff
	v_add_co_ci_u32_e64 v24, null, 0, s21, s2
	s_delay_alu instid0(VALU_DEP_1)
	v_cmp_gt_u64_e32 vcc_lo, s[16:17], v[23:24]
	v_mov_b32_e32 v24, 0
	s_and_saveexec_b32 s3, vcc_lo
	s_cbranch_execz .LBB116_6
; %bb.5:                                ;   in Loop: Header=BB116_4 Depth=1
	v_add_co_u32 v23, s2, v1, s20
	s_wait_alu 0xf1ff
	v_add_co_ci_u32_e64 v24, null, s21, v2, s2
	global_load_u8 v23, v[23:24], off
	s_wait_loadcnt 0x0
	v_min_u16 v24, v23, s23
.LBB116_6:                              ;   in Loop: Header=BB116_4 Depth=1
	s_wait_alu 0xfffe
	s_or_b32 exec_lo, exec_lo, s3
	v_add_co_u32 v25, s2, v21, s20
	s_wait_alu 0xf1ff
	v_add_co_ci_u32_e64 v26, null, s21, v22, s2
	v_mov_b32_e32 v23, 0
	s_delay_alu instid0(VALU_DEP_2)
	v_cmp_gt_u64_e64 s2, s[16:17], v[25:26]
	v_mov_b32_e32 v25, 0
	s_and_saveexec_b32 s4, s2
	s_cbranch_execz .LBB116_8
; %bb.7:                                ;   in Loop: Header=BB116_4 Depth=1
	v_add_co_u32 v25, s3, v17, s20
	s_wait_alu 0xf1ff
	v_add_co_ci_u32_e64 v26, null, s21, v18, s3
	global_load_u8 v25, v[25:26], off
	s_wait_loadcnt 0x0
	v_min_u16 v25, v25, s23
.LBB116_8:                              ;   in Loop: Header=BB116_4 Depth=1
	s_wait_alu 0xfffe
	s_or_b32 exec_lo, exec_lo, s4
	v_add_co_u32 v26, s3, v15, s20
	s_wait_alu 0xf1ff
	v_add_co_ci_u32_e64 v27, null, s21, v16, s3
	s_delay_alu instid0(VALU_DEP_1)
	v_cmp_gt_u64_e64 s3, s[16:17], v[26:27]
	s_and_saveexec_b32 s5, s3
	s_cbranch_execz .LBB116_10
; %bb.9:                                ;   in Loop: Header=BB116_4 Depth=1
	v_add_co_u32 v26, s4, v11, s20
	s_wait_alu 0xf1ff
	v_add_co_ci_u32_e64 v27, null, s21, v12, s4
	global_load_u8 v23, v[26:27], off
	s_wait_loadcnt 0x0
	v_min_u16 v23, v23, s23
.LBB116_10:                             ;   in Loop: Header=BB116_4 Depth=1
	s_wait_alu 0xfffe
	s_or_b32 exec_lo, exec_lo, s5
	v_add_co_u32 v26, s4, v9, s20
	s_wait_alu 0xf1ff
	v_add_co_ci_u32_e64 v27, null, s21, v10, s4
	s_delay_alu instid0(VALU_DEP_1)
	v_cmp_gt_u64_e64 s4, s[16:17], v[26:27]
	v_mov_b32_e32 v26, 0
	s_and_saveexec_b32 s24, s4
	s_cbranch_execnz .LBB116_15
; %bb.11:                               ;   in Loop: Header=BB116_4 Depth=1
	s_or_b32 exec_lo, exec_lo, s24
	s_and_saveexec_b32 s5, vcc_lo
	s_cbranch_execnz .LBB116_16
.LBB116_12:                             ;   in Loop: Header=BB116_4 Depth=1
	s_wait_alu 0xfffe
	s_or_b32 exec_lo, exec_lo, s5
	s_and_saveexec_b32 s5, s2
	s_cbranch_execnz .LBB116_17
.LBB116_13:                             ;   in Loop: Header=BB116_4 Depth=1
	s_wait_alu 0xfffe
	s_or_b32 exec_lo, exec_lo, s5
	s_and_saveexec_b32 s2, s3
	s_cbranch_execnz .LBB116_18
.LBB116_14:                             ;   in Loop: Header=BB116_4 Depth=1
	s_wait_alu 0xfffe
	s_or_b32 exec_lo, exec_lo, s2
	s_and_saveexec_b32 s2, s4
	s_cbranch_execz .LBB116_3
	s_branch .LBB116_19
.LBB116_15:                             ;   in Loop: Header=BB116_4 Depth=1
	v_add_co_u32 v26, s5, v5, s20
	s_wait_alu 0xf1ff
	v_add_co_ci_u32_e64 v27, null, s21, v6, s5
	global_load_u8 v26, v[26:27], off
	s_wait_loadcnt 0x0
	v_min_u16 v26, v26, s23
	s_or_b32 exec_lo, exec_lo, s24
	s_and_saveexec_b32 s5, vcc_lo
	s_cbranch_execz .LBB116_12
.LBB116_16:                             ;   in Loop: Header=BB116_4 Depth=1
	v_add_co_u32 v27, vcc_lo, v3, s20
	s_wait_alu 0xfffd
	v_add_co_ci_u32_e64 v28, null, s21, v4, vcc_lo
	global_store_b8 v[27:28], v24, off
	s_wait_alu 0xfffe
	s_or_b32 exec_lo, exec_lo, s5
	s_and_saveexec_b32 s5, s2
	s_cbranch_execz .LBB116_13
.LBB116_17:                             ;   in Loop: Header=BB116_4 Depth=1
	v_add_co_u32 v27, vcc_lo, v19, s20
	s_wait_alu 0xfffd
	v_add_co_ci_u32_e64 v28, null, s21, v20, vcc_lo
	global_store_b8 v[27:28], v25, off
	s_wait_alu 0xfffe
	s_or_b32 exec_lo, exec_lo, s5
	s_and_saveexec_b32 s2, s3
	s_cbranch_execz .LBB116_14
.LBB116_18:                             ;   in Loop: Header=BB116_4 Depth=1
	v_add_co_u32 v24, vcc_lo, v13, s20
	s_wait_alu 0xfffd
	v_add_co_ci_u32_e64 v25, null, s21, v14, vcc_lo
	global_store_b8 v[24:25], v23, off
	s_wait_alu 0xfffe
	s_or_b32 exec_lo, exec_lo, s2
	s_and_saveexec_b32 s2, s4
	s_cbranch_execz .LBB116_3
.LBB116_19:                             ;   in Loop: Header=BB116_4 Depth=1
	v_add_co_u32 v23, vcc_lo, v7, s20
	s_wait_alu 0xfffd
	v_add_co_ci_u32_e64 v24, null, s21, v8, vcc_lo
	global_store_b8 v[23:24], v26, off
	s_branch .LBB116_3
.LBB116_20:
	s_mov_b32 s2, 0
.LBB116_21:
	s_wait_alu 0xfffe
	s_and_not1_b32 vcc_lo, exec_lo, s2
	s_wait_alu 0xfffe
	s_cbranch_vccnz .LBB116_25
; %bb.22:
	v_cmp_gt_i64_e64 s2, 0x10000, s[12:13]
	v_dual_mov_b32 v3, 0 :: v_dual_lshlrev_b32 v2, 2, v0
	s_mov_b32 s4, 0
	s_mov_b32 s5, exec_lo
	s_and_b32 s2, s2, exec_lo
	s_cselect_b32 s3, s13, 0
	s_cselect_b32 s2, s12, 0x10000
	s_wait_alu 0xfffe
	v_cmpx_gt_i64_e64 s[2:3], v[2:3]
	s_cbranch_execz .LBB116_25
; %bb.23:
	s_load_b32 s0, s[0:1], 0xc5c
	v_add_co_u32 v2, s1, s10, v2
	v_mov_b32_e32 v1, v3
	v_add_co_ci_u32_e64 v3, null, s11, 0, s1
	s_and_b32 s10, s22, 0xff
	s_wait_kmcnt 0x0
	s_and_b32 s1, s0, 0xffff
	s_wait_alu 0xfffe
	s_lshl_b32 s5, s1, 2
.LBB116_24:                             ; =>This Inner Loop Header: Depth=1
	v_add_co_u32 v4, vcc_lo, s6, v2
	s_wait_alu 0xfffd
	v_add_co_ci_u32_e64 v5, null, s7, v3, vcc_lo
	v_add_co_u32 v0, vcc_lo, v0, s1
	s_wait_alu 0xfffd
	v_add_co_ci_u32_e64 v1, null, 0, v1, vcc_lo
	global_load_b32 v4, v[4:5], off
	s_wait_loadcnt 0x0
	v_lshrrev_b32_e32 v5, 8, v4
	v_lshrrev_b32_e32 v6, 16, v4
	;; [unrolled: 1-line block ×3, first 2 shown]
	v_and_b32_e32 v4, 0xff, v4
	s_delay_alu instid0(VALU_DEP_4) | instskip(NEXT) | instid1(VALU_DEP_4)
	v_and_b32_e32 v5, 0xff, v5
	v_and_b32_e32 v6, 0xff, v6
	s_delay_alu instid0(VALU_DEP_4) | instskip(NEXT) | instid1(VALU_DEP_4)
	v_min_u16 v7, v7, s10
	v_min_u16 v8, v4, s10
	v_add_co_u32 v4, vcc_lo, s8, v2
	v_min_u16 v5, v5, s10
	v_min_u16 v9, v6, s10
	v_lshlrev_b16 v10, 8, v7
	v_lshlrev_b64_e32 v[6:7], 2, v[0:1]
	s_wait_alu 0xfffe
	v_add_co_u32 v2, s0, v2, s5
	v_lshlrev_b16 v5, 8, v5
	v_or_b32_e32 v9, v9, v10
	s_delay_alu instid0(VALU_DEP_2) | instskip(NEXT) | instid1(VALU_DEP_2)
	v_or_b32_e32 v8, v8, v5
	v_lshlrev_b32_e32 v9, 16, v9
	s_wait_alu 0xfffd
	v_add_co_ci_u32_e64 v5, null, s9, v3, vcc_lo
	v_cmp_le_i64_e32 vcc_lo, s[2:3], v[6:7]
	v_and_b32_e32 v8, 0xffff, v8
	s_wait_alu 0xf1ff
	v_add_co_ci_u32_e64 v3, null, 0, v3, s0
	s_delay_alu instid0(VALU_DEP_2)
	v_or_b32_e32 v6, v8, v9
	s_or_b32 s4, vcc_lo, s4
	global_store_b32 v[4:5], v6, off
	s_wait_alu 0xfffe
	s_and_not1_b32 exec_lo, exec_lo, s4
	s_cbranch_execnz .LBB116_24
.LBB116_25:
	s_endpgm
	.section	.rodata,"a",@progbits
	.p2align	6, 0x0
	.amdhsa_kernel _ZN2at6native12_GLOBAL__N_125multi_tensor_apply_kernelINS1_18TensorListMetadataILi2EEENS1_21BinaryOpScalarFunctorIhLi2ELi1ELi1EEEJNS0_7minimumIhEEhEEEvT_T0_DpT1_
		.amdhsa_group_segment_fixed_size 0
		.amdhsa_private_segment_fixed_size 0
		.amdhsa_kernarg_size 3408
		.amdhsa_user_sgpr_count 2
		.amdhsa_user_sgpr_dispatch_ptr 0
		.amdhsa_user_sgpr_queue_ptr 0
		.amdhsa_user_sgpr_kernarg_segment_ptr 1
		.amdhsa_user_sgpr_dispatch_id 0
		.amdhsa_user_sgpr_private_segment_size 0
		.amdhsa_wavefront_size32 1
		.amdhsa_uses_dynamic_stack 0
		.amdhsa_enable_private_segment 0
		.amdhsa_system_sgpr_workgroup_id_x 1
		.amdhsa_system_sgpr_workgroup_id_y 0
		.amdhsa_system_sgpr_workgroup_id_z 0
		.amdhsa_system_sgpr_workgroup_info 0
		.amdhsa_system_vgpr_workitem_id 0
		.amdhsa_next_free_vgpr 29
		.amdhsa_next_free_sgpr 25
		.amdhsa_reserve_vcc 1
		.amdhsa_float_round_mode_32 0
		.amdhsa_float_round_mode_16_64 0
		.amdhsa_float_denorm_mode_32 3
		.amdhsa_float_denorm_mode_16_64 3
		.amdhsa_fp16_overflow 0
		.amdhsa_workgroup_processor_mode 1
		.amdhsa_memory_ordered 1
		.amdhsa_forward_progress 1
		.amdhsa_inst_pref_size 13
		.amdhsa_round_robin_scheduling 0
		.amdhsa_exception_fp_ieee_invalid_op 0
		.amdhsa_exception_fp_denorm_src 0
		.amdhsa_exception_fp_ieee_div_zero 0
		.amdhsa_exception_fp_ieee_overflow 0
		.amdhsa_exception_fp_ieee_underflow 0
		.amdhsa_exception_fp_ieee_inexact 0
		.amdhsa_exception_int_div_zero 0
	.end_amdhsa_kernel
	.section	.text._ZN2at6native12_GLOBAL__N_125multi_tensor_apply_kernelINS1_18TensorListMetadataILi2EEENS1_21BinaryOpScalarFunctorIhLi2ELi1ELi1EEEJNS0_7minimumIhEEhEEEvT_T0_DpT1_,"axG",@progbits,_ZN2at6native12_GLOBAL__N_125multi_tensor_apply_kernelINS1_18TensorListMetadataILi2EEENS1_21BinaryOpScalarFunctorIhLi2ELi1ELi1EEEJNS0_7minimumIhEEhEEEvT_T0_DpT1_,comdat
.Lfunc_end116:
	.size	_ZN2at6native12_GLOBAL__N_125multi_tensor_apply_kernelINS1_18TensorListMetadataILi2EEENS1_21BinaryOpScalarFunctorIhLi2ELi1ELi1EEEJNS0_7minimumIhEEhEEEvT_T0_DpT1_, .Lfunc_end116-_ZN2at6native12_GLOBAL__N_125multi_tensor_apply_kernelINS1_18TensorListMetadataILi2EEENS1_21BinaryOpScalarFunctorIhLi2ELi1ELi1EEEJNS0_7minimumIhEEhEEEvT_T0_DpT1_
                                        ; -- End function
	.set _ZN2at6native12_GLOBAL__N_125multi_tensor_apply_kernelINS1_18TensorListMetadataILi2EEENS1_21BinaryOpScalarFunctorIhLi2ELi1ELi1EEEJNS0_7minimumIhEEhEEEvT_T0_DpT1_.num_vgpr, 29
	.set _ZN2at6native12_GLOBAL__N_125multi_tensor_apply_kernelINS1_18TensorListMetadataILi2EEENS1_21BinaryOpScalarFunctorIhLi2ELi1ELi1EEEJNS0_7minimumIhEEhEEEvT_T0_DpT1_.num_agpr, 0
	.set _ZN2at6native12_GLOBAL__N_125multi_tensor_apply_kernelINS1_18TensorListMetadataILi2EEENS1_21BinaryOpScalarFunctorIhLi2ELi1ELi1EEEJNS0_7minimumIhEEhEEEvT_T0_DpT1_.numbered_sgpr, 25
	.set _ZN2at6native12_GLOBAL__N_125multi_tensor_apply_kernelINS1_18TensorListMetadataILi2EEENS1_21BinaryOpScalarFunctorIhLi2ELi1ELi1EEEJNS0_7minimumIhEEhEEEvT_T0_DpT1_.num_named_barrier, 0
	.set _ZN2at6native12_GLOBAL__N_125multi_tensor_apply_kernelINS1_18TensorListMetadataILi2EEENS1_21BinaryOpScalarFunctorIhLi2ELi1ELi1EEEJNS0_7minimumIhEEhEEEvT_T0_DpT1_.private_seg_size, 0
	.set _ZN2at6native12_GLOBAL__N_125multi_tensor_apply_kernelINS1_18TensorListMetadataILi2EEENS1_21BinaryOpScalarFunctorIhLi2ELi1ELi1EEEJNS0_7minimumIhEEhEEEvT_T0_DpT1_.uses_vcc, 1
	.set _ZN2at6native12_GLOBAL__N_125multi_tensor_apply_kernelINS1_18TensorListMetadataILi2EEENS1_21BinaryOpScalarFunctorIhLi2ELi1ELi1EEEJNS0_7minimumIhEEhEEEvT_T0_DpT1_.uses_flat_scratch, 0
	.set _ZN2at6native12_GLOBAL__N_125multi_tensor_apply_kernelINS1_18TensorListMetadataILi2EEENS1_21BinaryOpScalarFunctorIhLi2ELi1ELi1EEEJNS0_7minimumIhEEhEEEvT_T0_DpT1_.has_dyn_sized_stack, 0
	.set _ZN2at6native12_GLOBAL__N_125multi_tensor_apply_kernelINS1_18TensorListMetadataILi2EEENS1_21BinaryOpScalarFunctorIhLi2ELi1ELi1EEEJNS0_7minimumIhEEhEEEvT_T0_DpT1_.has_recursion, 0
	.set _ZN2at6native12_GLOBAL__N_125multi_tensor_apply_kernelINS1_18TensorListMetadataILi2EEENS1_21BinaryOpScalarFunctorIhLi2ELi1ELi1EEEJNS0_7minimumIhEEhEEEvT_T0_DpT1_.has_indirect_call, 0
	.section	.AMDGPU.csdata,"",@progbits
; Kernel info:
; codeLenInByte = 1656
; TotalNumSgprs: 27
; NumVgprs: 29
; ScratchSize: 0
; MemoryBound: 0
; FloatMode: 240
; IeeeMode: 1
; LDSByteSize: 0 bytes/workgroup (compile time only)
; SGPRBlocks: 0
; VGPRBlocks: 3
; NumSGPRsForWavesPerEU: 27
; NumVGPRsForWavesPerEU: 29
; Occupancy: 16
; WaveLimiterHint : 0
; COMPUTE_PGM_RSRC2:SCRATCH_EN: 0
; COMPUTE_PGM_RSRC2:USER_SGPR: 2
; COMPUTE_PGM_RSRC2:TRAP_HANDLER: 0
; COMPUTE_PGM_RSRC2:TGID_X_EN: 1
; COMPUTE_PGM_RSRC2:TGID_Y_EN: 0
; COMPUTE_PGM_RSRC2:TGID_Z_EN: 0
; COMPUTE_PGM_RSRC2:TIDIG_COMP_CNT: 0
	.section	.text._ZN2at6native12_GLOBAL__N_125multi_tensor_apply_kernelINS1_18TensorListMetadataILi2EEENS1_21BinaryOpScalarFunctorIaLi2ELi1ELi1EEEJNS0_7minimumIaEEaEEEvT_T0_DpT1_,"axG",@progbits,_ZN2at6native12_GLOBAL__N_125multi_tensor_apply_kernelINS1_18TensorListMetadataILi2EEENS1_21BinaryOpScalarFunctorIaLi2ELi1ELi1EEEJNS0_7minimumIaEEaEEEvT_T0_DpT1_,comdat
	.globl	_ZN2at6native12_GLOBAL__N_125multi_tensor_apply_kernelINS1_18TensorListMetadataILi2EEENS1_21BinaryOpScalarFunctorIaLi2ELi1ELi1EEEJNS0_7minimumIaEEaEEEvT_T0_DpT1_ ; -- Begin function _ZN2at6native12_GLOBAL__N_125multi_tensor_apply_kernelINS1_18TensorListMetadataILi2EEENS1_21BinaryOpScalarFunctorIaLi2ELi1ELi1EEEJNS0_7minimumIaEEaEEEvT_T0_DpT1_
	.p2align	8
	.type	_ZN2at6native12_GLOBAL__N_125multi_tensor_apply_kernelINS1_18TensorListMetadataILi2EEENS1_21BinaryOpScalarFunctorIaLi2ELi1ELi1EEEJNS0_7minimumIaEEaEEEvT_T0_DpT1_,@function
_ZN2at6native12_GLOBAL__N_125multi_tensor_apply_kernelINS1_18TensorListMetadataILi2EEENS1_21BinaryOpScalarFunctorIaLi2ELi1ELi1EEEJNS0_7minimumIaEEaEEEvT_T0_DpT1_: ; @_ZN2at6native12_GLOBAL__N_125multi_tensor_apply_kernelINS1_18TensorListMetadataILi2EEENS1_21BinaryOpScalarFunctorIaLi2ELi1ELi1EEEJNS0_7minimumIaEEaEEEvT_T0_DpT1_
; %bb.0:
	s_load_u8 s6, s[0:1], ttmp9 offset:0x600
	s_mov_b32 s2, ttmp9
	s_mov_b32 s3, 0
	s_delay_alu instid0(SALU_CYCLE_1) | instskip(SKIP_1) | instid1(SALU_CYCLE_1)
	s_mul_u64 s[4:5], s[2:3], 3
	s_add_nc_u64 s[2:3], s[0:1], s[2:3]
	s_add_nc_u64 s[2:3], s[2:3], s[4:5]
	s_load_b32 s2, s[2:3], 0x740
	s_wait_kmcnt 0x0
	s_lshl_b32 s3, s6, 3
	s_clause 0x3
	s_load_b64 s[4:5], s[0:1], s3 offset:0x400
	s_load_b64 s[6:7], s[0:1], s3 offset:0x0
	;; [unrolled: 1-line block ×3, first 2 shown]
	s_load_b32 s12, s[0:1], 0xc48
	s_ashr_i32 s3, s2, 31
	s_delay_alu instid0(SALU_CYCLE_1)
	s_lshl_b64 s[10:11], s[2:3], 16
	s_wait_kmcnt 0x0
	s_add_nc_u64 s[2:3], s[6:7], s[10:11]
	s_or_b32 s3, s4, s8
	s_lshr_b32 s22, s12, 16
	s_or_b32 s2, s3, s2
	s_sub_nc_u64 s[12:13], s[4:5], s[10:11]
	s_and_b32 s2, s2, 3
	s_delay_alu instid0(SALU_CYCLE_1)
	s_cmp_eq_u32 s2, 0
	s_mov_b32 s2, -1
	s_cbranch_scc1 .LBB117_21
; %bb.1:
	v_cmp_lt_i64_e64 s2, s[12:13], 1
	s_and_b32 vcc_lo, exec_lo, s2
	s_cbranch_vccnz .LBB117_20
; %bb.2:
	s_load_b32 s2, s[0:1], 0xc5c
	v_cmp_gt_i64_e64 s4, 0x10000, s[12:13]
	v_cmp_gt_u64_e64 s16, 0x10000, s[12:13]
	s_mov_b32 s3, 0
	v_add_co_u32 v15, s5, s10, v0
	s_delay_alu instid0(VALU_DEP_1)
	v_add_co_ci_u32_e64 v16, null, s11, 0, s5
	s_and_b32 s4, s4, exec_lo
	s_cselect_b32 s15, s13, 0
	s_cselect_b32 s14, s12, 0x10000
	s_mov_b32 s5, s3
	v_add_co_u32 v1, vcc_lo, s6, v15
	s_delay_alu instid0(VALU_DEP_1)
	v_add_co_ci_u32_e64 v2, null, s7, v16, vcc_lo
	v_add_co_u32 v3, vcc_lo, s8, v15
	s_wait_alu 0xfffd
	v_add_co_ci_u32_e64 v4, null, s9, v16, vcc_lo
	s_wait_kmcnt 0x0
	s_and_b32 s19, s2, 0xffff
	s_and_b32 s2, s16, exec_lo
	s_mul_i32 s4, s19, 3
	s_cselect_b32 s17, s13, 0
	s_wait_alu 0xfffe
	s_add_nc_u64 s[20:21], s[10:11], s[4:5]
	s_cselect_b32 s16, s12, 0x10000
	s_lshl_b32 s2, s19, 1
	v_add_co_u32 v7, s5, s20, v0
	s_wait_alu 0xf1ff
	v_add_co_ci_u32_e64 v8, null, s21, 0, s5
	s_add_nc_u64 s[20:21], s[10:11], s[2:3]
	v_add_co_u32 v5, vcc_lo, s6, v7
	s_wait_alu 0xfffe
	v_add_co_u32 v13, s5, s20, v0
	s_wait_alu 0xf1ff
	v_add_co_ci_u32_e64 v14, null, s21, 0, s5
	s_wait_alu 0xfffd
	v_add_co_ci_u32_e64 v6, null, s7, v8, vcc_lo
	v_add_co_u32 v7, vcc_lo, s8, v7
	s_wait_alu 0xfffd
	v_add_co_ci_u32_e64 v8, null, s9, v8, vcc_lo
	v_add_co_u32 v11, vcc_lo, s6, v13
	s_wait_alu 0xfffd
	v_add_co_ci_u32_e64 v12, null, s7, v14, vcc_lo
	v_add_co_u32 v13, vcc_lo, s8, v13
	s_wait_alu 0xfffd
	v_add_co_ci_u32_e64 v14, null, s9, v14, vcc_lo
	v_add_co_u32 v19, vcc_lo, v15, s19
	s_wait_alu 0xfffd
	v_add_co_ci_u32_e64 v20, null, 0, v16, vcc_lo
	v_add_co_u32 v15, s2, s2, v0
	s_delay_alu instid0(VALU_DEP_3)
	v_add_co_u32 v17, vcc_lo, s6, v19
	v_add_co_u32 v9, s4, s4, v0
	s_wait_alu 0xf1ff
	v_add_co_ci_u32_e64 v16, null, 0, 0, s2
	s_wait_alu 0xfffd
	v_add_co_ci_u32_e64 v18, null, s7, v20, vcc_lo
	v_add_co_u32 v19, vcc_lo, s8, v19
	v_add_co_u32 v21, s2, v0, s19
	v_add_co_ci_u32_e64 v10, null, 0, 0, s4
	s_wait_alu 0xfffd
	v_add_co_ci_u32_e64 v20, null, s9, v20, vcc_lo
	s_wait_alu 0xf1ff
	v_add_co_ci_u32_e64 v22, null, 0, 0, s2
	s_lshl_b32 s18, s19, 2
	s_mov_b32 s19, s3
	s_mov_b64 s[20:21], 0
	s_bfe_i32 s23, s22, 0x80000
	s_branch .LBB117_4
.LBB117_3:                              ;   in Loop: Header=BB117_4 Depth=1
	s_wait_alu 0xfffe
	s_or_b32 exec_lo, exec_lo, s2
	s_add_nc_u64 s[20:21], s[20:21], s[18:19]
	s_wait_alu 0xfffe
	v_cmp_lt_i64_e64 s2, s[20:21], s[14:15]
	s_and_b32 vcc_lo, exec_lo, s2
	s_wait_alu 0xfffe
	s_cbranch_vccz .LBB117_20
.LBB117_4:                              ; =>This Inner Loop Header: Depth=1
	s_wait_loadcnt 0x0
	s_wait_alu 0xfffe
	v_add_co_u32 v23, s2, v0, s20
	s_wait_alu 0xf1ff
	v_add_co_ci_u32_e64 v24, null, 0, s21, s2
	s_delay_alu instid0(VALU_DEP_1)
	v_cmp_gt_u64_e32 vcc_lo, s[16:17], v[23:24]
	v_mov_b32_e32 v24, 0
	s_and_saveexec_b32 s3, vcc_lo
	s_cbranch_execz .LBB117_6
; %bb.5:                                ;   in Loop: Header=BB117_4 Depth=1
	v_add_co_u32 v23, s2, v1, s20
	s_wait_alu 0xf1ff
	v_add_co_ci_u32_e64 v24, null, s21, v2, s2
	global_load_u8 v24, v[23:24], off
.LBB117_6:                              ;   in Loop: Header=BB117_4 Depth=1
	s_wait_alu 0xfffe
	s_or_b32 exec_lo, exec_lo, s3
	v_add_co_u32 v25, s2, v21, s20
	s_wait_alu 0xf1ff
	v_add_co_ci_u32_e64 v26, null, s21, v22, s2
	v_mov_b32_e32 v23, 0
	s_delay_alu instid0(VALU_DEP_2)
	v_cmp_gt_u64_e64 s2, s[16:17], v[25:26]
	v_mov_b32_e32 v25, 0
	s_and_saveexec_b32 s4, s2
	s_cbranch_execz .LBB117_8
; %bb.7:                                ;   in Loop: Header=BB117_4 Depth=1
	v_add_co_u32 v25, s3, v17, s20
	s_wait_alu 0xf1ff
	v_add_co_ci_u32_e64 v26, null, s21, v18, s3
	global_load_u8 v25, v[25:26], off
.LBB117_8:                              ;   in Loop: Header=BB117_4 Depth=1
	s_wait_alu 0xfffe
	s_or_b32 exec_lo, exec_lo, s4
	v_add_co_u32 v26, s3, v15, s20
	s_wait_alu 0xf1ff
	v_add_co_ci_u32_e64 v27, null, s21, v16, s3
	s_delay_alu instid0(VALU_DEP_1)
	v_cmp_gt_u64_e64 s3, s[16:17], v[26:27]
	s_and_saveexec_b32 s5, s3
	s_cbranch_execz .LBB117_10
; %bb.9:                                ;   in Loop: Header=BB117_4 Depth=1
	v_add_co_u32 v26, s4, v11, s20
	s_wait_alu 0xf1ff
	v_add_co_ci_u32_e64 v27, null, s21, v12, s4
	global_load_u8 v23, v[26:27], off
.LBB117_10:                             ;   in Loop: Header=BB117_4 Depth=1
	s_wait_alu 0xfffe
	s_or_b32 exec_lo, exec_lo, s5
	v_add_co_u32 v26, s4, v9, s20
	s_wait_alu 0xf1ff
	v_add_co_ci_u32_e64 v27, null, s21, v10, s4
	s_delay_alu instid0(VALU_DEP_1)
	v_cmp_gt_u64_e64 s4, s[16:17], v[26:27]
	v_mov_b32_e32 v26, 0
	s_and_saveexec_b32 s24, s4
	s_cbranch_execnz .LBB117_15
; %bb.11:                               ;   in Loop: Header=BB117_4 Depth=1
	s_or_b32 exec_lo, exec_lo, s24
	s_and_saveexec_b32 s5, vcc_lo
	s_cbranch_execnz .LBB117_16
.LBB117_12:                             ;   in Loop: Header=BB117_4 Depth=1
	s_wait_alu 0xfffe
	s_or_b32 exec_lo, exec_lo, s5
	s_and_saveexec_b32 s5, s2
	s_cbranch_execnz .LBB117_17
.LBB117_13:                             ;   in Loop: Header=BB117_4 Depth=1
	s_wait_alu 0xfffe
	s_or_b32 exec_lo, exec_lo, s5
	s_and_saveexec_b32 s2, s3
	s_cbranch_execnz .LBB117_18
.LBB117_14:                             ;   in Loop: Header=BB117_4 Depth=1
	s_wait_alu 0xfffe
	s_or_b32 exec_lo, exec_lo, s2
	s_and_saveexec_b32 s2, s4
	s_cbranch_execz .LBB117_3
	s_branch .LBB117_19
.LBB117_15:                             ;   in Loop: Header=BB117_4 Depth=1
	v_add_co_u32 v26, s5, v5, s20
	s_wait_alu 0xf1ff
	v_add_co_ci_u32_e64 v27, null, s21, v6, s5
	global_load_u8 v26, v[26:27], off
	s_or_b32 exec_lo, exec_lo, s24
	s_and_saveexec_b32 s5, vcc_lo
	s_cbranch_execz .LBB117_12
.LBB117_16:                             ;   in Loop: Header=BB117_4 Depth=1
	s_wait_loadcnt 0x0
	v_bfe_i32 v24, v24, 0, 8
	v_add_co_u32 v27, vcc_lo, v3, s20
	s_wait_alu 0xfffd
	v_add_co_ci_u32_e64 v28, null, s21, v4, vcc_lo
	s_delay_alu instid0(VALU_DEP_3)
	v_min_i16 v24, v24, s23
	global_store_b8 v[27:28], v24, off
	s_wait_alu 0xfffe
	s_or_b32 exec_lo, exec_lo, s5
	s_and_saveexec_b32 s5, s2
	s_cbranch_execz .LBB117_13
.LBB117_17:                             ;   in Loop: Header=BB117_4 Depth=1
	s_wait_loadcnt 0x0
	v_bfe_i32 v24, v25, 0, 8
	s_delay_alu instid0(VALU_DEP_1)
	v_min_i16 v27, v24, s23
	v_add_co_u32 v24, vcc_lo, v19, s20
	s_wait_alu 0xfffd
	v_add_co_ci_u32_e64 v25, null, s21, v20, vcc_lo
	global_store_b8 v[24:25], v27, off
	s_wait_alu 0xfffe
	s_or_b32 exec_lo, exec_lo, s5
	s_and_saveexec_b32 s2, s3
	s_cbranch_execz .LBB117_14
.LBB117_18:                             ;   in Loop: Header=BB117_4 Depth=1
	s_wait_loadcnt 0x0
	v_bfe_i32 v23, v23, 0, 8
	s_delay_alu instid0(VALU_DEP_1)
	v_min_i16 v25, v23, s23
	v_add_co_u32 v23, vcc_lo, v13, s20
	s_wait_alu 0xfffd
	v_add_co_ci_u32_e64 v24, null, s21, v14, vcc_lo
	global_store_b8 v[23:24], v25, off
	s_wait_alu 0xfffe
	s_or_b32 exec_lo, exec_lo, s2
	s_and_saveexec_b32 s2, s4
	s_cbranch_execz .LBB117_3
.LBB117_19:                             ;   in Loop: Header=BB117_4 Depth=1
	s_wait_loadcnt 0x0
	v_bfe_i32 v23, v26, 0, 8
	s_delay_alu instid0(VALU_DEP_1)
	v_min_i16 v25, v23, s23
	v_add_co_u32 v23, vcc_lo, v7, s20
	s_wait_alu 0xfffd
	v_add_co_ci_u32_e64 v24, null, s21, v8, vcc_lo
	global_store_b8 v[23:24], v25, off
	s_branch .LBB117_3
.LBB117_20:
	s_mov_b32 s2, 0
.LBB117_21:
	s_wait_alu 0xfffe
	s_and_not1_b32 vcc_lo, exec_lo, s2
	s_wait_alu 0xfffe
	s_cbranch_vccnz .LBB117_25
; %bb.22:
	v_cmp_gt_i64_e64 s2, 0x10000, s[12:13]
	v_dual_mov_b32 v3, 0 :: v_dual_lshlrev_b32 v2, 2, v0
	s_mov_b32 s4, 0
	s_mov_b32 s5, exec_lo
	s_and_b32 s2, s2, exec_lo
	s_cselect_b32 s3, s13, 0
	s_cselect_b32 s2, s12, 0x10000
	s_wait_alu 0xfffe
	v_cmpx_gt_i64_e64 s[2:3], v[2:3]
	s_cbranch_execz .LBB117_25
; %bb.23:
	s_load_b32 s0, s[0:1], 0xc5c
	v_add_co_u32 v2, s1, s10, v2
	v_mov_b32_e32 v1, v3
	v_add_co_ci_u32_e64 v3, null, s11, 0, s1
	s_bfe_i32 s10, s22, 0x80000
	s_wait_kmcnt 0x0
	s_and_b32 s1, s0, 0xffff
	s_wait_alu 0xfffe
	s_lshl_b32 s5, s1, 2
.LBB117_24:                             ; =>This Inner Loop Header: Depth=1
	v_add_co_u32 v4, vcc_lo, s6, v2
	s_wait_alu 0xfffd
	v_add_co_ci_u32_e64 v5, null, s7, v3, vcc_lo
	v_add_co_u32 v0, vcc_lo, v0, s1
	s_wait_alu 0xfffd
	v_add_co_ci_u32_e64 v1, null, 0, v1, vcc_lo
	global_load_b32 v4, v[4:5], off
	s_wait_loadcnt 0x0
	v_lshrrev_b32_e32 v5, 8, v4
	v_lshrrev_b32_e32 v6, 24, v4
	;; [unrolled: 1-line block ×3, first 2 shown]
	v_bfe_i32 v4, v4, 0, 8
	s_delay_alu instid0(VALU_DEP_4) | instskip(NEXT) | instid1(VALU_DEP_4)
	v_bfe_i32 v5, v5, 0, 8
	v_bfe_i32 v6, v6, 0, 8
	s_delay_alu instid0(VALU_DEP_4) | instskip(NEXT) | instid1(VALU_DEP_4)
	v_bfe_i32 v7, v7, 0, 8
	v_min_i16 v4, v4, s10
	s_delay_alu instid0(VALU_DEP_4) | instskip(NEXT) | instid1(VALU_DEP_4)
	v_min_i16 v5, v5, s10
	v_min_i16 v6, v6, s10
	s_delay_alu instid0(VALU_DEP_4) | instskip(NEXT) | instid1(VALU_DEP_4)
	v_min_i16 v7, v7, s10
	v_and_b32_e32 v8, 0xff, v4
	v_add_co_u32 v4, vcc_lo, s8, v2
	v_lshlrev_b16 v5, 8, v5
	v_lshlrev_b16 v9, 8, v6
	v_and_b32_e32 v10, 0xff, v7
	v_lshlrev_b64_e32 v[6:7], 2, v[0:1]
	s_wait_alu 0xfffe
	v_add_co_u32 v2, s0, v2, s5
	v_or_b32_e32 v8, v8, v5
	v_or_b32_e32 v9, v10, v9
	s_wait_alu 0xfffd
	v_add_co_ci_u32_e64 v5, null, s9, v3, vcc_lo
	v_cmp_le_i64_e32 vcc_lo, s[2:3], v[6:7]
	v_and_b32_e32 v8, 0xffff, v8
	v_lshlrev_b32_e32 v9, 16, v9
	s_wait_alu 0xf1ff
	v_add_co_ci_u32_e64 v3, null, 0, v3, s0
	s_or_b32 s4, vcc_lo, s4
	v_or_b32_e32 v6, v8, v9
	global_store_b32 v[4:5], v6, off
	s_wait_alu 0xfffe
	s_and_not1_b32 exec_lo, exec_lo, s4
	s_cbranch_execnz .LBB117_24
.LBB117_25:
	s_endpgm
	.section	.rodata,"a",@progbits
	.p2align	6, 0x0
	.amdhsa_kernel _ZN2at6native12_GLOBAL__N_125multi_tensor_apply_kernelINS1_18TensorListMetadataILi2EEENS1_21BinaryOpScalarFunctorIaLi2ELi1ELi1EEEJNS0_7minimumIaEEaEEEvT_T0_DpT1_
		.amdhsa_group_segment_fixed_size 0
		.amdhsa_private_segment_fixed_size 0
		.amdhsa_kernarg_size 3408
		.amdhsa_user_sgpr_count 2
		.amdhsa_user_sgpr_dispatch_ptr 0
		.amdhsa_user_sgpr_queue_ptr 0
		.amdhsa_user_sgpr_kernarg_segment_ptr 1
		.amdhsa_user_sgpr_dispatch_id 0
		.amdhsa_user_sgpr_private_segment_size 0
		.amdhsa_wavefront_size32 1
		.amdhsa_uses_dynamic_stack 0
		.amdhsa_enable_private_segment 0
		.amdhsa_system_sgpr_workgroup_id_x 1
		.amdhsa_system_sgpr_workgroup_id_y 0
		.amdhsa_system_sgpr_workgroup_id_z 0
		.amdhsa_system_sgpr_workgroup_info 0
		.amdhsa_system_vgpr_workitem_id 0
		.amdhsa_next_free_vgpr 29
		.amdhsa_next_free_sgpr 25
		.amdhsa_reserve_vcc 1
		.amdhsa_float_round_mode_32 0
		.amdhsa_float_round_mode_16_64 0
		.amdhsa_float_denorm_mode_32 3
		.amdhsa_float_denorm_mode_16_64 3
		.amdhsa_fp16_overflow 0
		.amdhsa_workgroup_processor_mode 1
		.amdhsa_memory_ordered 1
		.amdhsa_forward_progress 1
		.amdhsa_inst_pref_size 14
		.amdhsa_round_robin_scheduling 0
		.amdhsa_exception_fp_ieee_invalid_op 0
		.amdhsa_exception_fp_denorm_src 0
		.amdhsa_exception_fp_ieee_div_zero 0
		.amdhsa_exception_fp_ieee_overflow 0
		.amdhsa_exception_fp_ieee_underflow 0
		.amdhsa_exception_fp_ieee_inexact 0
		.amdhsa_exception_int_div_zero 0
	.end_amdhsa_kernel
	.section	.text._ZN2at6native12_GLOBAL__N_125multi_tensor_apply_kernelINS1_18TensorListMetadataILi2EEENS1_21BinaryOpScalarFunctorIaLi2ELi1ELi1EEEJNS0_7minimumIaEEaEEEvT_T0_DpT1_,"axG",@progbits,_ZN2at6native12_GLOBAL__N_125multi_tensor_apply_kernelINS1_18TensorListMetadataILi2EEENS1_21BinaryOpScalarFunctorIaLi2ELi1ELi1EEEJNS0_7minimumIaEEaEEEvT_T0_DpT1_,comdat
.Lfunc_end117:
	.size	_ZN2at6native12_GLOBAL__N_125multi_tensor_apply_kernelINS1_18TensorListMetadataILi2EEENS1_21BinaryOpScalarFunctorIaLi2ELi1ELi1EEEJNS0_7minimumIaEEaEEEvT_T0_DpT1_, .Lfunc_end117-_ZN2at6native12_GLOBAL__N_125multi_tensor_apply_kernelINS1_18TensorListMetadataILi2EEENS1_21BinaryOpScalarFunctorIaLi2ELi1ELi1EEEJNS0_7minimumIaEEaEEEvT_T0_DpT1_
                                        ; -- End function
	.set _ZN2at6native12_GLOBAL__N_125multi_tensor_apply_kernelINS1_18TensorListMetadataILi2EEENS1_21BinaryOpScalarFunctorIaLi2ELi1ELi1EEEJNS0_7minimumIaEEaEEEvT_T0_DpT1_.num_vgpr, 29
	.set _ZN2at6native12_GLOBAL__N_125multi_tensor_apply_kernelINS1_18TensorListMetadataILi2EEENS1_21BinaryOpScalarFunctorIaLi2ELi1ELi1EEEJNS0_7minimumIaEEaEEEvT_T0_DpT1_.num_agpr, 0
	.set _ZN2at6native12_GLOBAL__N_125multi_tensor_apply_kernelINS1_18TensorListMetadataILi2EEENS1_21BinaryOpScalarFunctorIaLi2ELi1ELi1EEEJNS0_7minimumIaEEaEEEvT_T0_DpT1_.numbered_sgpr, 25
	.set _ZN2at6native12_GLOBAL__N_125multi_tensor_apply_kernelINS1_18TensorListMetadataILi2EEENS1_21BinaryOpScalarFunctorIaLi2ELi1ELi1EEEJNS0_7minimumIaEEaEEEvT_T0_DpT1_.num_named_barrier, 0
	.set _ZN2at6native12_GLOBAL__N_125multi_tensor_apply_kernelINS1_18TensorListMetadataILi2EEENS1_21BinaryOpScalarFunctorIaLi2ELi1ELi1EEEJNS0_7minimumIaEEaEEEvT_T0_DpT1_.private_seg_size, 0
	.set _ZN2at6native12_GLOBAL__N_125multi_tensor_apply_kernelINS1_18TensorListMetadataILi2EEENS1_21BinaryOpScalarFunctorIaLi2ELi1ELi1EEEJNS0_7minimumIaEEaEEEvT_T0_DpT1_.uses_vcc, 1
	.set _ZN2at6native12_GLOBAL__N_125multi_tensor_apply_kernelINS1_18TensorListMetadataILi2EEENS1_21BinaryOpScalarFunctorIaLi2ELi1ELi1EEEJNS0_7minimumIaEEaEEEvT_T0_DpT1_.uses_flat_scratch, 0
	.set _ZN2at6native12_GLOBAL__N_125multi_tensor_apply_kernelINS1_18TensorListMetadataILi2EEENS1_21BinaryOpScalarFunctorIaLi2ELi1ELi1EEEJNS0_7minimumIaEEaEEEvT_T0_DpT1_.has_dyn_sized_stack, 0
	.set _ZN2at6native12_GLOBAL__N_125multi_tensor_apply_kernelINS1_18TensorListMetadataILi2EEENS1_21BinaryOpScalarFunctorIaLi2ELi1ELi1EEEJNS0_7minimumIaEEaEEEvT_T0_DpT1_.has_recursion, 0
	.set _ZN2at6native12_GLOBAL__N_125multi_tensor_apply_kernelINS1_18TensorListMetadataILi2EEENS1_21BinaryOpScalarFunctorIaLi2ELi1ELi1EEEJNS0_7minimumIaEEaEEEvT_T0_DpT1_.has_indirect_call, 0
	.section	.AMDGPU.csdata,"",@progbits
; Kernel info:
; codeLenInByte = 1732
; TotalNumSgprs: 27
; NumVgprs: 29
; ScratchSize: 0
; MemoryBound: 0
; FloatMode: 240
; IeeeMode: 1
; LDSByteSize: 0 bytes/workgroup (compile time only)
; SGPRBlocks: 0
; VGPRBlocks: 3
; NumSGPRsForWavesPerEU: 27
; NumVGPRsForWavesPerEU: 29
; Occupancy: 16
; WaveLimiterHint : 0
; COMPUTE_PGM_RSRC2:SCRATCH_EN: 0
; COMPUTE_PGM_RSRC2:USER_SGPR: 2
; COMPUTE_PGM_RSRC2:TRAP_HANDLER: 0
; COMPUTE_PGM_RSRC2:TGID_X_EN: 1
; COMPUTE_PGM_RSRC2:TGID_Y_EN: 0
; COMPUTE_PGM_RSRC2:TGID_Z_EN: 0
; COMPUTE_PGM_RSRC2:TIDIG_COMP_CNT: 0
	.section	.text._ZN2at6native12_GLOBAL__N_125multi_tensor_apply_kernelINS1_18TensorListMetadataILi2EEENS1_21BinaryOpScalarFunctorIiLi2ELi1ELi1EEEJNS0_7minimumIiEEiEEEvT_T0_DpT1_,"axG",@progbits,_ZN2at6native12_GLOBAL__N_125multi_tensor_apply_kernelINS1_18TensorListMetadataILi2EEENS1_21BinaryOpScalarFunctorIiLi2ELi1ELi1EEEJNS0_7minimumIiEEiEEEvT_T0_DpT1_,comdat
	.globl	_ZN2at6native12_GLOBAL__N_125multi_tensor_apply_kernelINS1_18TensorListMetadataILi2EEENS1_21BinaryOpScalarFunctorIiLi2ELi1ELi1EEEJNS0_7minimumIiEEiEEEvT_T0_DpT1_ ; -- Begin function _ZN2at6native12_GLOBAL__N_125multi_tensor_apply_kernelINS1_18TensorListMetadataILi2EEENS1_21BinaryOpScalarFunctorIiLi2ELi1ELi1EEEJNS0_7minimumIiEEiEEEvT_T0_DpT1_
	.p2align	8
	.type	_ZN2at6native12_GLOBAL__N_125multi_tensor_apply_kernelINS1_18TensorListMetadataILi2EEENS1_21BinaryOpScalarFunctorIiLi2ELi1ELi1EEEJNS0_7minimumIiEEiEEEvT_T0_DpT1_,@function
_ZN2at6native12_GLOBAL__N_125multi_tensor_apply_kernelINS1_18TensorListMetadataILi2EEENS1_21BinaryOpScalarFunctorIiLi2ELi1ELi1EEEJNS0_7minimumIiEEiEEEvT_T0_DpT1_: ; @_ZN2at6native12_GLOBAL__N_125multi_tensor_apply_kernelINS1_18TensorListMetadataILi2EEENS1_21BinaryOpScalarFunctorIiLi2ELi1ELi1EEEJNS0_7minimumIiEEiEEEvT_T0_DpT1_
; %bb.0:
	s_load_u8 s8, s[0:1], ttmp9 offset:0x600
	s_mov_b32 s2, ttmp9
	s_mov_b32 s3, 0
	s_delay_alu instid0(SALU_CYCLE_1)
	s_mul_u64 s[4:5], s[2:3], 3
	s_add_nc_u64 s[6:7], s[0:1], s[2:3]
	s_mov_b32 s15, s3
	s_add_nc_u64 s[4:5], s[6:7], s[4:5]
	s_mov_b32 s17, s3
	s_load_b32 s4, s[4:5], 0x740
	s_wait_kmcnt 0x0
	s_lshl_b32 s2, s8, 3
	s_clause 0x3
	s_load_b64 s[6:7], s[0:1], s2 offset:0x0
	s_load_b64 s[8:9], s[0:1], s2 offset:0x200
	s_load_b64 s[12:13], s[0:1], s2 offset:0x400
	s_load_b32 s22, s[0:1], 0xc4c
	s_ashr_i32 s5, s4, 31
	s_delay_alu instid0(SALU_CYCLE_1)
	s_lshl_b64 s[10:11], s[4:5], 18
	s_lshl_b64 s[4:5], s[4:5], 16
	s_wait_kmcnt 0x0
	s_add_nc_u64 s[18:19], s[6:7], s[10:11]
	s_and_b32 s14, s8, 15
	s_and_b32 s16, s12, 3
	;; [unrolled: 1-line block ×3, first 2 shown]
	s_or_b64 s[14:15], s[14:15], s[16:17]
	s_sub_nc_u64 s[12:13], s[12:13], s[4:5]
	s_or_b64 s[2:3], s[14:15], s[2:3]
	s_delay_alu instid0(SALU_CYCLE_1)
	s_cmp_eq_u64 s[2:3], 0
	s_mov_b32 s2, -1
	s_cbranch_scc1 .LBB118_21
; %bb.1:
	v_cmp_lt_i64_e64 s2, s[12:13], 1
	s_and_b32 vcc_lo, exec_lo, s2
	s_cbranch_vccnz .LBB118_20
; %bb.2:
	s_load_b32 s2, s[0:1], 0xc5c
	v_cmp_gt_i64_e64 s3, 0x10000, s[12:13]
	v_dual_mov_b32 v10, 0 :: v_dual_lshlrev_b32 v9, 2, v0
	v_cmp_gt_u64_e64 s4, 0x10000, s[12:13]
	s_mov_b32 s15, 0
	s_mov_b64 s[20:21], 0
	s_and_b32 s3, s3, exec_lo
	v_add_co_u32 v3, s3, s8, v9
	v_add_co_u32 v1, s5, s6, v9
	s_cselect_b32 s17, s13, 0
	s_cselect_b32 s16, s12, 0x10000
	v_add_co_ci_u32_e64 v4, null, s9, 0, s3
	v_add_co_ci_u32_e64 v2, null, s7, 0, s5
	s_wait_kmcnt 0x0
	s_and_b32 s2, s2, 0xffff
	s_and_b32 s3, s4, exec_lo
	s_cselect_b32 s19, s13, 0
	s_cselect_b32 s18, s12, 0x10000
	s_wait_alu 0xfffe
	s_mul_i32 s4, s2, 3
	s_lshl_b32 s5, s2, 3
	v_mad_co_u64_u32 v[7:8], null, s2, 12, v[9:10]
	s_wait_alu 0xfffe
	v_add_co_u32 v14, s5, s5, v9
	v_add_co_u32 v9, s4, s4, v0
	s_wait_alu 0xf1ff
	v_add_co_ci_u32_e64 v10, null, 0, 0, s4
	v_add_co_u32 v13, s4, v0, s2
	s_lshl_b32 s3, s2, 1
	v_add_co_u32 v5, vcc_lo, s6, v7
	v_lshlrev_b32_e32 v21, 2, v13
	v_add_co_ci_u32_e64 v15, null, 0, 0, s5
	v_add_co_ci_u32_e64 v6, null, s7, v8, vcc_lo
	v_add_co_u32 v7, vcc_lo, s8, v7
	s_wait_alu 0xfffe
	v_add_co_u32 v17, s3, s3, v0
	s_wait_alu 0xfffd
	v_add_co_ci_u32_e64 v8, null, s9, v8, vcc_lo
	v_add_co_u32 v11, vcc_lo, s6, v14
	s_wait_alu 0xf1ff
	v_add_co_ci_u32_e64 v18, null, 0, 0, s3
	v_add_co_u32 v19, s3, s6, v21
	s_wait_alu 0xfffd
	v_add_co_ci_u32_e64 v12, null, s7, v15, vcc_lo
	v_add_co_u32 v14, vcc_lo, s8, v14
	s_wait_alu 0xf1ff
	v_add_co_ci_u32_e64 v20, null, s7, 0, s3
	v_add_co_u32 v21, s3, s8, v21
	s_wait_alu 0xfffd
	v_add_co_ci_u32_e64 v15, null, s9, v15, vcc_lo
	v_add_co_ci_u32_e64 v16, null, 0, 0, s4
	s_wait_alu 0xf1ff
	v_add_co_ci_u32_e64 v22, null, s9, 0, s3
	s_lshl_b32 s14, s2, 2
	s_lshl_b32 s23, s2, 4
	s_branch .LBB118_4
.LBB118_3:                              ;   in Loop: Header=BB118_4 Depth=1
	s_wait_alu 0xfffe
	s_or_b32 exec_lo, exec_lo, s2
	v_add_co_u32 v1, vcc_lo, v1, s23
	s_wait_alu 0xfffd
	v_add_co_ci_u32_e64 v2, null, 0, v2, vcc_lo
	v_add_co_u32 v3, vcc_lo, v3, s23
	s_wait_alu 0xfffd
	v_add_co_ci_u32_e64 v4, null, 0, v4, vcc_lo
	v_add_co_u32 v5, vcc_lo, v5, s23
	s_wait_alu 0xfffd
	v_add_co_ci_u32_e64 v6, null, 0, v6, vcc_lo
	v_add_co_u32 v7, vcc_lo, v7, s23
	s_wait_alu 0xfffd
	v_add_co_ci_u32_e64 v8, null, 0, v8, vcc_lo
	v_add_co_u32 v11, vcc_lo, v11, s23
	s_wait_alu 0xfffd
	v_add_co_ci_u32_e64 v12, null, 0, v12, vcc_lo
	v_add_co_u32 v14, vcc_lo, v14, s23
	s_add_nc_u64 s[20:21], s[20:21], s[14:15]
	s_wait_alu 0xfffd
	v_add_co_ci_u32_e64 v15, null, 0, v15, vcc_lo
	v_add_co_u32 v19, vcc_lo, v19, s23
	s_wait_alu 0xfffe
	v_cmp_lt_i64_e64 s2, s[20:21], s[16:17]
	s_wait_alu 0xfffd
	v_add_co_ci_u32_e64 v20, null, 0, v20, vcc_lo
	v_add_co_u32 v21, vcc_lo, v21, s23
	s_wait_alu 0xfffd
	v_add_co_ci_u32_e64 v22, null, 0, v22, vcc_lo
	s_and_b32 vcc_lo, exec_lo, s2
	s_wait_alu 0xfffe
	s_cbranch_vccz .LBB118_20
.LBB118_4:                              ; =>This Inner Loop Header: Depth=1
	s_wait_loadcnt 0x0
	v_add_co_u32 v23, s2, v0, s20
	s_wait_alu 0xf1ff
	v_add_co_ci_u32_e64 v24, null, 0, s21, s2
	s_delay_alu instid0(VALU_DEP_1)
	v_cmp_gt_u64_e32 vcc_lo, s[18:19], v[23:24]
	v_mov_b32_e32 v24, 0
	s_and_saveexec_b32 s3, vcc_lo
	s_cbranch_execz .LBB118_6
; %bb.5:                                ;   in Loop: Header=BB118_4 Depth=1
	v_add_co_u32 v23, s2, v1, s10
	s_wait_alu 0xf1ff
	v_add_co_ci_u32_e64 v24, null, s11, v2, s2
	global_load_b32 v24, v[23:24], off
.LBB118_6:                              ;   in Loop: Header=BB118_4 Depth=1
	s_wait_alu 0xfffe
	s_or_b32 exec_lo, exec_lo, s3
	v_add_co_u32 v25, s2, v13, s20
	s_wait_alu 0xf1ff
	v_add_co_ci_u32_e64 v26, null, s21, v16, s2
	v_mov_b32_e32 v23, 0
	s_delay_alu instid0(VALU_DEP_2)
	v_cmp_gt_u64_e64 s2, s[18:19], v[25:26]
	v_mov_b32_e32 v25, 0
	s_and_saveexec_b32 s4, s2
	s_cbranch_execz .LBB118_8
; %bb.7:                                ;   in Loop: Header=BB118_4 Depth=1
	v_add_co_u32 v25, s3, v19, s10
	s_wait_alu 0xf1ff
	v_add_co_ci_u32_e64 v26, null, s11, v20, s3
	global_load_b32 v25, v[25:26], off
.LBB118_8:                              ;   in Loop: Header=BB118_4 Depth=1
	s_wait_alu 0xfffe
	s_or_b32 exec_lo, exec_lo, s4
	v_add_co_u32 v26, s3, v17, s20
	s_wait_alu 0xf1ff
	v_add_co_ci_u32_e64 v27, null, s21, v18, s3
	s_delay_alu instid0(VALU_DEP_1)
	v_cmp_gt_u64_e64 s3, s[18:19], v[26:27]
	s_and_saveexec_b32 s5, s3
	s_cbranch_execz .LBB118_10
; %bb.9:                                ;   in Loop: Header=BB118_4 Depth=1
	v_add_co_u32 v26, s4, v11, s10
	s_wait_alu 0xf1ff
	v_add_co_ci_u32_e64 v27, null, s11, v12, s4
	global_load_b32 v23, v[26:27], off
.LBB118_10:                             ;   in Loop: Header=BB118_4 Depth=1
	s_wait_alu 0xfffe
	s_or_b32 exec_lo, exec_lo, s5
	v_add_co_u32 v26, s4, v9, s20
	s_wait_alu 0xf1ff
	v_add_co_ci_u32_e64 v27, null, s21, v10, s4
	s_delay_alu instid0(VALU_DEP_1)
	v_cmp_gt_u64_e64 s4, s[18:19], v[26:27]
	v_mov_b32_e32 v26, 0
	s_and_saveexec_b32 s24, s4
	s_cbranch_execnz .LBB118_15
; %bb.11:                               ;   in Loop: Header=BB118_4 Depth=1
	s_or_b32 exec_lo, exec_lo, s24
	s_and_saveexec_b32 s5, vcc_lo
	s_cbranch_execnz .LBB118_16
.LBB118_12:                             ;   in Loop: Header=BB118_4 Depth=1
	s_wait_alu 0xfffe
	s_or_b32 exec_lo, exec_lo, s5
	s_and_saveexec_b32 s5, s2
	s_cbranch_execnz .LBB118_17
.LBB118_13:                             ;   in Loop: Header=BB118_4 Depth=1
	s_wait_alu 0xfffe
	s_or_b32 exec_lo, exec_lo, s5
	s_and_saveexec_b32 s2, s3
	s_cbranch_execnz .LBB118_18
.LBB118_14:                             ;   in Loop: Header=BB118_4 Depth=1
	s_wait_alu 0xfffe
	s_or_b32 exec_lo, exec_lo, s2
	s_and_saveexec_b32 s2, s4
	s_cbranch_execz .LBB118_3
	s_branch .LBB118_19
.LBB118_15:                             ;   in Loop: Header=BB118_4 Depth=1
	v_add_co_u32 v26, s5, v5, s10
	s_wait_alu 0xf1ff
	v_add_co_ci_u32_e64 v27, null, s11, v6, s5
	global_load_b32 v26, v[26:27], off
	s_or_b32 exec_lo, exec_lo, s24
	s_and_saveexec_b32 s5, vcc_lo
	s_cbranch_execz .LBB118_12
.LBB118_16:                             ;   in Loop: Header=BB118_4 Depth=1
	v_add_co_u32 v27, vcc_lo, v3, s10
	s_wait_loadcnt 0x0
	v_min_i32_e32 v24, s22, v24
	s_wait_alu 0xfffd
	v_add_co_ci_u32_e64 v28, null, s11, v4, vcc_lo
	global_store_b32 v[27:28], v24, off
	s_wait_alu 0xfffe
	s_or_b32 exec_lo, exec_lo, s5
	s_and_saveexec_b32 s5, s2
	s_cbranch_execz .LBB118_13
.LBB118_17:                             ;   in Loop: Header=BB118_4 Depth=1
	s_wait_loadcnt 0x0
	v_add_co_u32 v24, vcc_lo, v21, s10
	v_min_i32_e32 v27, s22, v25
	s_wait_alu 0xfffd
	v_add_co_ci_u32_e64 v25, null, s11, v22, vcc_lo
	global_store_b32 v[24:25], v27, off
	s_wait_alu 0xfffe
	s_or_b32 exec_lo, exec_lo, s5
	s_and_saveexec_b32 s2, s3
	s_cbranch_execz .LBB118_14
.LBB118_18:                             ;   in Loop: Header=BB118_4 Depth=1
	s_wait_loadcnt 0x0
	v_min_i32_e32 v25, s22, v23
	v_add_co_u32 v23, vcc_lo, v14, s10
	s_wait_alu 0xfffd
	v_add_co_ci_u32_e64 v24, null, s11, v15, vcc_lo
	global_store_b32 v[23:24], v25, off
	s_wait_alu 0xfffe
	s_or_b32 exec_lo, exec_lo, s2
	s_and_saveexec_b32 s2, s4
	s_cbranch_execz .LBB118_3
.LBB118_19:                             ;   in Loop: Header=BB118_4 Depth=1
	s_wait_loadcnt 0x0
	v_add_co_u32 v23, vcc_lo, v7, s10
	v_min_i32_e32 v25, s22, v26
	s_wait_alu 0xfffd
	v_add_co_ci_u32_e64 v24, null, s11, v8, vcc_lo
	global_store_b32 v[23:24], v25, off
	s_branch .LBB118_3
.LBB118_20:
	s_mov_b32 s2, 0
.LBB118_21:
	s_wait_alu 0xfffe
	s_and_not1_b32 vcc_lo, exec_lo, s2
	s_wait_alu 0xfffe
	s_cbranch_vccnz .LBB118_25
; %bb.22:
	v_cmp_gt_i64_e64 s2, 0x10000, s[12:13]
	v_dual_mov_b32 v2, 0 :: v_dual_lshlrev_b32 v1, 2, v0
	s_mov_b32 s4, 0
	s_mov_b32 s5, exec_lo
	s_and_b32 s2, s2, exec_lo
	s_cselect_b32 s3, s13, 0
	s_cselect_b32 s2, s12, 0x10000
	s_wait_alu 0xfffe
	v_cmpx_gt_i64_e64 s[2:3], v[1:2]
	s_cbranch_execz .LBB118_25
; %bb.23:
	s_load_b32 s0, s[0:1], 0xc5c
	v_lshlrev_b32_e32 v3, 4, v0
	v_mov_b32_e32 v1, v2
	s_delay_alu instid0(VALU_DEP_2) | instskip(NEXT) | instid1(VALU_DEP_1)
	v_add_co_u32 v2, s1, s10, v3
	v_add_co_ci_u32_e64 v3, null, s11, 0, s1
	s_wait_kmcnt 0x0
	s_and_b32 s1, s0, 0xffff
	s_wait_alu 0xfffe
	s_lshl_b32 s5, s1, 4
.LBB118_24:                             ; =>This Inner Loop Header: Depth=1
	v_add_co_u32 v4, vcc_lo, s6, v2
	s_wait_alu 0xfffd
	v_add_co_ci_u32_e64 v5, null, s7, v3, vcc_lo
	v_add_co_u32 v0, vcc_lo, v0, s1
	s_wait_alu 0xfffd
	v_add_co_ci_u32_e64 v1, null, 0, v1, vcc_lo
	global_load_b128 v[4:7], v[4:5], off
	v_add_co_u32 v8, vcc_lo, s8, v2
	v_lshlrev_b64_e32 v[10:11], 2, v[0:1]
	s_wait_alu 0xfffd
	v_add_co_ci_u32_e64 v9, null, s9, v3, vcc_lo
	s_wait_alu 0xfffe
	v_add_co_u32 v2, vcc_lo, v2, s5
	s_wait_alu 0xfffd
	v_add_co_ci_u32_e64 v3, null, 0, v3, vcc_lo
	v_cmp_le_i64_e64 s0, s[2:3], v[10:11]
	s_or_b32 s4, s0, s4
	s_wait_loadcnt 0x0
	v_min_i32_e32 v4, s22, v4
	v_min_i32_e32 v5, s22, v5
	;; [unrolled: 1-line block ×4, first 2 shown]
	global_store_b128 v[8:9], v[4:7], off
	s_wait_alu 0xfffe
	s_and_not1_b32 exec_lo, exec_lo, s4
	s_cbranch_execnz .LBB118_24
.LBB118_25:
	s_endpgm
	.section	.rodata,"a",@progbits
	.p2align	6, 0x0
	.amdhsa_kernel _ZN2at6native12_GLOBAL__N_125multi_tensor_apply_kernelINS1_18TensorListMetadataILi2EEENS1_21BinaryOpScalarFunctorIiLi2ELi1ELi1EEEJNS0_7minimumIiEEiEEEvT_T0_DpT1_
		.amdhsa_group_segment_fixed_size 0
		.amdhsa_private_segment_fixed_size 0
		.amdhsa_kernarg_size 3408
		.amdhsa_user_sgpr_count 2
		.amdhsa_user_sgpr_dispatch_ptr 0
		.amdhsa_user_sgpr_queue_ptr 0
		.amdhsa_user_sgpr_kernarg_segment_ptr 1
		.amdhsa_user_sgpr_dispatch_id 0
		.amdhsa_user_sgpr_private_segment_size 0
		.amdhsa_wavefront_size32 1
		.amdhsa_uses_dynamic_stack 0
		.amdhsa_enable_private_segment 0
		.amdhsa_system_sgpr_workgroup_id_x 1
		.amdhsa_system_sgpr_workgroup_id_y 0
		.amdhsa_system_sgpr_workgroup_id_z 0
		.amdhsa_system_sgpr_workgroup_info 0
		.amdhsa_system_vgpr_workitem_id 0
		.amdhsa_next_free_vgpr 29
		.amdhsa_next_free_sgpr 25
		.amdhsa_reserve_vcc 1
		.amdhsa_float_round_mode_32 0
		.amdhsa_float_round_mode_16_64 0
		.amdhsa_float_denorm_mode_32 3
		.amdhsa_float_denorm_mode_16_64 3
		.amdhsa_fp16_overflow 0
		.amdhsa_workgroup_processor_mode 1
		.amdhsa_memory_ordered 1
		.amdhsa_forward_progress 1
		.amdhsa_inst_pref_size 13
		.amdhsa_round_robin_scheduling 0
		.amdhsa_exception_fp_ieee_invalid_op 0
		.amdhsa_exception_fp_denorm_src 0
		.amdhsa_exception_fp_ieee_div_zero 0
		.amdhsa_exception_fp_ieee_overflow 0
		.amdhsa_exception_fp_ieee_underflow 0
		.amdhsa_exception_fp_ieee_inexact 0
		.amdhsa_exception_int_div_zero 0
	.end_amdhsa_kernel
	.section	.text._ZN2at6native12_GLOBAL__N_125multi_tensor_apply_kernelINS1_18TensorListMetadataILi2EEENS1_21BinaryOpScalarFunctorIiLi2ELi1ELi1EEEJNS0_7minimumIiEEiEEEvT_T0_DpT1_,"axG",@progbits,_ZN2at6native12_GLOBAL__N_125multi_tensor_apply_kernelINS1_18TensorListMetadataILi2EEENS1_21BinaryOpScalarFunctorIiLi2ELi1ELi1EEEJNS0_7minimumIiEEiEEEvT_T0_DpT1_,comdat
.Lfunc_end118:
	.size	_ZN2at6native12_GLOBAL__N_125multi_tensor_apply_kernelINS1_18TensorListMetadataILi2EEENS1_21BinaryOpScalarFunctorIiLi2ELi1ELi1EEEJNS0_7minimumIiEEiEEEvT_T0_DpT1_, .Lfunc_end118-_ZN2at6native12_GLOBAL__N_125multi_tensor_apply_kernelINS1_18TensorListMetadataILi2EEENS1_21BinaryOpScalarFunctorIiLi2ELi1ELi1EEEJNS0_7minimumIiEEiEEEvT_T0_DpT1_
                                        ; -- End function
	.set _ZN2at6native12_GLOBAL__N_125multi_tensor_apply_kernelINS1_18TensorListMetadataILi2EEENS1_21BinaryOpScalarFunctorIiLi2ELi1ELi1EEEJNS0_7minimumIiEEiEEEvT_T0_DpT1_.num_vgpr, 29
	.set _ZN2at6native12_GLOBAL__N_125multi_tensor_apply_kernelINS1_18TensorListMetadataILi2EEENS1_21BinaryOpScalarFunctorIiLi2ELi1ELi1EEEJNS0_7minimumIiEEiEEEvT_T0_DpT1_.num_agpr, 0
	.set _ZN2at6native12_GLOBAL__N_125multi_tensor_apply_kernelINS1_18TensorListMetadataILi2EEENS1_21BinaryOpScalarFunctorIiLi2ELi1ELi1EEEJNS0_7minimumIiEEiEEEvT_T0_DpT1_.numbered_sgpr, 25
	.set _ZN2at6native12_GLOBAL__N_125multi_tensor_apply_kernelINS1_18TensorListMetadataILi2EEENS1_21BinaryOpScalarFunctorIiLi2ELi1ELi1EEEJNS0_7minimumIiEEiEEEvT_T0_DpT1_.num_named_barrier, 0
	.set _ZN2at6native12_GLOBAL__N_125multi_tensor_apply_kernelINS1_18TensorListMetadataILi2EEENS1_21BinaryOpScalarFunctorIiLi2ELi1ELi1EEEJNS0_7minimumIiEEiEEEvT_T0_DpT1_.private_seg_size, 0
	.set _ZN2at6native12_GLOBAL__N_125multi_tensor_apply_kernelINS1_18TensorListMetadataILi2EEENS1_21BinaryOpScalarFunctorIiLi2ELi1ELi1EEEJNS0_7minimumIiEEiEEEvT_T0_DpT1_.uses_vcc, 1
	.set _ZN2at6native12_GLOBAL__N_125multi_tensor_apply_kernelINS1_18TensorListMetadataILi2EEENS1_21BinaryOpScalarFunctorIiLi2ELi1ELi1EEEJNS0_7minimumIiEEiEEEvT_T0_DpT1_.uses_flat_scratch, 0
	.set _ZN2at6native12_GLOBAL__N_125multi_tensor_apply_kernelINS1_18TensorListMetadataILi2EEENS1_21BinaryOpScalarFunctorIiLi2ELi1ELi1EEEJNS0_7minimumIiEEiEEEvT_T0_DpT1_.has_dyn_sized_stack, 0
	.set _ZN2at6native12_GLOBAL__N_125multi_tensor_apply_kernelINS1_18TensorListMetadataILi2EEENS1_21BinaryOpScalarFunctorIiLi2ELi1ELi1EEEJNS0_7minimumIiEEiEEEvT_T0_DpT1_.has_recursion, 0
	.set _ZN2at6native12_GLOBAL__N_125multi_tensor_apply_kernelINS1_18TensorListMetadataILi2EEENS1_21BinaryOpScalarFunctorIiLi2ELi1ELi1EEEJNS0_7minimumIiEEiEEEvT_T0_DpT1_.has_indirect_call, 0
	.section	.AMDGPU.csdata,"",@progbits
; Kernel info:
; codeLenInByte = 1640
; TotalNumSgprs: 27
; NumVgprs: 29
; ScratchSize: 0
; MemoryBound: 0
; FloatMode: 240
; IeeeMode: 1
; LDSByteSize: 0 bytes/workgroup (compile time only)
; SGPRBlocks: 0
; VGPRBlocks: 3
; NumSGPRsForWavesPerEU: 27
; NumVGPRsForWavesPerEU: 29
; Occupancy: 16
; WaveLimiterHint : 0
; COMPUTE_PGM_RSRC2:SCRATCH_EN: 0
; COMPUTE_PGM_RSRC2:USER_SGPR: 2
; COMPUTE_PGM_RSRC2:TRAP_HANDLER: 0
; COMPUTE_PGM_RSRC2:TGID_X_EN: 1
; COMPUTE_PGM_RSRC2:TGID_Y_EN: 0
; COMPUTE_PGM_RSRC2:TGID_Z_EN: 0
; COMPUTE_PGM_RSRC2:TIDIG_COMP_CNT: 0
	.section	.text._ZN2at6native12_GLOBAL__N_125multi_tensor_apply_kernelINS1_18TensorListMetadataILi2EEENS1_21BinaryOpScalarFunctorIlLi2ELi1ELi1EEEJNS0_7minimumIlEElEEEvT_T0_DpT1_,"axG",@progbits,_ZN2at6native12_GLOBAL__N_125multi_tensor_apply_kernelINS1_18TensorListMetadataILi2EEENS1_21BinaryOpScalarFunctorIlLi2ELi1ELi1EEEJNS0_7minimumIlEElEEEvT_T0_DpT1_,comdat
	.globl	_ZN2at6native12_GLOBAL__N_125multi_tensor_apply_kernelINS1_18TensorListMetadataILi2EEENS1_21BinaryOpScalarFunctorIlLi2ELi1ELi1EEEJNS0_7minimumIlEElEEEvT_T0_DpT1_ ; -- Begin function _ZN2at6native12_GLOBAL__N_125multi_tensor_apply_kernelINS1_18TensorListMetadataILi2EEENS1_21BinaryOpScalarFunctorIlLi2ELi1ELi1EEEJNS0_7minimumIlEElEEEvT_T0_DpT1_
	.p2align	8
	.type	_ZN2at6native12_GLOBAL__N_125multi_tensor_apply_kernelINS1_18TensorListMetadataILi2EEENS1_21BinaryOpScalarFunctorIlLi2ELi1ELi1EEEJNS0_7minimumIlEElEEEvT_T0_DpT1_,@function
_ZN2at6native12_GLOBAL__N_125multi_tensor_apply_kernelINS1_18TensorListMetadataILi2EEENS1_21BinaryOpScalarFunctorIlLi2ELi1ELi1EEEJNS0_7minimumIlEElEEEvT_T0_DpT1_: ; @_ZN2at6native12_GLOBAL__N_125multi_tensor_apply_kernelINS1_18TensorListMetadataILi2EEENS1_21BinaryOpScalarFunctorIlLi2ELi1ELi1EEEJNS0_7minimumIlEElEEEvT_T0_DpT1_
; %bb.0:
	s_load_u8 s8, s[0:1], ttmp9 offset:0x600
	s_mov_b32 s2, ttmp9
	s_mov_b32 s3, 0
	s_delay_alu instid0(SALU_CYCLE_1)
	s_mul_u64 s[4:5], s[2:3], 3
	s_add_nc_u64 s[6:7], s[0:1], s[2:3]
	s_mov_b32 s17, s3
	s_add_nc_u64 s[4:5], s[6:7], s[4:5]
	s_mov_b32 s19, s3
	s_load_b32 s4, s[4:5], 0x740
	s_wait_kmcnt 0x0
	s_lshl_b32 s2, s8, 3
	s_clause 0x3
	s_load_b64 s[6:7], s[0:1], s2 offset:0x0
	s_load_b64 s[8:9], s[0:1], s2 offset:0x200
	;; [unrolled: 1-line block ×3, first 2 shown]
	s_load_b64 s[10:11], s[0:1], 0xc50
	s_ashr_i32 s5, s4, 31
	s_delay_alu instid0(SALU_CYCLE_1)
	s_lshl_b64 s[12:13], s[4:5], 19
	s_lshl_b64 s[4:5], s[4:5], 16
	s_wait_kmcnt 0x0
	s_add_nc_u64 s[20:21], s[6:7], s[12:13]
	s_and_b32 s16, s8, 31
	s_and_b32 s18, s14, 3
	;; [unrolled: 1-line block ×3, first 2 shown]
	s_or_b64 s[16:17], s[16:17], s[18:19]
	s_sub_nc_u64 s[14:15], s[14:15], s[4:5]
	s_or_b64 s[2:3], s[16:17], s[2:3]
	s_delay_alu instid0(SALU_CYCLE_1)
	s_cmp_eq_u64 s[2:3], 0
	s_mov_b32 s2, -1
	s_cbranch_scc1 .LBB119_21
; %bb.1:
	v_cmp_lt_i64_e64 s2, s[14:15], 1
	s_and_b32 vcc_lo, exec_lo, s2
	s_cbranch_vccnz .LBB119_20
; %bb.2:
	s_load_b32 s2, s[0:1], 0xc64
	v_cmp_gt_i64_e64 s3, 0x10000, s[14:15]
	v_dual_mov_b32 v2, 0 :: v_dual_lshlrev_b32 v1, 3, v0
	v_cmp_gt_u64_e64 s4, 0x10000, s[14:15]
	s_mov_b32 s17, 0
	s_mov_b64 s[22:23], 0
	s_and_b32 s3, s3, exec_lo
	s_cselect_b32 s19, s15, 0
	s_cselect_b32 s18, s14, 0x10000
	v_add_co_u32 v11, s3, s8, v1
	v_add_co_u32 v9, s5, s6, v1
	v_add_co_ci_u32_e64 v12, null, s9, 0, s3
	v_add_co_ci_u32_e64 v10, null, s7, 0, s5
	s_wait_kmcnt 0x0
	s_and_b32 s2, s2, 0xffff
	s_and_b32 s3, s4, exec_lo
	s_wait_alu 0xfffe
	v_mad_co_u64_u32 v[2:3], null, s2, 24, v[1:2]
	s_cselect_b32 s21, s15, 0
	s_cselect_b32 s20, s14, 0x10000
	s_mul_i32 s4, s2, 3
	s_lshl_b32 s5, s2, 4
	s_wait_alu 0xfffe
	v_add_co_u32 v17, s4, s4, v0
	v_add_co_u32 v13, vcc_lo, s6, v2
	v_add_co_u32 v1, s5, s5, v1
	v_add_co_ci_u32_e64 v14, null, s7, v3, vcc_lo
	v_add_co_u32 v15, vcc_lo, s8, v2
	s_wait_alu 0xf1ff
	v_add_co_ci_u32_e64 v2, null, 0, 0, s5
	v_add_co_ci_u32_e64 v18, null, 0, 0, s4
	v_add_co_u32 v21, s4, v0, s2
	s_wait_alu 0xfffd
	v_add_co_ci_u32_e64 v16, null, s9, v3, vcc_lo
	v_add_co_u32 v19, vcc_lo, s6, v1
	s_wait_alu 0xfffd
	v_add_co_ci_u32_e64 v20, null, s7, v2, vcc_lo
	v_add_co_u32 v22, vcc_lo, s8, v1
	v_lshlrev_b32_e32 v1, 3, v21
	s_lshl_b32 s3, s2, 1
	s_wait_alu 0xfffd
	v_add_co_ci_u32_e64 v23, null, s9, v2, vcc_lo
	s_wait_alu 0xfffe
	v_add_co_u32 v25, s3, s3, v0
	s_wait_alu 0xf1ff
	v_add_co_ci_u32_e64 v26, null, 0, 0, s3
	v_add_co_u32 v27, s3, s6, v1
	s_wait_alu 0xf1ff
	v_add_co_ci_u32_e64 v28, null, s7, 0, s3
	v_add_co_u32 v29, s3, s8, v1
	v_add_co_ci_u32_e64 v24, null, 0, 0, s4
	s_wait_alu 0xf1ff
	v_add_co_ci_u32_e64 v30, null, s9, 0, s3
	s_lshl_b32 s16, s2, 2
	s_lshl_b32 s24, s2, 5
	s_branch .LBB119_4
.LBB119_3:                              ;   in Loop: Header=BB119_4 Depth=1
	s_wait_alu 0xfffe
	s_or_b32 exec_lo, exec_lo, s2
	v_add_co_u32 v9, vcc_lo, v9, s24
	s_wait_alu 0xfffd
	v_add_co_ci_u32_e64 v10, null, 0, v10, vcc_lo
	v_add_co_u32 v11, vcc_lo, v11, s24
	s_wait_alu 0xfffd
	v_add_co_ci_u32_e64 v12, null, 0, v12, vcc_lo
	;; [unrolled: 3-line block ×5, first 2 shown]
	v_add_co_u32 v22, vcc_lo, v22, s24
	s_add_nc_u64 s[22:23], s[22:23], s[16:17]
	s_wait_alu 0xfffd
	v_add_co_ci_u32_e64 v23, null, 0, v23, vcc_lo
	v_add_co_u32 v27, vcc_lo, v27, s24
	s_wait_alu 0xfffe
	v_cmp_lt_i64_e64 s2, s[22:23], s[18:19]
	s_wait_alu 0xfffd
	v_add_co_ci_u32_e64 v28, null, 0, v28, vcc_lo
	v_add_co_u32 v29, vcc_lo, v29, s24
	s_wait_alu 0xfffd
	v_add_co_ci_u32_e64 v30, null, 0, v30, vcc_lo
	s_and_b32 vcc_lo, exec_lo, s2
	s_wait_alu 0xfffe
	s_cbranch_vccz .LBB119_20
.LBB119_4:                              ; =>This Inner Loop Header: Depth=1
	s_wait_loadcnt 0x0
	v_add_co_u32 v3, s2, v0, s22
	s_wait_alu 0xf1ff
	v_add_co_ci_u32_e64 v4, null, 0, s23, s2
	v_mov_b32_e32 v1, 0
	v_dual_mov_b32 v2, 0 :: v_dual_mov_b32 v5, 0
	s_delay_alu instid0(VALU_DEP_3)
	v_cmp_gt_u64_e32 vcc_lo, s[20:21], v[3:4]
	v_mov_b32_e32 v6, 0
	s_and_saveexec_b32 s3, vcc_lo
	s_cbranch_execz .LBB119_6
; %bb.5:                                ;   in Loop: Header=BB119_4 Depth=1
	v_add_co_u32 v3, s2, v9, s12
	s_wait_alu 0xf1ff
	v_add_co_ci_u32_e64 v4, null, s13, v10, s2
	global_load_b64 v[5:6], v[3:4], off
.LBB119_6:                              ;   in Loop: Header=BB119_4 Depth=1
	s_wait_alu 0xfffe
	s_or_b32 exec_lo, exec_lo, s3
	v_add_co_u32 v3, s2, v21, s22
	s_wait_alu 0xf1ff
	v_add_co_ci_u32_e64 v4, null, s23, v24, s2
	s_delay_alu instid0(VALU_DEP_1)
	v_cmp_gt_u64_e64 s2, s[20:21], v[3:4]
	s_and_saveexec_b32 s4, s2
	s_cbranch_execz .LBB119_8
; %bb.7:                                ;   in Loop: Header=BB119_4 Depth=1
	v_add_co_u32 v1, s3, v27, s12
	s_wait_alu 0xf1ff
	v_add_co_ci_u32_e64 v2, null, s13, v28, s3
	global_load_b64 v[1:2], v[1:2], off
.LBB119_8:                              ;   in Loop: Header=BB119_4 Depth=1
	s_wait_alu 0xfffe
	s_or_b32 exec_lo, exec_lo, s4
	v_add_co_u32 v7, s3, v25, s22
	s_wait_alu 0xf1ff
	v_add_co_ci_u32_e64 v8, null, s23, v26, s3
	v_mov_b32_e32 v3, 0
	v_mov_b32_e32 v4, 0
	s_delay_alu instid0(VALU_DEP_3)
	v_cmp_gt_u64_e64 s3, s[20:21], v[7:8]
	v_mov_b32_e32 v7, 0
	v_mov_b32_e32 v8, 0
	s_and_saveexec_b32 s5, s3
	s_cbranch_execz .LBB119_10
; %bb.9:                                ;   in Loop: Header=BB119_4 Depth=1
	v_add_co_u32 v7, s4, v19, s12
	s_wait_alu 0xf1ff
	v_add_co_ci_u32_e64 v8, null, s13, v20, s4
	global_load_b64 v[7:8], v[7:8], off
.LBB119_10:                             ;   in Loop: Header=BB119_4 Depth=1
	s_wait_alu 0xfffe
	s_or_b32 exec_lo, exec_lo, s5
	v_add_co_u32 v31, s4, v17, s22
	s_wait_alu 0xf1ff
	v_add_co_ci_u32_e64 v32, null, s23, v18, s4
	s_delay_alu instid0(VALU_DEP_1)
	v_cmp_gt_u64_e64 s4, s[20:21], v[31:32]
	s_and_saveexec_b32 s25, s4
	s_cbranch_execnz .LBB119_15
; %bb.11:                               ;   in Loop: Header=BB119_4 Depth=1
	s_wait_alu 0xfffe
	s_or_b32 exec_lo, exec_lo, s25
	s_and_saveexec_b32 s5, vcc_lo
	s_cbranch_execnz .LBB119_16
.LBB119_12:                             ;   in Loop: Header=BB119_4 Depth=1
	s_wait_alu 0xfffe
	s_or_b32 exec_lo, exec_lo, s5
	s_and_saveexec_b32 s5, s2
	s_cbranch_execnz .LBB119_17
.LBB119_13:                             ;   in Loop: Header=BB119_4 Depth=1
	s_wait_alu 0xfffe
	s_or_b32 exec_lo, exec_lo, s5
	s_and_saveexec_b32 s2, s3
	s_cbranch_execnz .LBB119_18
.LBB119_14:                             ;   in Loop: Header=BB119_4 Depth=1
	s_wait_alu 0xfffe
	s_or_b32 exec_lo, exec_lo, s2
	s_and_saveexec_b32 s2, s4
	s_cbranch_execz .LBB119_3
	s_branch .LBB119_19
.LBB119_15:                             ;   in Loop: Header=BB119_4 Depth=1
	v_add_co_u32 v3, s5, v13, s12
	s_wait_alu 0xf1ff
	v_add_co_ci_u32_e64 v4, null, s13, v14, s5
	global_load_b64 v[3:4], v[3:4], off
	s_wait_alu 0xfffe
	s_or_b32 exec_lo, exec_lo, s25
	s_and_saveexec_b32 s5, vcc_lo
	s_cbranch_execz .LBB119_12
.LBB119_16:                             ;   in Loop: Header=BB119_4 Depth=1
	s_wait_loadcnt 0x0
	v_cmp_gt_i64_e32 vcc_lo, s[10:11], v[5:6]
	s_wait_alu 0xfffd
	v_cndmask_b32_e32 v6, s11, v6, vcc_lo
	v_cndmask_b32_e32 v5, s10, v5, vcc_lo
	v_add_co_u32 v31, vcc_lo, v11, s12
	s_wait_alu 0xfffd
	v_add_co_ci_u32_e64 v32, null, s13, v12, vcc_lo
	global_store_b64 v[31:32], v[5:6], off
	s_wait_alu 0xfffe
	s_or_b32 exec_lo, exec_lo, s5
	s_and_saveexec_b32 s5, s2
	s_cbranch_execz .LBB119_13
.LBB119_17:                             ;   in Loop: Header=BB119_4 Depth=1
	s_wait_loadcnt 0x0
	v_cmp_gt_i64_e32 vcc_lo, s[10:11], v[1:2]
	s_wait_alu 0xfffd
	v_cndmask_b32_e32 v2, s11, v2, vcc_lo
	v_cndmask_b32_e32 v1, s10, v1, vcc_lo
	v_add_co_u32 v5, vcc_lo, v29, s12
	s_wait_alu 0xfffd
	v_add_co_ci_u32_e64 v6, null, s13, v30, vcc_lo
	global_store_b64 v[5:6], v[1:2], off
	s_wait_alu 0xfffe
	s_or_b32 exec_lo, exec_lo, s5
	s_and_saveexec_b32 s2, s3
	s_cbranch_execz .LBB119_14
.LBB119_18:                             ;   in Loop: Header=BB119_4 Depth=1
	s_wait_loadcnt 0x0
	v_cmp_gt_i64_e32 vcc_lo, s[10:11], v[7:8]
	s_wait_alu 0xfffd
	v_cndmask_b32_e32 v2, s11, v8, vcc_lo
	v_cndmask_b32_e32 v1, s10, v7, vcc_lo
	v_add_co_u32 v5, vcc_lo, v22, s12
	s_wait_alu 0xfffd
	v_add_co_ci_u32_e64 v6, null, s13, v23, vcc_lo
	global_store_b64 v[5:6], v[1:2], off
	s_wait_alu 0xfffe
	s_or_b32 exec_lo, exec_lo, s2
	s_and_saveexec_b32 s2, s4
	s_cbranch_execz .LBB119_3
.LBB119_19:                             ;   in Loop: Header=BB119_4 Depth=1
	s_wait_loadcnt 0x0
	v_cmp_gt_i64_e32 vcc_lo, s[10:11], v[3:4]
	s_wait_alu 0xfffd
	v_cndmask_b32_e32 v2, s11, v4, vcc_lo
	v_cndmask_b32_e32 v1, s10, v3, vcc_lo
	v_add_co_u32 v3, vcc_lo, v15, s12
	s_wait_alu 0xfffd
	v_add_co_ci_u32_e64 v4, null, s13, v16, vcc_lo
	global_store_b64 v[3:4], v[1:2], off
	s_branch .LBB119_3
.LBB119_20:
	s_mov_b32 s2, 0
.LBB119_21:
	s_wait_alu 0xfffe
	s_and_not1_b32 vcc_lo, exec_lo, s2
	s_wait_alu 0xfffe
	s_cbranch_vccnz .LBB119_25
; %bb.22:
	v_cmp_gt_i64_e64 s2, 0x10000, s[14:15]
	s_wait_loadcnt 0x0
	v_dual_mov_b32 v2, 0 :: v_dual_lshlrev_b32 v1, 2, v0
	s_mov_b32 s5, 0
	s_and_b32 s2, s2, exec_lo
	s_cselect_b32 s15, s15, 0
	s_cselect_b32 s14, s14, 0x10000
	s_mov_b32 s2, exec_lo
	s_wait_alu 0xfffe
	v_cmpx_gt_i64_e64 s[14:15], v[1:2]
	s_cbranch_execz .LBB119_25
; %bb.23:
	s_load_b32 s0, s[0:1], 0xc64
	v_lshlrev_b32_e32 v3, 5, v0
	v_mov_b32_e32 v1, v2
	s_delay_alu instid0(VALU_DEP_2) | instskip(NEXT) | instid1(VALU_DEP_1)
	v_add_co_u32 v2, s1, s12, v3
	v_add_co_ci_u32_e64 v3, null, s13, 0, s1
	s_wait_kmcnt 0x0
	s_and_b32 s12, s0, 0xffff
	s_wait_alu 0xfffe
	s_lshl_b32 s13, s12, 5
.LBB119_24:                             ; =>This Inner Loop Header: Depth=1
	v_add_co_u32 v8, vcc_lo, s6, v2
	s_wait_alu 0xfffd
	v_add_co_ci_u32_e64 v9, null, s7, v3, vcc_lo
	v_add_co_u32 v0, vcc_lo, v0, s12
	s_wait_alu 0xfffd
	v_add_co_ci_u32_e64 v1, null, 0, v1, vcc_lo
	s_clause 0x1
	global_load_b128 v[4:7], v[8:9], off
	global_load_b128 v[8:11], v[8:9], off offset:16
	v_add_co_u32 v12, vcc_lo, s8, v2
	v_lshlrev_b64_e32 v[14:15], 2, v[0:1]
	s_wait_alu 0xfffd
	v_add_co_ci_u32_e64 v13, null, s9, v3, vcc_lo
	s_wait_alu 0xfffe
	v_add_co_u32 v2, vcc_lo, v2, s13
	s_wait_alu 0xfffd
	v_add_co_ci_u32_e64 v3, null, 0, v3, vcc_lo
	v_cmp_le_i64_e64 s0, s[14:15], v[14:15]
	s_or_b32 s5, s0, s5
	s_wait_loadcnt 0x1
	v_cmp_gt_i64_e64 s1, s[10:11], v[4:5]
	v_cmp_gt_i64_e64 s2, s[10:11], v[6:7]
	s_wait_loadcnt 0x0
	v_cmp_gt_i64_e64 s3, s[10:11], v[8:9]
	v_cmp_gt_i64_e64 s4, s[10:11], v[10:11]
	s_wait_alu 0xf1ff
	v_cndmask_b32_e64 v5, s11, v5, s1
	v_cndmask_b32_e64 v7, s11, v7, s2
	;; [unrolled: 1-line block ×8, first 2 shown]
	s_clause 0x1
	global_store_b128 v[12:13], v[4:7], off
	global_store_b128 v[12:13], v[8:11], off offset:16
	s_wait_alu 0xfffe
	s_and_not1_b32 exec_lo, exec_lo, s5
	s_cbranch_execnz .LBB119_24
.LBB119_25:
	s_endpgm
	.section	.rodata,"a",@progbits
	.p2align	6, 0x0
	.amdhsa_kernel _ZN2at6native12_GLOBAL__N_125multi_tensor_apply_kernelINS1_18TensorListMetadataILi2EEENS1_21BinaryOpScalarFunctorIlLi2ELi1ELi1EEEJNS0_7minimumIlEElEEEvT_T0_DpT1_
		.amdhsa_group_segment_fixed_size 0
		.amdhsa_private_segment_fixed_size 0
		.amdhsa_kernarg_size 3416
		.amdhsa_user_sgpr_count 2
		.amdhsa_user_sgpr_dispatch_ptr 0
		.amdhsa_user_sgpr_queue_ptr 0
		.amdhsa_user_sgpr_kernarg_segment_ptr 1
		.amdhsa_user_sgpr_dispatch_id 0
		.amdhsa_user_sgpr_private_segment_size 0
		.amdhsa_wavefront_size32 1
		.amdhsa_uses_dynamic_stack 0
		.amdhsa_enable_private_segment 0
		.amdhsa_system_sgpr_workgroup_id_x 1
		.amdhsa_system_sgpr_workgroup_id_y 0
		.amdhsa_system_sgpr_workgroup_id_z 0
		.amdhsa_system_sgpr_workgroup_info 0
		.amdhsa_system_vgpr_workitem_id 0
		.amdhsa_next_free_vgpr 33
		.amdhsa_next_free_sgpr 26
		.amdhsa_reserve_vcc 1
		.amdhsa_float_round_mode_32 0
		.amdhsa_float_round_mode_16_64 0
		.amdhsa_float_denorm_mode_32 3
		.amdhsa_float_denorm_mode_16_64 3
		.amdhsa_fp16_overflow 0
		.amdhsa_workgroup_processor_mode 1
		.amdhsa_memory_ordered 1
		.amdhsa_forward_progress 1
		.amdhsa_inst_pref_size 15
		.amdhsa_round_robin_scheduling 0
		.amdhsa_exception_fp_ieee_invalid_op 0
		.amdhsa_exception_fp_denorm_src 0
		.amdhsa_exception_fp_ieee_div_zero 0
		.amdhsa_exception_fp_ieee_overflow 0
		.amdhsa_exception_fp_ieee_underflow 0
		.amdhsa_exception_fp_ieee_inexact 0
		.amdhsa_exception_int_div_zero 0
	.end_amdhsa_kernel
	.section	.text._ZN2at6native12_GLOBAL__N_125multi_tensor_apply_kernelINS1_18TensorListMetadataILi2EEENS1_21BinaryOpScalarFunctorIlLi2ELi1ELi1EEEJNS0_7minimumIlEElEEEvT_T0_DpT1_,"axG",@progbits,_ZN2at6native12_GLOBAL__N_125multi_tensor_apply_kernelINS1_18TensorListMetadataILi2EEENS1_21BinaryOpScalarFunctorIlLi2ELi1ELi1EEEJNS0_7minimumIlEElEEEvT_T0_DpT1_,comdat
.Lfunc_end119:
	.size	_ZN2at6native12_GLOBAL__N_125multi_tensor_apply_kernelINS1_18TensorListMetadataILi2EEENS1_21BinaryOpScalarFunctorIlLi2ELi1ELi1EEEJNS0_7minimumIlEElEEEvT_T0_DpT1_, .Lfunc_end119-_ZN2at6native12_GLOBAL__N_125multi_tensor_apply_kernelINS1_18TensorListMetadataILi2EEENS1_21BinaryOpScalarFunctorIlLi2ELi1ELi1EEEJNS0_7minimumIlEElEEEvT_T0_DpT1_
                                        ; -- End function
	.set _ZN2at6native12_GLOBAL__N_125multi_tensor_apply_kernelINS1_18TensorListMetadataILi2EEENS1_21BinaryOpScalarFunctorIlLi2ELi1ELi1EEEJNS0_7minimumIlEElEEEvT_T0_DpT1_.num_vgpr, 33
	.set _ZN2at6native12_GLOBAL__N_125multi_tensor_apply_kernelINS1_18TensorListMetadataILi2EEENS1_21BinaryOpScalarFunctorIlLi2ELi1ELi1EEEJNS0_7minimumIlEElEEEvT_T0_DpT1_.num_agpr, 0
	.set _ZN2at6native12_GLOBAL__N_125multi_tensor_apply_kernelINS1_18TensorListMetadataILi2EEENS1_21BinaryOpScalarFunctorIlLi2ELi1ELi1EEEJNS0_7minimumIlEElEEEvT_T0_DpT1_.numbered_sgpr, 26
	.set _ZN2at6native12_GLOBAL__N_125multi_tensor_apply_kernelINS1_18TensorListMetadataILi2EEENS1_21BinaryOpScalarFunctorIlLi2ELi1ELi1EEEJNS0_7minimumIlEElEEEvT_T0_DpT1_.num_named_barrier, 0
	.set _ZN2at6native12_GLOBAL__N_125multi_tensor_apply_kernelINS1_18TensorListMetadataILi2EEENS1_21BinaryOpScalarFunctorIlLi2ELi1ELi1EEEJNS0_7minimumIlEElEEEvT_T0_DpT1_.private_seg_size, 0
	.set _ZN2at6native12_GLOBAL__N_125multi_tensor_apply_kernelINS1_18TensorListMetadataILi2EEENS1_21BinaryOpScalarFunctorIlLi2ELi1ELi1EEEJNS0_7minimumIlEElEEEvT_T0_DpT1_.uses_vcc, 1
	.set _ZN2at6native12_GLOBAL__N_125multi_tensor_apply_kernelINS1_18TensorListMetadataILi2EEENS1_21BinaryOpScalarFunctorIlLi2ELi1ELi1EEEJNS0_7minimumIlEElEEEvT_T0_DpT1_.uses_flat_scratch, 0
	.set _ZN2at6native12_GLOBAL__N_125multi_tensor_apply_kernelINS1_18TensorListMetadataILi2EEENS1_21BinaryOpScalarFunctorIlLi2ELi1ELi1EEEJNS0_7minimumIlEElEEEvT_T0_DpT1_.has_dyn_sized_stack, 0
	.set _ZN2at6native12_GLOBAL__N_125multi_tensor_apply_kernelINS1_18TensorListMetadataILi2EEENS1_21BinaryOpScalarFunctorIlLi2ELi1ELi1EEEJNS0_7minimumIlEElEEEvT_T0_DpT1_.has_recursion, 0
	.set _ZN2at6native12_GLOBAL__N_125multi_tensor_apply_kernelINS1_18TensorListMetadataILi2EEENS1_21BinaryOpScalarFunctorIlLi2ELi1ELi1EEEJNS0_7minimumIlEElEEEvT_T0_DpT1_.has_indirect_call, 0
	.section	.AMDGPU.csdata,"",@progbits
; Kernel info:
; codeLenInByte = 1836
; TotalNumSgprs: 28
; NumVgprs: 33
; ScratchSize: 0
; MemoryBound: 0
; FloatMode: 240
; IeeeMode: 1
; LDSByteSize: 0 bytes/workgroup (compile time only)
; SGPRBlocks: 0
; VGPRBlocks: 4
; NumSGPRsForWavesPerEU: 28
; NumVGPRsForWavesPerEU: 33
; Occupancy: 16
; WaveLimiterHint : 0
; COMPUTE_PGM_RSRC2:SCRATCH_EN: 0
; COMPUTE_PGM_RSRC2:USER_SGPR: 2
; COMPUTE_PGM_RSRC2:TRAP_HANDLER: 0
; COMPUTE_PGM_RSRC2:TGID_X_EN: 1
; COMPUTE_PGM_RSRC2:TGID_Y_EN: 0
; COMPUTE_PGM_RSRC2:TGID_Z_EN: 0
; COMPUTE_PGM_RSRC2:TIDIG_COMP_CNT: 0
	.section	.text._ZN2at6native12_GLOBAL__N_125multi_tensor_apply_kernelINS1_18TensorListMetadataILi2EEENS1_21BinaryOpScalarFunctorIsLi2ELi1ELi1EEEJNS0_7minimumIsEEsEEEvT_T0_DpT1_,"axG",@progbits,_ZN2at6native12_GLOBAL__N_125multi_tensor_apply_kernelINS1_18TensorListMetadataILi2EEENS1_21BinaryOpScalarFunctorIsLi2ELi1ELi1EEEJNS0_7minimumIsEEsEEEvT_T0_DpT1_,comdat
	.globl	_ZN2at6native12_GLOBAL__N_125multi_tensor_apply_kernelINS1_18TensorListMetadataILi2EEENS1_21BinaryOpScalarFunctorIsLi2ELi1ELi1EEEJNS0_7minimumIsEEsEEEvT_T0_DpT1_ ; -- Begin function _ZN2at6native12_GLOBAL__N_125multi_tensor_apply_kernelINS1_18TensorListMetadataILi2EEENS1_21BinaryOpScalarFunctorIsLi2ELi1ELi1EEEJNS0_7minimumIsEEsEEEvT_T0_DpT1_
	.p2align	8
	.type	_ZN2at6native12_GLOBAL__N_125multi_tensor_apply_kernelINS1_18TensorListMetadataILi2EEENS1_21BinaryOpScalarFunctorIsLi2ELi1ELi1EEEJNS0_7minimumIsEEsEEEvT_T0_DpT1_,@function
_ZN2at6native12_GLOBAL__N_125multi_tensor_apply_kernelINS1_18TensorListMetadataILi2EEENS1_21BinaryOpScalarFunctorIsLi2ELi1ELi1EEEJNS0_7minimumIsEEsEEEvT_T0_DpT1_: ; @_ZN2at6native12_GLOBAL__N_125multi_tensor_apply_kernelINS1_18TensorListMetadataILi2EEENS1_21BinaryOpScalarFunctorIsLi2ELi1ELi1EEEJNS0_7minimumIsEEsEEEvT_T0_DpT1_
; %bb.0:
	s_load_u8 s8, s[0:1], ttmp9 offset:0x600
	s_mov_b32 s2, ttmp9
	s_mov_b32 s3, 0
	s_delay_alu instid0(SALU_CYCLE_1)
	s_mul_u64 s[4:5], s[2:3], 3
	s_add_nc_u64 s[6:7], s[0:1], s[2:3]
	s_mov_b32 s15, s3
	s_add_nc_u64 s[4:5], s[6:7], s[4:5]
	s_mov_b32 s17, s3
	s_load_b32 s4, s[4:5], 0x740
	s_wait_kmcnt 0x0
	s_lshl_b32 s2, s8, 3
	s_clause 0x3
	s_load_b32 s14, s[0:1], 0xc48
	s_load_b64 s[6:7], s[0:1], s2 offset:0x0
	s_load_b64 s[8:9], s[0:1], s2 offset:0x200
	;; [unrolled: 1-line block ×3, first 2 shown]
	s_ashr_i32 s5, s4, 31
	s_delay_alu instid0(SALU_CYCLE_1)
	s_lshl_b64 s[10:11], s[4:5], 17
	s_lshl_b64 s[4:5], s[4:5], 16
	s_wait_kmcnt 0x0
	s_lshr_b32 s22, s14, 16
	s_add_nc_u64 s[18:19], s[6:7], s[10:11]
	s_and_b32 s14, s8, 7
	s_and_b32 s16, s12, 3
	;; [unrolled: 1-line block ×3, first 2 shown]
	s_or_b64 s[14:15], s[14:15], s[16:17]
	s_sub_nc_u64 s[12:13], s[12:13], s[4:5]
	s_or_b64 s[2:3], s[14:15], s[2:3]
	s_delay_alu instid0(SALU_CYCLE_1)
	s_cmp_eq_u64 s[2:3], 0
	s_mov_b32 s2, -1
	s_cbranch_scc1 .LBB120_21
; %bb.1:
	v_cmp_lt_i64_e64 s2, s[12:13], 1
	s_and_b32 vcc_lo, exec_lo, s2
	s_cbranch_vccnz .LBB120_20
; %bb.2:
	s_load_b32 s2, s[0:1], 0xc5c
	v_cmp_gt_i64_e64 s3, 0x10000, s[12:13]
	v_dual_mov_b32 v10, 0 :: v_dual_lshlrev_b32 v9, 1, v0
	v_cmp_gt_u64_e64 s4, 0x10000, s[12:13]
	s_mov_b32 s19, 0
	s_mov_b64 s[20:21], 0
	s_and_b32 s3, s3, exec_lo
	v_add_co_u32 v1, s5, s6, v9
	s_cselect_b32 s15, s13, 0
	s_cselect_b32 s14, s12, 0x10000
	v_add_co_ci_u32_e64 v2, null, s7, 0, s5
	v_add_co_u32 v3, s5, s8, v9
	s_wait_alu 0xf1ff
	v_add_co_ci_u32_e64 v4, null, s9, 0, s5
	s_wait_kmcnt 0x0
	s_and_b32 s2, s2, 0xffff
	s_and_b32 s3, s4, exec_lo
	s_cselect_b32 s17, s13, 0
	s_cselect_b32 s16, s12, 0x10000
	s_mul_i32 s4, s2, 3
	s_lshl_b32 s18, s2, 2
	v_mad_co_u64_u32 v[7:8], null, s2, 6, v[9:10]
	v_add_co_u32 v14, s5, s18, v9
	s_wait_alu 0xfffe
	v_add_co_u32 v9, s4, s4, v0
	s_wait_alu 0xf1ff
	v_add_co_ci_u32_e64 v10, null, 0, 0, s4
	v_add_co_u32 v13, s4, v0, s2
	s_lshl_b32 s3, s2, 1
	v_add_co_u32 v5, vcc_lo, s6, v7
	v_lshlrev_b32_e32 v21, 1, v13
	v_add_co_ci_u32_e64 v15, null, 0, 0, s5
	v_add_co_ci_u32_e64 v6, null, s7, v8, vcc_lo
	v_add_co_u32 v7, vcc_lo, s8, v7
	s_wait_alu 0xfffe
	v_add_co_u32 v17, s3, s3, v0
	s_wait_alu 0xfffd
	v_add_co_ci_u32_e64 v8, null, s9, v8, vcc_lo
	v_add_co_u32 v11, vcc_lo, s6, v14
	s_wait_alu 0xf1ff
	v_add_co_ci_u32_e64 v18, null, 0, 0, s3
	v_add_co_u32 v19, s3, s6, v21
	s_wait_alu 0xfffd
	v_add_co_ci_u32_e64 v12, null, s7, v15, vcc_lo
	v_add_co_u32 v14, vcc_lo, s8, v14
	s_wait_alu 0xf1ff
	v_add_co_ci_u32_e64 v20, null, s7, 0, s3
	v_add_co_u32 v21, s3, s8, v21
	s_wait_alu 0xfffd
	v_add_co_ci_u32_e64 v15, null, s9, v15, vcc_lo
	v_add_co_ci_u32_e64 v16, null, 0, 0, s4
	s_wait_alu 0xf1ff
	v_add_co_ci_u32_e64 v22, null, s9, 0, s3
	s_lshl_b32 s23, s2, 3
	s_branch .LBB120_4
.LBB120_3:                              ;   in Loop: Header=BB120_4 Depth=1
	s_wait_alu 0xfffe
	s_or_b32 exec_lo, exec_lo, s2
	v_add_co_u32 v1, vcc_lo, v1, s23
	s_wait_alu 0xfffd
	v_add_co_ci_u32_e64 v2, null, 0, v2, vcc_lo
	v_add_co_u32 v3, vcc_lo, v3, s23
	s_wait_alu 0xfffd
	v_add_co_ci_u32_e64 v4, null, 0, v4, vcc_lo
	;; [unrolled: 3-line block ×5, first 2 shown]
	v_add_co_u32 v14, vcc_lo, v14, s23
	s_add_nc_u64 s[20:21], s[20:21], s[18:19]
	s_wait_alu 0xfffd
	v_add_co_ci_u32_e64 v15, null, 0, v15, vcc_lo
	v_add_co_u32 v19, vcc_lo, v19, s23
	s_wait_alu 0xfffe
	v_cmp_lt_i64_e64 s2, s[20:21], s[14:15]
	s_wait_alu 0xfffd
	v_add_co_ci_u32_e64 v20, null, 0, v20, vcc_lo
	v_add_co_u32 v21, vcc_lo, v21, s23
	s_wait_alu 0xfffd
	v_add_co_ci_u32_e64 v22, null, 0, v22, vcc_lo
	s_and_b32 vcc_lo, exec_lo, s2
	s_wait_alu 0xfffe
	s_cbranch_vccz .LBB120_20
.LBB120_4:                              ; =>This Inner Loop Header: Depth=1
	s_wait_loadcnt 0x0
	v_add_co_u32 v23, s2, v0, s20
	s_wait_alu 0xf1ff
	v_add_co_ci_u32_e64 v24, null, 0, s21, s2
	s_delay_alu instid0(VALU_DEP_1)
	v_cmp_gt_u64_e32 vcc_lo, s[16:17], v[23:24]
	v_mov_b32_e32 v24, 0
	s_and_saveexec_b32 s3, vcc_lo
	s_cbranch_execz .LBB120_6
; %bb.5:                                ;   in Loop: Header=BB120_4 Depth=1
	v_add_co_u32 v23, s2, v1, s10
	s_wait_alu 0xf1ff
	v_add_co_ci_u32_e64 v24, null, s11, v2, s2
	global_load_u16 v24, v[23:24], off
.LBB120_6:                              ;   in Loop: Header=BB120_4 Depth=1
	s_wait_alu 0xfffe
	s_or_b32 exec_lo, exec_lo, s3
	v_add_co_u32 v25, s2, v13, s20
	s_wait_alu 0xf1ff
	v_add_co_ci_u32_e64 v26, null, s21, v16, s2
	v_mov_b32_e32 v23, 0
	s_delay_alu instid0(VALU_DEP_2)
	v_cmp_gt_u64_e64 s2, s[16:17], v[25:26]
	v_mov_b32_e32 v25, 0
	s_and_saveexec_b32 s4, s2
	s_cbranch_execz .LBB120_8
; %bb.7:                                ;   in Loop: Header=BB120_4 Depth=1
	v_add_co_u32 v25, s3, v19, s10
	s_wait_alu 0xf1ff
	v_add_co_ci_u32_e64 v26, null, s11, v20, s3
	global_load_u16 v25, v[25:26], off
.LBB120_8:                              ;   in Loop: Header=BB120_4 Depth=1
	s_wait_alu 0xfffe
	s_or_b32 exec_lo, exec_lo, s4
	v_add_co_u32 v26, s3, v17, s20
	s_wait_alu 0xf1ff
	v_add_co_ci_u32_e64 v27, null, s21, v18, s3
	s_delay_alu instid0(VALU_DEP_1)
	v_cmp_gt_u64_e64 s3, s[16:17], v[26:27]
	s_and_saveexec_b32 s5, s3
	s_cbranch_execz .LBB120_10
; %bb.9:                                ;   in Loop: Header=BB120_4 Depth=1
	v_add_co_u32 v26, s4, v11, s10
	s_wait_alu 0xf1ff
	v_add_co_ci_u32_e64 v27, null, s11, v12, s4
	global_load_u16 v23, v[26:27], off
.LBB120_10:                             ;   in Loop: Header=BB120_4 Depth=1
	s_wait_alu 0xfffe
	s_or_b32 exec_lo, exec_lo, s5
	v_add_co_u32 v26, s4, v9, s20
	s_wait_alu 0xf1ff
	v_add_co_ci_u32_e64 v27, null, s21, v10, s4
	s_delay_alu instid0(VALU_DEP_1)
	v_cmp_gt_u64_e64 s4, s[16:17], v[26:27]
	v_mov_b32_e32 v26, 0
	s_and_saveexec_b32 s24, s4
	s_cbranch_execnz .LBB120_15
; %bb.11:                               ;   in Loop: Header=BB120_4 Depth=1
	s_or_b32 exec_lo, exec_lo, s24
	s_and_saveexec_b32 s5, vcc_lo
	s_cbranch_execnz .LBB120_16
.LBB120_12:                             ;   in Loop: Header=BB120_4 Depth=1
	s_wait_alu 0xfffe
	s_or_b32 exec_lo, exec_lo, s5
	s_and_saveexec_b32 s5, s2
	s_cbranch_execnz .LBB120_17
.LBB120_13:                             ;   in Loop: Header=BB120_4 Depth=1
	s_wait_alu 0xfffe
	s_or_b32 exec_lo, exec_lo, s5
	s_and_saveexec_b32 s2, s3
	s_cbranch_execnz .LBB120_18
.LBB120_14:                             ;   in Loop: Header=BB120_4 Depth=1
	s_wait_alu 0xfffe
	s_or_b32 exec_lo, exec_lo, s2
	s_and_saveexec_b32 s2, s4
	s_cbranch_execz .LBB120_3
	s_branch .LBB120_19
.LBB120_15:                             ;   in Loop: Header=BB120_4 Depth=1
	v_add_co_u32 v26, s5, v5, s10
	s_wait_alu 0xf1ff
	v_add_co_ci_u32_e64 v27, null, s11, v6, s5
	global_load_u16 v26, v[26:27], off
	s_or_b32 exec_lo, exec_lo, s24
	s_and_saveexec_b32 s5, vcc_lo
	s_cbranch_execz .LBB120_12
.LBB120_16:                             ;   in Loop: Header=BB120_4 Depth=1
	v_add_co_u32 v27, vcc_lo, v3, s10
	s_wait_loadcnt 0x0
	v_min_i16 v24, v24, s22
	s_wait_alu 0xfffd
	v_add_co_ci_u32_e64 v28, null, s11, v4, vcc_lo
	global_store_b16 v[27:28], v24, off
	s_wait_alu 0xfffe
	s_or_b32 exec_lo, exec_lo, s5
	s_and_saveexec_b32 s5, s2
	s_cbranch_execz .LBB120_13
.LBB120_17:                             ;   in Loop: Header=BB120_4 Depth=1
	s_wait_loadcnt 0x0
	v_add_co_u32 v24, vcc_lo, v21, s10
	v_min_i16 v27, v25, s22
	s_wait_alu 0xfffd
	v_add_co_ci_u32_e64 v25, null, s11, v22, vcc_lo
	global_store_b16 v[24:25], v27, off
	s_wait_alu 0xfffe
	s_or_b32 exec_lo, exec_lo, s5
	s_and_saveexec_b32 s2, s3
	s_cbranch_execz .LBB120_14
.LBB120_18:                             ;   in Loop: Header=BB120_4 Depth=1
	s_wait_loadcnt 0x0
	v_min_i16 v25, v23, s22
	v_add_co_u32 v23, vcc_lo, v14, s10
	s_wait_alu 0xfffd
	v_add_co_ci_u32_e64 v24, null, s11, v15, vcc_lo
	global_store_b16 v[23:24], v25, off
	s_wait_alu 0xfffe
	s_or_b32 exec_lo, exec_lo, s2
	s_and_saveexec_b32 s2, s4
	s_cbranch_execz .LBB120_3
.LBB120_19:                             ;   in Loop: Header=BB120_4 Depth=1
	s_wait_loadcnt 0x0
	v_add_co_u32 v23, vcc_lo, v7, s10
	v_min_i16 v25, v26, s22
	s_wait_alu 0xfffd
	v_add_co_ci_u32_e64 v24, null, s11, v8, vcc_lo
	global_store_b16 v[23:24], v25, off
	s_branch .LBB120_3
.LBB120_20:
	s_mov_b32 s2, 0
.LBB120_21:
	s_wait_alu 0xfffe
	s_and_not1_b32 vcc_lo, exec_lo, s2
	s_wait_alu 0xfffe
	s_cbranch_vccnz .LBB120_25
; %bb.22:
	v_cmp_gt_i64_e64 s2, 0x10000, s[12:13]
	v_dual_mov_b32 v2, 0 :: v_dual_lshlrev_b32 v1, 2, v0
	s_mov_b32 s4, 0
	s_mov_b32 s5, exec_lo
	s_and_b32 s2, s2, exec_lo
	s_cselect_b32 s3, s13, 0
	s_cselect_b32 s2, s12, 0x10000
	s_wait_alu 0xfffe
	v_cmpx_gt_i64_e64 s[2:3], v[1:2]
	s_cbranch_execz .LBB120_25
; %bb.23:
	s_load_b32 s0, s[0:1], 0xc5c
	v_lshlrev_b32_e32 v3, 3, v0
	v_mov_b32_e32 v1, v2
	s_pack_ll_b32_b16 s5, s22, s22
	s_delay_alu instid0(VALU_DEP_2) | instskip(NEXT) | instid1(VALU_DEP_1)
	v_add_co_u32 v2, s1, s10, v3
	v_add_co_ci_u32_e64 v3, null, s11, 0, s1
	s_wait_kmcnt 0x0
	s_and_b32 s1, s0, 0xffff
	s_wait_alu 0xfffe
	s_lshl_b32 s10, s1, 3
.LBB120_24:                             ; =>This Inner Loop Header: Depth=1
	v_add_co_u32 v4, vcc_lo, s6, v2
	s_wait_alu 0xfffd
	v_add_co_ci_u32_e64 v5, null, s7, v3, vcc_lo
	v_add_co_u32 v0, vcc_lo, v0, s1
	s_wait_alu 0xfffd
	v_add_co_ci_u32_e64 v1, null, 0, v1, vcc_lo
	global_load_b64 v[4:5], v[4:5], off
	v_add_co_u32 v6, vcc_lo, s8, v2
	v_lshlrev_b64_e32 v[8:9], 2, v[0:1]
	s_wait_alu 0xfffd
	v_add_co_ci_u32_e64 v7, null, s9, v3, vcc_lo
	s_wait_alu 0xfffe
	v_add_co_u32 v2, vcc_lo, v2, s10
	s_wait_alu 0xfffd
	v_add_co_ci_u32_e64 v3, null, 0, v3, vcc_lo
	v_cmp_le_i64_e64 s0, s[2:3], v[8:9]
	s_or_b32 s4, s0, s4
	s_wait_loadcnt 0x0
	v_bfi_b32 v4, 0xffff, v4, v4
	v_pk_min_i16 v5, v5, s5
	s_delay_alu instid0(VALU_DEP_2)
	v_pk_min_i16 v4, v4, s5
	global_store_b64 v[6:7], v[4:5], off
	s_wait_alu 0xfffe
	s_and_not1_b32 exec_lo, exec_lo, s4
	s_cbranch_execnz .LBB120_24
.LBB120_25:
	s_endpgm
	.section	.rodata,"a",@progbits
	.p2align	6, 0x0
	.amdhsa_kernel _ZN2at6native12_GLOBAL__N_125multi_tensor_apply_kernelINS1_18TensorListMetadataILi2EEENS1_21BinaryOpScalarFunctorIsLi2ELi1ELi1EEEJNS0_7minimumIsEEsEEEvT_T0_DpT1_
		.amdhsa_group_segment_fixed_size 0
		.amdhsa_private_segment_fixed_size 0
		.amdhsa_kernarg_size 3408
		.amdhsa_user_sgpr_count 2
		.amdhsa_user_sgpr_dispatch_ptr 0
		.amdhsa_user_sgpr_queue_ptr 0
		.amdhsa_user_sgpr_kernarg_segment_ptr 1
		.amdhsa_user_sgpr_dispatch_id 0
		.amdhsa_user_sgpr_private_segment_size 0
		.amdhsa_wavefront_size32 1
		.amdhsa_uses_dynamic_stack 0
		.amdhsa_enable_private_segment 0
		.amdhsa_system_sgpr_workgroup_id_x 1
		.amdhsa_system_sgpr_workgroup_id_y 0
		.amdhsa_system_sgpr_workgroup_id_z 0
		.amdhsa_system_sgpr_workgroup_info 0
		.amdhsa_system_vgpr_workitem_id 0
		.amdhsa_next_free_vgpr 29
		.amdhsa_next_free_sgpr 25
		.amdhsa_reserve_vcc 1
		.amdhsa_float_round_mode_32 0
		.amdhsa_float_round_mode_16_64 0
		.amdhsa_float_denorm_mode_32 3
		.amdhsa_float_denorm_mode_16_64 3
		.amdhsa_fp16_overflow 0
		.amdhsa_workgroup_processor_mode 1
		.amdhsa_memory_ordered 1
		.amdhsa_forward_progress 1
		.amdhsa_inst_pref_size 14
		.amdhsa_round_robin_scheduling 0
		.amdhsa_exception_fp_ieee_invalid_op 0
		.amdhsa_exception_fp_denorm_src 0
		.amdhsa_exception_fp_ieee_div_zero 0
		.amdhsa_exception_fp_ieee_overflow 0
		.amdhsa_exception_fp_ieee_underflow 0
		.amdhsa_exception_fp_ieee_inexact 0
		.amdhsa_exception_int_div_zero 0
	.end_amdhsa_kernel
	.section	.text._ZN2at6native12_GLOBAL__N_125multi_tensor_apply_kernelINS1_18TensorListMetadataILi2EEENS1_21BinaryOpScalarFunctorIsLi2ELi1ELi1EEEJNS0_7minimumIsEEsEEEvT_T0_DpT1_,"axG",@progbits,_ZN2at6native12_GLOBAL__N_125multi_tensor_apply_kernelINS1_18TensorListMetadataILi2EEENS1_21BinaryOpScalarFunctorIsLi2ELi1ELi1EEEJNS0_7minimumIsEEsEEEvT_T0_DpT1_,comdat
.Lfunc_end120:
	.size	_ZN2at6native12_GLOBAL__N_125multi_tensor_apply_kernelINS1_18TensorListMetadataILi2EEENS1_21BinaryOpScalarFunctorIsLi2ELi1ELi1EEEJNS0_7minimumIsEEsEEEvT_T0_DpT1_, .Lfunc_end120-_ZN2at6native12_GLOBAL__N_125multi_tensor_apply_kernelINS1_18TensorListMetadataILi2EEENS1_21BinaryOpScalarFunctorIsLi2ELi1ELi1EEEJNS0_7minimumIsEEsEEEvT_T0_DpT1_
                                        ; -- End function
	.set _ZN2at6native12_GLOBAL__N_125multi_tensor_apply_kernelINS1_18TensorListMetadataILi2EEENS1_21BinaryOpScalarFunctorIsLi2ELi1ELi1EEEJNS0_7minimumIsEEsEEEvT_T0_DpT1_.num_vgpr, 29
	.set _ZN2at6native12_GLOBAL__N_125multi_tensor_apply_kernelINS1_18TensorListMetadataILi2EEENS1_21BinaryOpScalarFunctorIsLi2ELi1ELi1EEEJNS0_7minimumIsEEsEEEvT_T0_DpT1_.num_agpr, 0
	.set _ZN2at6native12_GLOBAL__N_125multi_tensor_apply_kernelINS1_18TensorListMetadataILi2EEENS1_21BinaryOpScalarFunctorIsLi2ELi1ELi1EEEJNS0_7minimumIsEEsEEEvT_T0_DpT1_.numbered_sgpr, 25
	.set _ZN2at6native12_GLOBAL__N_125multi_tensor_apply_kernelINS1_18TensorListMetadataILi2EEENS1_21BinaryOpScalarFunctorIsLi2ELi1ELi1EEEJNS0_7minimumIsEEsEEEvT_T0_DpT1_.num_named_barrier, 0
	.set _ZN2at6native12_GLOBAL__N_125multi_tensor_apply_kernelINS1_18TensorListMetadataILi2EEENS1_21BinaryOpScalarFunctorIsLi2ELi1ELi1EEEJNS0_7minimumIsEEsEEEvT_T0_DpT1_.private_seg_size, 0
	.set _ZN2at6native12_GLOBAL__N_125multi_tensor_apply_kernelINS1_18TensorListMetadataILi2EEENS1_21BinaryOpScalarFunctorIsLi2ELi1ELi1EEEJNS0_7minimumIsEEsEEEvT_T0_DpT1_.uses_vcc, 1
	.set _ZN2at6native12_GLOBAL__N_125multi_tensor_apply_kernelINS1_18TensorListMetadataILi2EEENS1_21BinaryOpScalarFunctorIsLi2ELi1ELi1EEEJNS0_7minimumIsEEsEEEvT_T0_DpT1_.uses_flat_scratch, 0
	.set _ZN2at6native12_GLOBAL__N_125multi_tensor_apply_kernelINS1_18TensorListMetadataILi2EEENS1_21BinaryOpScalarFunctorIsLi2ELi1ELi1EEEJNS0_7minimumIsEEsEEEvT_T0_DpT1_.has_dyn_sized_stack, 0
	.set _ZN2at6native12_GLOBAL__N_125multi_tensor_apply_kernelINS1_18TensorListMetadataILi2EEENS1_21BinaryOpScalarFunctorIsLi2ELi1ELi1EEEJNS0_7minimumIsEEsEEEvT_T0_DpT1_.has_recursion, 0
	.set _ZN2at6native12_GLOBAL__N_125multi_tensor_apply_kernelINS1_18TensorListMetadataILi2EEENS1_21BinaryOpScalarFunctorIsLi2ELi1ELi1EEEJNS0_7minimumIsEEsEEEvT_T0_DpT1_.has_indirect_call, 0
	.section	.AMDGPU.csdata,"",@progbits
; Kernel info:
; codeLenInByte = 1676
; TotalNumSgprs: 27
; NumVgprs: 29
; ScratchSize: 0
; MemoryBound: 0
; FloatMode: 240
; IeeeMode: 1
; LDSByteSize: 0 bytes/workgroup (compile time only)
; SGPRBlocks: 0
; VGPRBlocks: 3
; NumSGPRsForWavesPerEU: 27
; NumVGPRsForWavesPerEU: 29
; Occupancy: 16
; WaveLimiterHint : 0
; COMPUTE_PGM_RSRC2:SCRATCH_EN: 0
; COMPUTE_PGM_RSRC2:USER_SGPR: 2
; COMPUTE_PGM_RSRC2:TRAP_HANDLER: 0
; COMPUTE_PGM_RSRC2:TGID_X_EN: 1
; COMPUTE_PGM_RSRC2:TGID_Y_EN: 0
; COMPUTE_PGM_RSRC2:TGID_Z_EN: 0
; COMPUTE_PGM_RSRC2:TIDIG_COMP_CNT: 0
	.section	.text._ZN2at6native12_GLOBAL__N_125multi_tensor_apply_kernelINS1_18TensorListMetadataILi2EEENS1_21BinaryOpScalarFunctorIdLi2ELi1ELi1EEEJNS0_7minimumIdEEdEEEvT_T0_DpT1_,"axG",@progbits,_ZN2at6native12_GLOBAL__N_125multi_tensor_apply_kernelINS1_18TensorListMetadataILi2EEENS1_21BinaryOpScalarFunctorIdLi2ELi1ELi1EEEJNS0_7minimumIdEEdEEEvT_T0_DpT1_,comdat
	.globl	_ZN2at6native12_GLOBAL__N_125multi_tensor_apply_kernelINS1_18TensorListMetadataILi2EEENS1_21BinaryOpScalarFunctorIdLi2ELi1ELi1EEEJNS0_7minimumIdEEdEEEvT_T0_DpT1_ ; -- Begin function _ZN2at6native12_GLOBAL__N_125multi_tensor_apply_kernelINS1_18TensorListMetadataILi2EEENS1_21BinaryOpScalarFunctorIdLi2ELi1ELi1EEEJNS0_7minimumIdEEdEEEvT_T0_DpT1_
	.p2align	8
	.type	_ZN2at6native12_GLOBAL__N_125multi_tensor_apply_kernelINS1_18TensorListMetadataILi2EEENS1_21BinaryOpScalarFunctorIdLi2ELi1ELi1EEEJNS0_7minimumIdEEdEEEvT_T0_DpT1_,@function
_ZN2at6native12_GLOBAL__N_125multi_tensor_apply_kernelINS1_18TensorListMetadataILi2EEENS1_21BinaryOpScalarFunctorIdLi2ELi1ELi1EEEJNS0_7minimumIdEEdEEEvT_T0_DpT1_: ; @_ZN2at6native12_GLOBAL__N_125multi_tensor_apply_kernelINS1_18TensorListMetadataILi2EEENS1_21BinaryOpScalarFunctorIdLi2ELi1ELi1EEEJNS0_7minimumIdEEdEEEvT_T0_DpT1_
; %bb.0:
	s_load_u8 s8, s[0:1], ttmp9 offset:0x600
	s_mov_b32 s2, ttmp9
	s_mov_b32 s3, 0
	s_delay_alu instid0(SALU_CYCLE_1)
	s_mul_u64 s[4:5], s[2:3], 3
	s_add_nc_u64 s[6:7], s[0:1], s[2:3]
	s_mov_b32 s17, s3
	s_add_nc_u64 s[4:5], s[6:7], s[4:5]
	s_mov_b32 s19, s3
	s_load_b32 s4, s[4:5], 0x740
	s_wait_kmcnt 0x0
	s_lshl_b32 s2, s8, 3
	s_clause 0x3
	s_load_b64 s[10:11], s[0:1], s2 offset:0x0
	s_load_b64 s[12:13], s[0:1], s2 offset:0x200
	;; [unrolled: 1-line block ×3, first 2 shown]
	s_load_b64 s[14:15], s[0:1], 0xc50
	s_ashr_i32 s5, s4, 31
	s_delay_alu instid0(SALU_CYCLE_1)
	s_lshl_b64 s[6:7], s[4:5], 19
	s_lshl_b64 s[4:5], s[4:5], 16
	s_wait_kmcnt 0x0
	s_add_nc_u64 s[20:21], s[10:11], s[6:7]
	s_and_b32 s16, s12, 31
	s_and_b32 s18, s8, 3
	;; [unrolled: 1-line block ×3, first 2 shown]
	s_or_b64 s[16:17], s[16:17], s[18:19]
	s_sub_nc_u64 s[8:9], s[8:9], s[4:5]
	s_or_b64 s[2:3], s[16:17], s[2:3]
	s_delay_alu instid0(SALU_CYCLE_1)
	s_cmp_eq_u64 s[2:3], 0
	s_mov_b32 s2, -1
	s_cbranch_scc1 .LBB121_21
; %bb.1:
	v_cmp_lt_i64_e64 s2, s[8:9], 1
	s_and_b32 vcc_lo, exec_lo, s2
	s_cbranch_vccnz .LBB121_20
; %bb.2:
	s_load_b32 s2, s[0:1], 0xc64
	v_cmp_gt_i64_e64 s3, 0x10000, s[8:9]
	v_dual_mov_b32 v2, 0 :: v_dual_lshlrev_b32 v1, 3, v0
	v_cmp_gt_u64_e64 s4, 0x10000, s[8:9]
	s_mov_b32 s17, 0
	s_mov_b64 s[22:23], 0
	s_and_b32 s3, s3, exec_lo
	s_cselect_b32 s19, s9, 0
	s_cselect_b32 s18, s8, 0x10000
	v_add_co_u32 v11, s3, s12, v1
	v_add_co_u32 v9, s5, s10, v1
	v_add_co_ci_u32_e64 v12, null, s13, 0, s3
	v_add_co_ci_u32_e64 v10, null, s11, 0, s5
	s_wait_kmcnt 0x0
	s_and_b32 s2, s2, 0xffff
	s_and_b32 s3, s4, exec_lo
	s_wait_alu 0xfffe
	v_mad_co_u64_u32 v[2:3], null, s2, 24, v[1:2]
	s_cselect_b32 s21, s9, 0
	s_cselect_b32 s20, s8, 0x10000
	s_mul_i32 s4, s2, 3
	s_lshl_b32 s5, s2, 4
	s_wait_alu 0xfffe
	v_add_co_u32 v17, s4, s4, v0
	v_add_co_u32 v13, vcc_lo, s10, v2
	v_add_co_u32 v1, s5, s5, v1
	v_add_co_ci_u32_e64 v14, null, s11, v3, vcc_lo
	v_add_co_u32 v15, vcc_lo, s12, v2
	s_wait_alu 0xf1ff
	v_add_co_ci_u32_e64 v2, null, 0, 0, s5
	v_add_co_ci_u32_e64 v18, null, 0, 0, s4
	v_add_co_u32 v21, s4, v0, s2
	s_wait_alu 0xfffd
	v_add_co_ci_u32_e64 v16, null, s13, v3, vcc_lo
	v_add_co_u32 v19, vcc_lo, s10, v1
	s_wait_alu 0xfffd
	v_add_co_ci_u32_e64 v20, null, s11, v2, vcc_lo
	v_add_co_u32 v22, vcc_lo, s12, v1
	v_lshlrev_b32_e32 v1, 3, v21
	s_lshl_b32 s3, s2, 1
	s_wait_alu 0xfffd
	v_add_co_ci_u32_e64 v23, null, s13, v2, vcc_lo
	s_wait_alu 0xfffe
	v_add_co_u32 v25, s3, s3, v0
	s_wait_alu 0xf1ff
	v_add_co_ci_u32_e64 v26, null, 0, 0, s3
	v_add_co_u32 v27, s3, s10, v1
	s_wait_alu 0xf1ff
	v_add_co_ci_u32_e64 v28, null, s11, 0, s3
	v_add_co_u32 v29, s3, s12, v1
	v_add_co_ci_u32_e64 v24, null, 0, 0, s4
	s_wait_alu 0xf1ff
	v_add_co_ci_u32_e64 v30, null, s13, 0, s3
	s_lshl_b32 s16, s2, 2
	s_lshl_b32 s24, s2, 5
	s_branch .LBB121_4
.LBB121_3:                              ;   in Loop: Header=BB121_4 Depth=1
	s_wait_alu 0xfffe
	s_or_b32 exec_lo, exec_lo, s3
	v_add_co_u32 v9, vcc_lo, v9, s24
	s_wait_alu 0xfffd
	v_add_co_ci_u32_e64 v10, null, 0, v10, vcc_lo
	v_add_co_u32 v11, vcc_lo, v11, s24
	s_wait_alu 0xfffd
	v_add_co_ci_u32_e64 v12, null, 0, v12, vcc_lo
	;; [unrolled: 3-line block ×5, first 2 shown]
	v_add_co_u32 v22, vcc_lo, v22, s24
	s_add_nc_u64 s[22:23], s[22:23], s[16:17]
	s_wait_alu 0xfffd
	v_add_co_ci_u32_e64 v23, null, 0, v23, vcc_lo
	v_add_co_u32 v27, vcc_lo, v27, s24
	s_wait_alu 0xfffe
	v_cmp_lt_i64_e64 s2, s[22:23], s[18:19]
	s_wait_alu 0xfffd
	v_add_co_ci_u32_e64 v28, null, 0, v28, vcc_lo
	v_add_co_u32 v29, vcc_lo, v29, s24
	s_wait_alu 0xfffd
	v_add_co_ci_u32_e64 v30, null, 0, v30, vcc_lo
	s_and_b32 vcc_lo, exec_lo, s2
	s_wait_alu 0xfffe
	s_cbranch_vccz .LBB121_20
.LBB121_4:                              ; =>This Inner Loop Header: Depth=1
	s_wait_loadcnt 0x0
	v_add_co_u32 v3, s2, v0, s22
	s_wait_alu 0xf1ff
	v_add_co_ci_u32_e64 v4, null, 0, s23, s2
	v_mov_b32_e32 v1, 0
	v_dual_mov_b32 v2, 0 :: v_dual_mov_b32 v5, 0
	s_delay_alu instid0(VALU_DEP_3)
	v_cmp_gt_u64_e32 vcc_lo, s[20:21], v[3:4]
	v_mov_b32_e32 v6, 0
	s_and_saveexec_b32 s3, vcc_lo
	s_cbranch_execz .LBB121_6
; %bb.5:                                ;   in Loop: Header=BB121_4 Depth=1
	v_add_co_u32 v3, s2, v9, s6
	s_wait_alu 0xf1ff
	v_add_co_ci_u32_e64 v4, null, s7, v10, s2
	global_load_b64 v[5:6], v[3:4], off
.LBB121_6:                              ;   in Loop: Header=BB121_4 Depth=1
	s_wait_alu 0xfffe
	s_or_b32 exec_lo, exec_lo, s3
	v_add_co_u32 v3, s2, v21, s22
	s_wait_alu 0xf1ff
	v_add_co_ci_u32_e64 v4, null, s23, v24, s2
	s_delay_alu instid0(VALU_DEP_1)
	v_cmp_gt_u64_e64 s2, s[20:21], v[3:4]
	s_and_saveexec_b32 s4, s2
	s_cbranch_execz .LBB121_8
; %bb.7:                                ;   in Loop: Header=BB121_4 Depth=1
	v_add_co_u32 v1, s3, v27, s6
	s_wait_alu 0xf1ff
	v_add_co_ci_u32_e64 v2, null, s7, v28, s3
	global_load_b64 v[1:2], v[1:2], off
.LBB121_8:                              ;   in Loop: Header=BB121_4 Depth=1
	s_wait_alu 0xfffe
	s_or_b32 exec_lo, exec_lo, s4
	v_add_co_u32 v7, s3, v25, s22
	s_wait_alu 0xf1ff
	v_add_co_ci_u32_e64 v8, null, s23, v26, s3
	v_mov_b32_e32 v3, 0
	v_mov_b32_e32 v4, 0
	s_delay_alu instid0(VALU_DEP_3)
	v_cmp_gt_u64_e64 s3, s[20:21], v[7:8]
	v_mov_b32_e32 v7, 0
	v_mov_b32_e32 v8, 0
	s_and_saveexec_b32 s5, s3
	s_cbranch_execz .LBB121_10
; %bb.9:                                ;   in Loop: Header=BB121_4 Depth=1
	v_add_co_u32 v7, s4, v19, s6
	s_wait_alu 0xf1ff
	v_add_co_ci_u32_e64 v8, null, s7, v20, s4
	global_load_b64 v[7:8], v[7:8], off
.LBB121_10:                             ;   in Loop: Header=BB121_4 Depth=1
	s_wait_alu 0xfffe
	s_or_b32 exec_lo, exec_lo, s5
	v_add_co_u32 v31, s4, v17, s22
	s_wait_alu 0xf1ff
	v_add_co_ci_u32_e64 v32, null, s23, v18, s4
	s_delay_alu instid0(VALU_DEP_1)
	v_cmp_gt_u64_e64 s4, s[20:21], v[31:32]
	s_and_saveexec_b32 s25, s4
	s_cbranch_execnz .LBB121_15
; %bb.11:                               ;   in Loop: Header=BB121_4 Depth=1
	s_wait_alu 0xfffe
	s_or_b32 exec_lo, exec_lo, s25
	s_and_saveexec_b32 s25, vcc_lo
	s_cbranch_execnz .LBB121_16
.LBB121_12:                             ;   in Loop: Header=BB121_4 Depth=1
	s_wait_alu 0xfffe
	s_or_b32 exec_lo, exec_lo, s25
	s_and_saveexec_b32 s5, s2
	s_cbranch_execnz .LBB121_17
.LBB121_13:                             ;   in Loop: Header=BB121_4 Depth=1
	s_wait_alu 0xfffe
	s_or_b32 exec_lo, exec_lo, s5
	s_and_saveexec_b32 s5, s3
	s_cbranch_execnz .LBB121_18
.LBB121_14:                             ;   in Loop: Header=BB121_4 Depth=1
	s_wait_alu 0xfffe
	s_or_b32 exec_lo, exec_lo, s5
	s_and_saveexec_b32 s3, s4
	s_cbranch_execz .LBB121_3
	s_branch .LBB121_19
.LBB121_15:                             ;   in Loop: Header=BB121_4 Depth=1
	v_add_co_u32 v3, s5, v13, s6
	s_wait_alu 0xf1ff
	v_add_co_ci_u32_e64 v4, null, s7, v14, s5
	global_load_b64 v[3:4], v[3:4], off
	s_wait_alu 0xfffe
	s_or_b32 exec_lo, exec_lo, s25
	s_and_saveexec_b32 s25, vcc_lo
	s_cbranch_execz .LBB121_12
.LBB121_16:                             ;   in Loop: Header=BB121_4 Depth=1
	s_wait_loadcnt 0x0
	v_cmp_u_f64_e32 vcc_lo, v[5:6], v[5:6]
	v_cmp_gt_f64_e64 s5, s[14:15], v[5:6]
	s_or_b32 vcc_lo, vcc_lo, s5
	s_wait_alu 0xfffe
	v_cndmask_b32_e32 v6, s15, v6, vcc_lo
	v_cndmask_b32_e32 v5, s14, v5, vcc_lo
	v_add_co_u32 v31, vcc_lo, v11, s6
	s_wait_alu 0xfffd
	v_add_co_ci_u32_e64 v32, null, s7, v12, vcc_lo
	global_store_b64 v[31:32], v[5:6], off
	s_or_b32 exec_lo, exec_lo, s25
	s_and_saveexec_b32 s5, s2
	s_cbranch_execz .LBB121_13
.LBB121_17:                             ;   in Loop: Header=BB121_4 Depth=1
	s_wait_loadcnt 0x0
	v_cmp_u_f64_e32 vcc_lo, v[1:2], v[1:2]
	v_cmp_gt_f64_e64 s2, s[14:15], v[1:2]
	s_or_b32 vcc_lo, vcc_lo, s2
	s_wait_alu 0xfffe
	v_cndmask_b32_e32 v2, s15, v2, vcc_lo
	v_cndmask_b32_e32 v1, s14, v1, vcc_lo
	v_add_co_u32 v5, vcc_lo, v29, s6
	s_wait_alu 0xfffd
	v_add_co_ci_u32_e64 v6, null, s7, v30, vcc_lo
	global_store_b64 v[5:6], v[1:2], off
	s_or_b32 exec_lo, exec_lo, s5
	s_and_saveexec_b32 s5, s3
	s_cbranch_execz .LBB121_14
.LBB121_18:                             ;   in Loop: Header=BB121_4 Depth=1
	s_wait_loadcnt 0x0
	v_cmp_u_f64_e32 vcc_lo, v[7:8], v[7:8]
	v_cmp_gt_f64_e64 s2, s[14:15], v[7:8]
	s_or_b32 vcc_lo, vcc_lo, s2
	s_wait_alu 0xfffe
	v_cndmask_b32_e32 v2, s15, v8, vcc_lo
	v_cndmask_b32_e32 v1, s14, v7, vcc_lo
	v_add_co_u32 v5, vcc_lo, v22, s6
	s_wait_alu 0xfffd
	v_add_co_ci_u32_e64 v6, null, s7, v23, vcc_lo
	global_store_b64 v[5:6], v[1:2], off
	s_or_b32 exec_lo, exec_lo, s5
	s_and_saveexec_b32 s3, s4
	s_cbranch_execz .LBB121_3
.LBB121_19:                             ;   in Loop: Header=BB121_4 Depth=1
	s_wait_loadcnt 0x0
	v_cmp_u_f64_e32 vcc_lo, v[3:4], v[3:4]
	v_cmp_gt_f64_e64 s2, s[14:15], v[3:4]
	s_or_b32 vcc_lo, vcc_lo, s2
	s_wait_alu 0xfffe
	v_cndmask_b32_e32 v2, s15, v4, vcc_lo
	v_cndmask_b32_e32 v1, s14, v3, vcc_lo
	v_add_co_u32 v3, vcc_lo, v15, s6
	s_wait_alu 0xfffd
	v_add_co_ci_u32_e64 v4, null, s7, v16, vcc_lo
	global_store_b64 v[3:4], v[1:2], off
	s_branch .LBB121_3
.LBB121_20:
	s_mov_b32 s2, 0
.LBB121_21:
	s_wait_alu 0xfffe
	s_and_not1_b32 vcc_lo, exec_lo, s2
	s_wait_alu 0xfffe
	s_cbranch_vccnz .LBB121_25
; %bb.22:
	v_cmp_gt_i64_e64 s2, 0x10000, s[8:9]
	s_wait_loadcnt 0x0
	v_dual_mov_b32 v2, 0 :: v_dual_lshlrev_b32 v1, 2, v0
	s_and_b32 s2, s2, exec_lo
	s_cselect_b32 s17, s9, 0
	s_cselect_b32 s16, s8, 0x10000
	s_mov_b32 s9, 0
	s_mov_b32 s2, exec_lo
	v_cmpx_gt_i64_e64 s[16:17], v[1:2]
	s_cbranch_execz .LBB121_25
; %bb.23:
	s_load_b32 s0, s[0:1], 0xc64
	v_lshlrev_b32_e32 v3, 5, v0
	v_mov_b32_e32 v1, v2
	s_delay_alu instid0(VALU_DEP_2) | instskip(NEXT) | instid1(VALU_DEP_1)
	v_add_co_u32 v2, s1, s6, v3
	v_add_co_ci_u32_e64 v3, null, s7, 0, s1
	s_wait_kmcnt 0x0
	s_and_b32 s18, s0, 0xffff
	s_wait_alu 0xfffe
	s_lshl_b32 s19, s18, 5
.LBB121_24:                             ; =>This Inner Loop Header: Depth=1
	v_add_co_u32 v8, vcc_lo, s10, v2
	s_wait_alu 0xfffd
	v_add_co_ci_u32_e64 v9, null, s11, v3, vcc_lo
	v_add_co_u32 v0, s7, v0, s18
	s_wait_alu 0xf1ff
	v_add_co_ci_u32_e64 v1, null, 0, v1, s7
	s_clause 0x1
	global_load_b128 v[4:7], v[8:9], off
	global_load_b128 v[8:11], v[8:9], off offset:16
	v_add_co_u32 v12, s7, s12, v2
	v_lshlrev_b64_e32 v[14:15], 2, v[0:1]
	s_wait_alu 0xf1ff
	v_add_co_ci_u32_e64 v13, null, s13, v3, s7
	s_wait_alu 0xfffe
	v_add_co_u32 v2, s7, v2, s19
	s_wait_alu 0xf1ff
	v_add_co_ci_u32_e64 v3, null, 0, v3, s7
	v_cmp_le_i64_e64 s8, s[16:17], v[14:15]
	s_wait_loadcnt 0x1
	v_cmp_u_f64_e32 vcc_lo, v[4:5], v[4:5]
	v_cmp_gt_f64_e64 s0, s[14:15], v[4:5]
	v_cmp_u_f64_e64 s1, v[6:7], v[6:7]
	v_cmp_gt_f64_e64 s2, s[14:15], v[6:7]
	s_wait_loadcnt 0x0
	v_cmp_u_f64_e64 s3, v[8:9], v[8:9]
	v_cmp_gt_f64_e64 s4, s[14:15], v[8:9]
	v_cmp_u_f64_e64 s5, v[10:11], v[10:11]
	v_cmp_gt_f64_e64 s6, s[14:15], v[10:11]
	s_or_b32 vcc_lo, vcc_lo, s0
	s_or_b32 s0, s1, s2
	s_wait_alu 0xfffe
	v_cndmask_b32_e32 v5, s15, v5, vcc_lo
	s_or_b32 s1, s3, s4
	v_cndmask_b32_e64 v7, s15, v7, s0
	s_or_b32 s2, s5, s6
	v_cndmask_b32_e32 v4, s14, v4, vcc_lo
	v_cndmask_b32_e64 v6, s14, v6, s0
	s_wait_alu 0xfffe
	v_cndmask_b32_e64 v9, s15, v9, s1
	v_cndmask_b32_e64 v11, s15, v11, s2
	v_cndmask_b32_e64 v8, s14, v8, s1
	v_cndmask_b32_e64 v10, s14, v10, s2
	s_or_b32 s9, s8, s9
	s_clause 0x1
	global_store_b128 v[12:13], v[4:7], off
	global_store_b128 v[12:13], v[8:11], off offset:16
	s_wait_alu 0xfffe
	s_and_not1_b32 exec_lo, exec_lo, s9
	s_cbranch_execnz .LBB121_24
.LBB121_25:
	s_endpgm
	.section	.rodata,"a",@progbits
	.p2align	6, 0x0
	.amdhsa_kernel _ZN2at6native12_GLOBAL__N_125multi_tensor_apply_kernelINS1_18TensorListMetadataILi2EEENS1_21BinaryOpScalarFunctorIdLi2ELi1ELi1EEEJNS0_7minimumIdEEdEEEvT_T0_DpT1_
		.amdhsa_group_segment_fixed_size 0
		.amdhsa_private_segment_fixed_size 0
		.amdhsa_kernarg_size 3416
		.amdhsa_user_sgpr_count 2
		.amdhsa_user_sgpr_dispatch_ptr 0
		.amdhsa_user_sgpr_queue_ptr 0
		.amdhsa_user_sgpr_kernarg_segment_ptr 1
		.amdhsa_user_sgpr_dispatch_id 0
		.amdhsa_user_sgpr_private_segment_size 0
		.amdhsa_wavefront_size32 1
		.amdhsa_uses_dynamic_stack 0
		.amdhsa_enable_private_segment 0
		.amdhsa_system_sgpr_workgroup_id_x 1
		.amdhsa_system_sgpr_workgroup_id_y 0
		.amdhsa_system_sgpr_workgroup_id_z 0
		.amdhsa_system_sgpr_workgroup_info 0
		.amdhsa_system_vgpr_workitem_id 0
		.amdhsa_next_free_vgpr 33
		.amdhsa_next_free_sgpr 26
		.amdhsa_reserve_vcc 1
		.amdhsa_float_round_mode_32 0
		.amdhsa_float_round_mode_16_64 0
		.amdhsa_float_denorm_mode_32 3
		.amdhsa_float_denorm_mode_16_64 3
		.amdhsa_fp16_overflow 0
		.amdhsa_workgroup_processor_mode 1
		.amdhsa_memory_ordered 1
		.amdhsa_forward_progress 1
		.amdhsa_inst_pref_size 15
		.amdhsa_round_robin_scheduling 0
		.amdhsa_exception_fp_ieee_invalid_op 0
		.amdhsa_exception_fp_denorm_src 0
		.amdhsa_exception_fp_ieee_div_zero 0
		.amdhsa_exception_fp_ieee_overflow 0
		.amdhsa_exception_fp_ieee_underflow 0
		.amdhsa_exception_fp_ieee_inexact 0
		.amdhsa_exception_int_div_zero 0
	.end_amdhsa_kernel
	.section	.text._ZN2at6native12_GLOBAL__N_125multi_tensor_apply_kernelINS1_18TensorListMetadataILi2EEENS1_21BinaryOpScalarFunctorIdLi2ELi1ELi1EEEJNS0_7minimumIdEEdEEEvT_T0_DpT1_,"axG",@progbits,_ZN2at6native12_GLOBAL__N_125multi_tensor_apply_kernelINS1_18TensorListMetadataILi2EEENS1_21BinaryOpScalarFunctorIdLi2ELi1ELi1EEEJNS0_7minimumIdEEdEEEvT_T0_DpT1_,comdat
.Lfunc_end121:
	.size	_ZN2at6native12_GLOBAL__N_125multi_tensor_apply_kernelINS1_18TensorListMetadataILi2EEENS1_21BinaryOpScalarFunctorIdLi2ELi1ELi1EEEJNS0_7minimumIdEEdEEEvT_T0_DpT1_, .Lfunc_end121-_ZN2at6native12_GLOBAL__N_125multi_tensor_apply_kernelINS1_18TensorListMetadataILi2EEENS1_21BinaryOpScalarFunctorIdLi2ELi1ELi1EEEJNS0_7minimumIdEEdEEEvT_T0_DpT1_
                                        ; -- End function
	.set _ZN2at6native12_GLOBAL__N_125multi_tensor_apply_kernelINS1_18TensorListMetadataILi2EEENS1_21BinaryOpScalarFunctorIdLi2ELi1ELi1EEEJNS0_7minimumIdEEdEEEvT_T0_DpT1_.num_vgpr, 33
	.set _ZN2at6native12_GLOBAL__N_125multi_tensor_apply_kernelINS1_18TensorListMetadataILi2EEENS1_21BinaryOpScalarFunctorIdLi2ELi1ELi1EEEJNS0_7minimumIdEEdEEEvT_T0_DpT1_.num_agpr, 0
	.set _ZN2at6native12_GLOBAL__N_125multi_tensor_apply_kernelINS1_18TensorListMetadataILi2EEENS1_21BinaryOpScalarFunctorIdLi2ELi1ELi1EEEJNS0_7minimumIdEEdEEEvT_T0_DpT1_.numbered_sgpr, 26
	.set _ZN2at6native12_GLOBAL__N_125multi_tensor_apply_kernelINS1_18TensorListMetadataILi2EEENS1_21BinaryOpScalarFunctorIdLi2ELi1ELi1EEEJNS0_7minimumIdEEdEEEvT_T0_DpT1_.num_named_barrier, 0
	.set _ZN2at6native12_GLOBAL__N_125multi_tensor_apply_kernelINS1_18TensorListMetadataILi2EEENS1_21BinaryOpScalarFunctorIdLi2ELi1ELi1EEEJNS0_7minimumIdEEdEEEvT_T0_DpT1_.private_seg_size, 0
	.set _ZN2at6native12_GLOBAL__N_125multi_tensor_apply_kernelINS1_18TensorListMetadataILi2EEENS1_21BinaryOpScalarFunctorIdLi2ELi1ELi1EEEJNS0_7minimumIdEEdEEEvT_T0_DpT1_.uses_vcc, 1
	.set _ZN2at6native12_GLOBAL__N_125multi_tensor_apply_kernelINS1_18TensorListMetadataILi2EEENS1_21BinaryOpScalarFunctorIdLi2ELi1ELi1EEEJNS0_7minimumIdEEdEEEvT_T0_DpT1_.uses_flat_scratch, 0
	.set _ZN2at6native12_GLOBAL__N_125multi_tensor_apply_kernelINS1_18TensorListMetadataILi2EEENS1_21BinaryOpScalarFunctorIdLi2ELi1ELi1EEEJNS0_7minimumIdEEdEEEvT_T0_DpT1_.has_dyn_sized_stack, 0
	.set _ZN2at6native12_GLOBAL__N_125multi_tensor_apply_kernelINS1_18TensorListMetadataILi2EEENS1_21BinaryOpScalarFunctorIdLi2ELi1ELi1EEEJNS0_7minimumIdEEdEEEvT_T0_DpT1_.has_recursion, 0
	.set _ZN2at6native12_GLOBAL__N_125multi_tensor_apply_kernelINS1_18TensorListMetadataILi2EEENS1_21BinaryOpScalarFunctorIdLi2ELi1ELi1EEEJNS0_7minimumIdEEdEEEvT_T0_DpT1_.has_indirect_call, 0
	.section	.AMDGPU.csdata,"",@progbits
; Kernel info:
; codeLenInByte = 1908
; TotalNumSgprs: 28
; NumVgprs: 33
; ScratchSize: 0
; MemoryBound: 0
; FloatMode: 240
; IeeeMode: 1
; LDSByteSize: 0 bytes/workgroup (compile time only)
; SGPRBlocks: 0
; VGPRBlocks: 4
; NumSGPRsForWavesPerEU: 28
; NumVGPRsForWavesPerEU: 33
; Occupancy: 16
; WaveLimiterHint : 0
; COMPUTE_PGM_RSRC2:SCRATCH_EN: 0
; COMPUTE_PGM_RSRC2:USER_SGPR: 2
; COMPUTE_PGM_RSRC2:TRAP_HANDLER: 0
; COMPUTE_PGM_RSRC2:TGID_X_EN: 1
; COMPUTE_PGM_RSRC2:TGID_Y_EN: 0
; COMPUTE_PGM_RSRC2:TGID_Z_EN: 0
; COMPUTE_PGM_RSRC2:TIDIG_COMP_CNT: 0
	.section	.text._ZN2at6native12_GLOBAL__N_125multi_tensor_apply_kernelINS1_18TensorListMetadataILi2EEENS1_21BinaryOpScalarFunctorIfLi2ELi1ELi1EEEJNS0_7minimumIfEEfEEEvT_T0_DpT1_,"axG",@progbits,_ZN2at6native12_GLOBAL__N_125multi_tensor_apply_kernelINS1_18TensorListMetadataILi2EEENS1_21BinaryOpScalarFunctorIfLi2ELi1ELi1EEEJNS0_7minimumIfEEfEEEvT_T0_DpT1_,comdat
	.globl	_ZN2at6native12_GLOBAL__N_125multi_tensor_apply_kernelINS1_18TensorListMetadataILi2EEENS1_21BinaryOpScalarFunctorIfLi2ELi1ELi1EEEJNS0_7minimumIfEEfEEEvT_T0_DpT1_ ; -- Begin function _ZN2at6native12_GLOBAL__N_125multi_tensor_apply_kernelINS1_18TensorListMetadataILi2EEENS1_21BinaryOpScalarFunctorIfLi2ELi1ELi1EEEJNS0_7minimumIfEEfEEEvT_T0_DpT1_
	.p2align	8
	.type	_ZN2at6native12_GLOBAL__N_125multi_tensor_apply_kernelINS1_18TensorListMetadataILi2EEENS1_21BinaryOpScalarFunctorIfLi2ELi1ELi1EEEJNS0_7minimumIfEEfEEEvT_T0_DpT1_,@function
_ZN2at6native12_GLOBAL__N_125multi_tensor_apply_kernelINS1_18TensorListMetadataILi2EEENS1_21BinaryOpScalarFunctorIfLi2ELi1ELi1EEEJNS0_7minimumIfEEfEEEvT_T0_DpT1_: ; @_ZN2at6native12_GLOBAL__N_125multi_tensor_apply_kernelINS1_18TensorListMetadataILi2EEENS1_21BinaryOpScalarFunctorIfLi2ELi1ELi1EEEJNS0_7minimumIfEEfEEEvT_T0_DpT1_
; %bb.0:
	s_load_u8 s8, s[0:1], ttmp9 offset:0x600
	s_mov_b32 s2, ttmp9
	s_mov_b32 s3, 0
	s_delay_alu instid0(SALU_CYCLE_1)
	s_mul_u64 s[4:5], s[2:3], 3
	s_add_nc_u64 s[6:7], s[0:1], s[2:3]
	s_mov_b32 s15, s3
	s_add_nc_u64 s[4:5], s[6:7], s[4:5]
	s_mov_b32 s17, s3
	s_load_b32 s4, s[4:5], 0x740
	s_wait_kmcnt 0x0
	s_lshl_b32 s2, s8, 3
	s_clause 0x3
	s_load_b64 s[10:11], s[0:1], s2 offset:0x0
	s_load_b64 s[12:13], s[0:1], s2 offset:0x200
	;; [unrolled: 1-line block ×3, first 2 shown]
	s_load_b32 s22, s[0:1], 0xc4c
	s_ashr_i32 s5, s4, 31
	s_delay_alu instid0(SALU_CYCLE_1)
	s_lshl_b64 s[6:7], s[4:5], 18
	s_lshl_b64 s[4:5], s[4:5], 16
	s_wait_kmcnt 0x0
	s_add_nc_u64 s[18:19], s[10:11], s[6:7]
	s_and_b32 s14, s12, 15
	s_and_b32 s16, s8, 3
	;; [unrolled: 1-line block ×3, first 2 shown]
	s_or_b64 s[14:15], s[14:15], s[16:17]
	s_sub_nc_u64 s[8:9], s[8:9], s[4:5]
	s_or_b64 s[2:3], s[14:15], s[2:3]
	s_delay_alu instid0(SALU_CYCLE_1)
	s_cmp_eq_u64 s[2:3], 0
	s_mov_b32 s2, -1
	s_cbranch_scc1 .LBB122_21
; %bb.1:
	v_cmp_lt_i64_e64 s2, s[8:9], 1
	s_and_b32 vcc_lo, exec_lo, s2
	s_cbranch_vccnz .LBB122_20
; %bb.2:
	s_load_b32 s2, s[0:1], 0xc5c
	v_cmp_gt_i64_e64 s3, 0x10000, s[8:9]
	v_dual_mov_b32 v10, 0 :: v_dual_lshlrev_b32 v9, 2, v0
	v_cmp_gt_u64_e64 s4, 0x10000, s[8:9]
	s_mov_b32 s15, 0
	s_mov_b64 s[20:21], 0
	s_and_b32 s3, s3, exec_lo
	v_add_co_u32 v3, s3, s12, v9
	v_add_co_u32 v1, s5, s10, v9
	s_cselect_b32 s17, s9, 0
	s_cselect_b32 s16, s8, 0x10000
	v_add_co_ci_u32_e64 v4, null, s13, 0, s3
	v_add_co_ci_u32_e64 v2, null, s11, 0, s5
	s_wait_kmcnt 0x0
	s_and_b32 s2, s2, 0xffff
	s_and_b32 s3, s4, exec_lo
	s_cselect_b32 s19, s9, 0
	s_cselect_b32 s18, s8, 0x10000
	s_wait_alu 0xfffe
	s_mul_i32 s4, s2, 3
	s_lshl_b32 s5, s2, 3
	v_mad_co_u64_u32 v[7:8], null, s2, 12, v[9:10]
	s_wait_alu 0xfffe
	v_add_co_u32 v14, s5, s5, v9
	v_add_co_u32 v9, s4, s4, v0
	s_wait_alu 0xf1ff
	v_add_co_ci_u32_e64 v10, null, 0, 0, s4
	v_add_co_u32 v13, s4, v0, s2
	s_lshl_b32 s3, s2, 1
	v_add_co_u32 v5, vcc_lo, s10, v7
	v_lshlrev_b32_e32 v21, 2, v13
	v_add_co_ci_u32_e64 v15, null, 0, 0, s5
	v_add_co_ci_u32_e64 v6, null, s11, v8, vcc_lo
	v_add_co_u32 v7, vcc_lo, s12, v7
	s_wait_alu 0xfffe
	v_add_co_u32 v17, s3, s3, v0
	s_wait_alu 0xfffd
	v_add_co_ci_u32_e64 v8, null, s13, v8, vcc_lo
	v_add_co_u32 v11, vcc_lo, s10, v14
	s_wait_alu 0xf1ff
	v_add_co_ci_u32_e64 v18, null, 0, 0, s3
	v_add_co_u32 v19, s3, s10, v21
	s_wait_alu 0xfffd
	v_add_co_ci_u32_e64 v12, null, s11, v15, vcc_lo
	v_add_co_u32 v14, vcc_lo, s12, v14
	s_wait_alu 0xf1ff
	v_add_co_ci_u32_e64 v20, null, s11, 0, s3
	v_add_co_u32 v21, s3, s12, v21
	s_wait_alu 0xfffd
	v_add_co_ci_u32_e64 v15, null, s13, v15, vcc_lo
	v_add_co_ci_u32_e64 v16, null, 0, 0, s4
	s_wait_alu 0xf1ff
	v_add_co_ci_u32_e64 v22, null, s13, 0, s3
	s_lshl_b32 s14, s2, 2
	s_lshl_b32 s23, s2, 4
	s_branch .LBB122_4
.LBB122_3:                              ;   in Loop: Header=BB122_4 Depth=1
	s_wait_alu 0xfffe
	s_or_b32 exec_lo, exec_lo, s3
	v_add_co_u32 v1, vcc_lo, v1, s23
	s_wait_alu 0xfffd
	v_add_co_ci_u32_e64 v2, null, 0, v2, vcc_lo
	v_add_co_u32 v3, vcc_lo, v3, s23
	s_wait_alu 0xfffd
	v_add_co_ci_u32_e64 v4, null, 0, v4, vcc_lo
	;; [unrolled: 3-line block ×5, first 2 shown]
	v_add_co_u32 v14, vcc_lo, v14, s23
	s_add_nc_u64 s[20:21], s[20:21], s[14:15]
	s_wait_alu 0xfffd
	v_add_co_ci_u32_e64 v15, null, 0, v15, vcc_lo
	v_add_co_u32 v19, vcc_lo, v19, s23
	s_wait_alu 0xfffe
	v_cmp_lt_i64_e64 s2, s[20:21], s[16:17]
	s_wait_alu 0xfffd
	v_add_co_ci_u32_e64 v20, null, 0, v20, vcc_lo
	v_add_co_u32 v21, vcc_lo, v21, s23
	s_wait_alu 0xfffd
	v_add_co_ci_u32_e64 v22, null, 0, v22, vcc_lo
	s_and_b32 vcc_lo, exec_lo, s2
	s_wait_alu 0xfffe
	s_cbranch_vccz .LBB122_20
.LBB122_4:                              ; =>This Inner Loop Header: Depth=1
	s_wait_loadcnt 0x0
	v_add_co_u32 v23, s2, v0, s20
	s_wait_alu 0xf1ff
	v_add_co_ci_u32_e64 v24, null, 0, s21, s2
	s_delay_alu instid0(VALU_DEP_1)
	v_cmp_gt_u64_e32 vcc_lo, s[18:19], v[23:24]
	v_mov_b32_e32 v24, 0
	s_and_saveexec_b32 s3, vcc_lo
	s_cbranch_execz .LBB122_6
; %bb.5:                                ;   in Loop: Header=BB122_4 Depth=1
	v_add_co_u32 v23, s2, v1, s6
	s_wait_alu 0xf1ff
	v_add_co_ci_u32_e64 v24, null, s7, v2, s2
	global_load_b32 v24, v[23:24], off
.LBB122_6:                              ;   in Loop: Header=BB122_4 Depth=1
	s_wait_alu 0xfffe
	s_or_b32 exec_lo, exec_lo, s3
	v_add_co_u32 v25, s2, v13, s20
	s_wait_alu 0xf1ff
	v_add_co_ci_u32_e64 v26, null, s21, v16, s2
	v_mov_b32_e32 v23, 0
	s_delay_alu instid0(VALU_DEP_2)
	v_cmp_gt_u64_e64 s2, s[18:19], v[25:26]
	v_mov_b32_e32 v25, 0
	s_and_saveexec_b32 s4, s2
	s_cbranch_execz .LBB122_8
; %bb.7:                                ;   in Loop: Header=BB122_4 Depth=1
	v_add_co_u32 v25, s3, v19, s6
	s_wait_alu 0xf1ff
	v_add_co_ci_u32_e64 v26, null, s7, v20, s3
	global_load_b32 v25, v[25:26], off
.LBB122_8:                              ;   in Loop: Header=BB122_4 Depth=1
	s_wait_alu 0xfffe
	s_or_b32 exec_lo, exec_lo, s4
	v_add_co_u32 v26, s3, v17, s20
	s_wait_alu 0xf1ff
	v_add_co_ci_u32_e64 v27, null, s21, v18, s3
	s_delay_alu instid0(VALU_DEP_1)
	v_cmp_gt_u64_e64 s3, s[18:19], v[26:27]
	s_and_saveexec_b32 s5, s3
	s_cbranch_execz .LBB122_10
; %bb.9:                                ;   in Loop: Header=BB122_4 Depth=1
	v_add_co_u32 v26, s4, v11, s6
	s_wait_alu 0xf1ff
	v_add_co_ci_u32_e64 v27, null, s7, v12, s4
	global_load_b32 v23, v[26:27], off
.LBB122_10:                             ;   in Loop: Header=BB122_4 Depth=1
	s_wait_alu 0xfffe
	s_or_b32 exec_lo, exec_lo, s5
	v_add_co_u32 v26, s4, v9, s20
	s_wait_alu 0xf1ff
	v_add_co_ci_u32_e64 v27, null, s21, v10, s4
	s_delay_alu instid0(VALU_DEP_1)
	v_cmp_gt_u64_e64 s4, s[18:19], v[26:27]
	v_mov_b32_e32 v26, 0
	s_and_saveexec_b32 s24, s4
	s_cbranch_execnz .LBB122_15
; %bb.11:                               ;   in Loop: Header=BB122_4 Depth=1
	s_or_b32 exec_lo, exec_lo, s24
	s_and_saveexec_b32 s24, vcc_lo
	s_cbranch_execnz .LBB122_16
.LBB122_12:                             ;   in Loop: Header=BB122_4 Depth=1
	s_or_b32 exec_lo, exec_lo, s24
	s_and_saveexec_b32 s5, s2
	s_cbranch_execnz .LBB122_17
.LBB122_13:                             ;   in Loop: Header=BB122_4 Depth=1
	s_wait_alu 0xfffe
	s_or_b32 exec_lo, exec_lo, s5
	s_and_saveexec_b32 s5, s3
	s_cbranch_execnz .LBB122_18
.LBB122_14:                             ;   in Loop: Header=BB122_4 Depth=1
	s_wait_alu 0xfffe
	s_or_b32 exec_lo, exec_lo, s5
	s_and_saveexec_b32 s3, s4
	s_cbranch_execz .LBB122_3
	s_branch .LBB122_19
.LBB122_15:                             ;   in Loop: Header=BB122_4 Depth=1
	v_add_co_u32 v26, s5, v5, s6
	s_wait_alu 0xf1ff
	v_add_co_ci_u32_e64 v27, null, s7, v6, s5
	global_load_b32 v26, v[26:27], off
	s_or_b32 exec_lo, exec_lo, s24
	s_and_saveexec_b32 s24, vcc_lo
	s_cbranch_execz .LBB122_12
.LBB122_16:                             ;   in Loop: Header=BB122_4 Depth=1
	s_wait_loadcnt 0x0
	v_cmp_u_f32_e32 vcc_lo, v24, v24
	v_cmp_gt_f32_e64 s5, s22, v24
	s_or_b32 vcc_lo, vcc_lo, s5
	s_wait_alu 0xfffe
	v_cndmask_b32_e32 v24, s22, v24, vcc_lo
	v_add_co_u32 v27, vcc_lo, v3, s6
	s_wait_alu 0xfffd
	v_add_co_ci_u32_e64 v28, null, s7, v4, vcc_lo
	global_store_b32 v[27:28], v24, off
	s_or_b32 exec_lo, exec_lo, s24
	s_and_saveexec_b32 s5, s2
	s_cbranch_execz .LBB122_13
.LBB122_17:                             ;   in Loop: Header=BB122_4 Depth=1
	s_wait_loadcnt 0x0
	v_cmp_u_f32_e32 vcc_lo, v25, v25
	v_cmp_gt_f32_e64 s2, s22, v25
	s_or_b32 vcc_lo, vcc_lo, s2
	s_wait_alu 0xfffe
	v_cndmask_b32_e32 v27, s22, v25, vcc_lo
	v_add_co_u32 v24, vcc_lo, v21, s6
	s_wait_alu 0xfffd
	v_add_co_ci_u32_e64 v25, null, s7, v22, vcc_lo
	global_store_b32 v[24:25], v27, off
	s_or_b32 exec_lo, exec_lo, s5
	s_and_saveexec_b32 s5, s3
	s_cbranch_execz .LBB122_14
.LBB122_18:                             ;   in Loop: Header=BB122_4 Depth=1
	s_wait_loadcnt 0x0
	v_cmp_u_f32_e32 vcc_lo, v23, v23
	v_cmp_gt_f32_e64 s2, s22, v23
	s_or_b32 vcc_lo, vcc_lo, s2
	s_wait_alu 0xfffe
	v_cndmask_b32_e32 v25, s22, v23, vcc_lo
	v_add_co_u32 v23, vcc_lo, v14, s6
	s_wait_alu 0xfffd
	v_add_co_ci_u32_e64 v24, null, s7, v15, vcc_lo
	global_store_b32 v[23:24], v25, off
	s_or_b32 exec_lo, exec_lo, s5
	s_and_saveexec_b32 s3, s4
	s_cbranch_execz .LBB122_3
.LBB122_19:                             ;   in Loop: Header=BB122_4 Depth=1
	s_wait_loadcnt 0x0
	v_cmp_u_f32_e32 vcc_lo, v26, v26
	v_cmp_gt_f32_e64 s2, s22, v26
	s_or_b32 vcc_lo, vcc_lo, s2
	s_wait_alu 0xfffe
	v_cndmask_b32_e32 v25, s22, v26, vcc_lo
	v_add_co_u32 v23, vcc_lo, v7, s6
	s_wait_alu 0xfffd
	v_add_co_ci_u32_e64 v24, null, s7, v8, vcc_lo
	global_store_b32 v[23:24], v25, off
	s_branch .LBB122_3
.LBB122_20:
	s_mov_b32 s2, 0
.LBB122_21:
	s_wait_alu 0xfffe
	s_and_not1_b32 vcc_lo, exec_lo, s2
	s_wait_alu 0xfffe
	s_cbranch_vccnz .LBB122_25
; %bb.22:
	v_cmp_gt_i64_e64 s2, 0x10000, s[8:9]
	v_dual_mov_b32 v2, 0 :: v_dual_lshlrev_b32 v1, 2, v0
	s_and_b32 s2, s2, exec_lo
	s_cselect_b32 s15, s9, 0
	s_cselect_b32 s14, s8, 0x10000
	s_mov_b32 s9, 0
	s_mov_b32 s2, exec_lo
	v_cmpx_gt_i64_e64 s[14:15], v[1:2]
	s_cbranch_execz .LBB122_25
; %bb.23:
	s_load_b32 s0, s[0:1], 0xc5c
	v_lshlrev_b32_e32 v3, 4, v0
	v_mov_b32_e32 v1, v2
	s_delay_alu instid0(VALU_DEP_2) | instskip(NEXT) | instid1(VALU_DEP_1)
	v_add_co_u32 v2, s1, s6, v3
	v_add_co_ci_u32_e64 v3, null, s7, 0, s1
	s_wait_kmcnt 0x0
	s_and_b32 s16, s0, 0xffff
	s_wait_alu 0xfffe
	s_lshl_b32 s17, s16, 4
.LBB122_24:                             ; =>This Inner Loop Header: Depth=1
	v_add_co_u32 v4, vcc_lo, s10, v2
	s_wait_alu 0xfffd
	v_add_co_ci_u32_e64 v5, null, s11, v3, vcc_lo
	v_add_co_u32 v0, vcc_lo, v0, s16
	s_wait_alu 0xfffd
	v_add_co_ci_u32_e64 v1, null, 0, v1, vcc_lo
	global_load_b128 v[4:7], v[4:5], off
	v_add_co_u32 v8, vcc_lo, s12, v2
	v_lshlrev_b64_e32 v[10:11], 2, v[0:1]
	s_wait_alu 0xfffd
	v_add_co_ci_u32_e64 v9, null, s13, v3, vcc_lo
	s_wait_alu 0xfffe
	v_add_co_u32 v2, vcc_lo, v2, s17
	s_wait_alu 0xfffd
	v_add_co_ci_u32_e64 v3, null, 0, v3, vcc_lo
	v_cmp_le_i64_e64 s0, s[14:15], v[10:11]
	s_wait_loadcnt 0x0
	v_cmp_u_f32_e64 s1, v4, v4
	v_cmp_gt_f32_e64 s2, s22, v4
	v_cmp_u_f32_e64 s3, v5, v5
	v_cmp_gt_f32_e64 s4, s22, v5
	;; [unrolled: 2-line block ×3, first 2 shown]
	s_or_b32 s1, s1, s2
	v_cmp_u_f32_e64 s7, v7, v7
	v_cmp_gt_f32_e64 s8, s22, v7
	s_wait_alu 0xfffe
	v_cndmask_b32_e64 v4, s22, v4, s1
	s_or_b32 s1, s3, s4
	s_wait_alu 0xfffe
	v_cndmask_b32_e64 v5, s22, v5, s1
	s_or_b32 s1, s5, s6
	;; [unrolled: 3-line block ×3, first 2 shown]
	s_or_b32 s9, s0, s9
	s_wait_alu 0xfffe
	v_cndmask_b32_e64 v7, s22, v7, s1
	global_store_b128 v[8:9], v[4:7], off
	s_and_not1_b32 exec_lo, exec_lo, s9
	s_cbranch_execnz .LBB122_24
.LBB122_25:
	s_endpgm
	.section	.rodata,"a",@progbits
	.p2align	6, 0x0
	.amdhsa_kernel _ZN2at6native12_GLOBAL__N_125multi_tensor_apply_kernelINS1_18TensorListMetadataILi2EEENS1_21BinaryOpScalarFunctorIfLi2ELi1ELi1EEEJNS0_7minimumIfEEfEEEvT_T0_DpT1_
		.amdhsa_group_segment_fixed_size 0
		.amdhsa_private_segment_fixed_size 0
		.amdhsa_kernarg_size 3408
		.amdhsa_user_sgpr_count 2
		.amdhsa_user_sgpr_dispatch_ptr 0
		.amdhsa_user_sgpr_queue_ptr 0
		.amdhsa_user_sgpr_kernarg_segment_ptr 1
		.amdhsa_user_sgpr_dispatch_id 0
		.amdhsa_user_sgpr_private_segment_size 0
		.amdhsa_wavefront_size32 1
		.amdhsa_uses_dynamic_stack 0
		.amdhsa_enable_private_segment 0
		.amdhsa_system_sgpr_workgroup_id_x 1
		.amdhsa_system_sgpr_workgroup_id_y 0
		.amdhsa_system_sgpr_workgroup_id_z 0
		.amdhsa_system_sgpr_workgroup_info 0
		.amdhsa_system_vgpr_workitem_id 0
		.amdhsa_next_free_vgpr 29
		.amdhsa_next_free_sgpr 25
		.amdhsa_reserve_vcc 1
		.amdhsa_float_round_mode_32 0
		.amdhsa_float_round_mode_16_64 0
		.amdhsa_float_denorm_mode_32 3
		.amdhsa_float_denorm_mode_16_64 3
		.amdhsa_fp16_overflow 0
		.amdhsa_workgroup_processor_mode 1
		.amdhsa_memory_ordered 1
		.amdhsa_forward_progress 1
		.amdhsa_inst_pref_size 15
		.amdhsa_round_robin_scheduling 0
		.amdhsa_exception_fp_ieee_invalid_op 0
		.amdhsa_exception_fp_denorm_src 0
		.amdhsa_exception_fp_ieee_div_zero 0
		.amdhsa_exception_fp_ieee_overflow 0
		.amdhsa_exception_fp_ieee_underflow 0
		.amdhsa_exception_fp_ieee_inexact 0
		.amdhsa_exception_int_div_zero 0
	.end_amdhsa_kernel
	.section	.text._ZN2at6native12_GLOBAL__N_125multi_tensor_apply_kernelINS1_18TensorListMetadataILi2EEENS1_21BinaryOpScalarFunctorIfLi2ELi1ELi1EEEJNS0_7minimumIfEEfEEEvT_T0_DpT1_,"axG",@progbits,_ZN2at6native12_GLOBAL__N_125multi_tensor_apply_kernelINS1_18TensorListMetadataILi2EEENS1_21BinaryOpScalarFunctorIfLi2ELi1ELi1EEEJNS0_7minimumIfEEfEEEvT_T0_DpT1_,comdat
.Lfunc_end122:
	.size	_ZN2at6native12_GLOBAL__N_125multi_tensor_apply_kernelINS1_18TensorListMetadataILi2EEENS1_21BinaryOpScalarFunctorIfLi2ELi1ELi1EEEJNS0_7minimumIfEEfEEEvT_T0_DpT1_, .Lfunc_end122-_ZN2at6native12_GLOBAL__N_125multi_tensor_apply_kernelINS1_18TensorListMetadataILi2EEENS1_21BinaryOpScalarFunctorIfLi2ELi1ELi1EEEJNS0_7minimumIfEEfEEEvT_T0_DpT1_
                                        ; -- End function
	.set _ZN2at6native12_GLOBAL__N_125multi_tensor_apply_kernelINS1_18TensorListMetadataILi2EEENS1_21BinaryOpScalarFunctorIfLi2ELi1ELi1EEEJNS0_7minimumIfEEfEEEvT_T0_DpT1_.num_vgpr, 29
	.set _ZN2at6native12_GLOBAL__N_125multi_tensor_apply_kernelINS1_18TensorListMetadataILi2EEENS1_21BinaryOpScalarFunctorIfLi2ELi1ELi1EEEJNS0_7minimumIfEEfEEEvT_T0_DpT1_.num_agpr, 0
	.set _ZN2at6native12_GLOBAL__N_125multi_tensor_apply_kernelINS1_18TensorListMetadataILi2EEENS1_21BinaryOpScalarFunctorIfLi2ELi1ELi1EEEJNS0_7minimumIfEEfEEEvT_T0_DpT1_.numbered_sgpr, 25
	.set _ZN2at6native12_GLOBAL__N_125multi_tensor_apply_kernelINS1_18TensorListMetadataILi2EEENS1_21BinaryOpScalarFunctorIfLi2ELi1ELi1EEEJNS0_7minimumIfEEfEEEvT_T0_DpT1_.num_named_barrier, 0
	.set _ZN2at6native12_GLOBAL__N_125multi_tensor_apply_kernelINS1_18TensorListMetadataILi2EEENS1_21BinaryOpScalarFunctorIfLi2ELi1ELi1EEEJNS0_7minimumIfEEfEEEvT_T0_DpT1_.private_seg_size, 0
	.set _ZN2at6native12_GLOBAL__N_125multi_tensor_apply_kernelINS1_18TensorListMetadataILi2EEENS1_21BinaryOpScalarFunctorIfLi2ELi1ELi1EEEJNS0_7minimumIfEEfEEEvT_T0_DpT1_.uses_vcc, 1
	.set _ZN2at6native12_GLOBAL__N_125multi_tensor_apply_kernelINS1_18TensorListMetadataILi2EEENS1_21BinaryOpScalarFunctorIfLi2ELi1ELi1EEEJNS0_7minimumIfEEfEEEvT_T0_DpT1_.uses_flat_scratch, 0
	.set _ZN2at6native12_GLOBAL__N_125multi_tensor_apply_kernelINS1_18TensorListMetadataILi2EEENS1_21BinaryOpScalarFunctorIfLi2ELi1ELi1EEEJNS0_7minimumIfEEfEEEvT_T0_DpT1_.has_dyn_sized_stack, 0
	.set _ZN2at6native12_GLOBAL__N_125multi_tensor_apply_kernelINS1_18TensorListMetadataILi2EEENS1_21BinaryOpScalarFunctorIfLi2ELi1ELi1EEEJNS0_7minimumIfEEfEEEvT_T0_DpT1_.has_recursion, 0
	.set _ZN2at6native12_GLOBAL__N_125multi_tensor_apply_kernelINS1_18TensorListMetadataILi2EEENS1_21BinaryOpScalarFunctorIfLi2ELi1ELi1EEEJNS0_7minimumIfEEfEEEvT_T0_DpT1_.has_indirect_call, 0
	.section	.AMDGPU.csdata,"",@progbits
; Kernel info:
; codeLenInByte = 1808
; TotalNumSgprs: 27
; NumVgprs: 29
; ScratchSize: 0
; MemoryBound: 0
; FloatMode: 240
; IeeeMode: 1
; LDSByteSize: 0 bytes/workgroup (compile time only)
; SGPRBlocks: 0
; VGPRBlocks: 3
; NumSGPRsForWavesPerEU: 27
; NumVGPRsForWavesPerEU: 29
; Occupancy: 16
; WaveLimiterHint : 0
; COMPUTE_PGM_RSRC2:SCRATCH_EN: 0
; COMPUTE_PGM_RSRC2:USER_SGPR: 2
; COMPUTE_PGM_RSRC2:TRAP_HANDLER: 0
; COMPUTE_PGM_RSRC2:TGID_X_EN: 1
; COMPUTE_PGM_RSRC2:TGID_Y_EN: 0
; COMPUTE_PGM_RSRC2:TGID_Z_EN: 0
; COMPUTE_PGM_RSRC2:TIDIG_COMP_CNT: 0
	.section	.text._ZN2at6native12_GLOBAL__N_125multi_tensor_apply_kernelINS1_18TensorListMetadataILi2EEENS1_21BinaryOpScalarFunctorIN3c104HalfELi2ELi1ELi1EEEJNS0_7minimumIfEEfEEEvT_T0_DpT1_,"axG",@progbits,_ZN2at6native12_GLOBAL__N_125multi_tensor_apply_kernelINS1_18TensorListMetadataILi2EEENS1_21BinaryOpScalarFunctorIN3c104HalfELi2ELi1ELi1EEEJNS0_7minimumIfEEfEEEvT_T0_DpT1_,comdat
	.globl	_ZN2at6native12_GLOBAL__N_125multi_tensor_apply_kernelINS1_18TensorListMetadataILi2EEENS1_21BinaryOpScalarFunctorIN3c104HalfELi2ELi1ELi1EEEJNS0_7minimumIfEEfEEEvT_T0_DpT1_ ; -- Begin function _ZN2at6native12_GLOBAL__N_125multi_tensor_apply_kernelINS1_18TensorListMetadataILi2EEENS1_21BinaryOpScalarFunctorIN3c104HalfELi2ELi1ELi1EEEJNS0_7minimumIfEEfEEEvT_T0_DpT1_
	.p2align	8
	.type	_ZN2at6native12_GLOBAL__N_125multi_tensor_apply_kernelINS1_18TensorListMetadataILi2EEENS1_21BinaryOpScalarFunctorIN3c104HalfELi2ELi1ELi1EEEJNS0_7minimumIfEEfEEEvT_T0_DpT1_,@function
_ZN2at6native12_GLOBAL__N_125multi_tensor_apply_kernelINS1_18TensorListMetadataILi2EEENS1_21BinaryOpScalarFunctorIN3c104HalfELi2ELi1ELi1EEEJNS0_7minimumIfEEfEEEvT_T0_DpT1_: ; @_ZN2at6native12_GLOBAL__N_125multi_tensor_apply_kernelINS1_18TensorListMetadataILi2EEENS1_21BinaryOpScalarFunctorIN3c104HalfELi2ELi1ELi1EEEJNS0_7minimumIfEEfEEEvT_T0_DpT1_
; %bb.0:
	s_load_u8 s8, s[0:1], ttmp9 offset:0x600
	s_mov_b32 s2, ttmp9
	s_mov_b32 s3, 0
	s_delay_alu instid0(SALU_CYCLE_1)
	s_mul_u64 s[4:5], s[2:3], 3
	s_add_nc_u64 s[6:7], s[0:1], s[2:3]
	s_mov_b32 s15, s3
	s_add_nc_u64 s[4:5], s[6:7], s[4:5]
	s_mov_b32 s17, s3
	s_load_b32 s4, s[4:5], 0x740
	s_wait_kmcnt 0x0
	s_lshl_b32 s2, s8, 3
	s_clause 0x3
	s_load_b64 s[6:7], s[0:1], s2 offset:0x0
	s_load_b64 s[8:9], s[0:1], s2 offset:0x200
	;; [unrolled: 1-line block ×3, first 2 shown]
	s_load_b32 s22, s[0:1], 0xc4c
	s_ashr_i32 s5, s4, 31
	s_delay_alu instid0(SALU_CYCLE_1)
	s_lshl_b64 s[10:11], s[4:5], 17
	s_lshl_b64 s[4:5], s[4:5], 16
	s_wait_kmcnt 0x0
	s_add_nc_u64 s[18:19], s[6:7], s[10:11]
	s_and_b32 s14, s8, 7
	s_and_b32 s16, s12, 3
	;; [unrolled: 1-line block ×3, first 2 shown]
	s_or_b64 s[14:15], s[14:15], s[16:17]
	s_sub_nc_u64 s[12:13], s[12:13], s[4:5]
	s_or_b64 s[2:3], s[14:15], s[2:3]
	s_delay_alu instid0(SALU_CYCLE_1)
	s_cmp_eq_u64 s[2:3], 0
	s_mov_b32 s2, -1
	s_cbranch_scc1 .LBB123_21
; %bb.1:
	v_cmp_lt_i64_e64 s2, s[12:13], 1
	s_and_b32 vcc_lo, exec_lo, s2
	s_cbranch_vccnz .LBB123_20
; %bb.2:
	s_load_b32 s2, s[0:1], 0xc5c
	v_cmp_gt_i64_e64 s3, 0x10000, s[12:13]
	v_dual_mov_b32 v10, 0 :: v_dual_lshlrev_b32 v9, 1, v0
	v_cmp_gt_u64_e64 s4, 0x10000, s[12:13]
	s_cvt_f16_f32 s23, s22
	s_mov_b32 s15, 0
	s_and_b32 s3, s3, exec_lo
	v_add_co_u32 v1, s5, s6, v9
	s_cselect_b32 s17, s13, 0
	s_cselect_b32 s16, s12, 0x10000
	v_add_co_ci_u32_e64 v2, null, s7, 0, s5
	v_add_co_u32 v3, s5, s8, v9
	s_wait_alu 0xf1ff
	v_add_co_ci_u32_e64 v4, null, s9, 0, s5
	s_mov_b64 s[20:21], 0
	s_wait_kmcnt 0x0
	s_and_b32 s2, s2, 0xffff
	s_and_b32 s3, s4, exec_lo
	s_cselect_b32 s19, s13, 0
	s_cselect_b32 s18, s12, 0x10000
	s_mul_i32 s4, s2, 3
	s_lshl_b32 s14, s2, 2
	v_mad_co_u64_u32 v[7:8], null, s2, 6, v[9:10]
	v_add_co_u32 v14, s5, s14, v9
	s_wait_alu 0xfffe
	v_add_co_u32 v9, s4, s4, v0
	s_wait_alu 0xf1ff
	v_add_co_ci_u32_e64 v10, null, 0, 0, s4
	v_add_co_u32 v13, s4, v0, s2
	s_lshl_b32 s3, s2, 1
	v_add_co_u32 v5, vcc_lo, s6, v7
	v_lshlrev_b32_e32 v21, 1, v13
	v_add_co_ci_u32_e64 v15, null, 0, 0, s5
	v_add_co_ci_u32_e64 v6, null, s7, v8, vcc_lo
	v_add_co_u32 v7, vcc_lo, s8, v7
	s_wait_alu 0xfffe
	v_add_co_u32 v17, s3, s3, v0
	s_wait_alu 0xfffd
	v_add_co_ci_u32_e64 v8, null, s9, v8, vcc_lo
	v_add_co_u32 v11, vcc_lo, s6, v14
	s_wait_alu 0xf1ff
	v_add_co_ci_u32_e64 v18, null, 0, 0, s3
	v_add_co_u32 v19, s3, s6, v21
	s_wait_alu 0xfffd
	v_add_co_ci_u32_e64 v12, null, s7, v15, vcc_lo
	v_add_co_u32 v14, vcc_lo, s8, v14
	s_wait_alu 0xf1ff
	v_add_co_ci_u32_e64 v20, null, s7, 0, s3
	v_add_co_u32 v21, s3, s8, v21
	s_wait_alu 0xfffd
	v_add_co_ci_u32_e64 v15, null, s9, v15, vcc_lo
	v_add_co_ci_u32_e64 v16, null, 0, 0, s4
	s_wait_alu 0xf1ff
	v_add_co_ci_u32_e64 v22, null, s9, 0, s3
	s_lshl_b32 s24, s2, 3
	s_branch .LBB123_4
.LBB123_3:                              ;   in Loop: Header=BB123_4 Depth=1
	s_wait_alu 0xfffe
	s_or_b32 exec_lo, exec_lo, s3
	v_add_co_u32 v1, vcc_lo, v1, s24
	s_wait_alu 0xfffd
	v_add_co_ci_u32_e64 v2, null, 0, v2, vcc_lo
	v_add_co_u32 v3, vcc_lo, v3, s24
	s_wait_alu 0xfffd
	v_add_co_ci_u32_e64 v4, null, 0, v4, vcc_lo
	;; [unrolled: 3-line block ×5, first 2 shown]
	v_add_co_u32 v14, vcc_lo, v14, s24
	s_add_nc_u64 s[20:21], s[20:21], s[14:15]
	s_wait_alu 0xfffd
	v_add_co_ci_u32_e64 v15, null, 0, v15, vcc_lo
	v_add_co_u32 v19, vcc_lo, v19, s24
	s_wait_alu 0xfffe
	v_cmp_lt_i64_e64 s2, s[20:21], s[16:17]
	s_wait_alu 0xfffd
	v_add_co_ci_u32_e64 v20, null, 0, v20, vcc_lo
	v_add_co_u32 v21, vcc_lo, v21, s24
	s_wait_alu 0xfffd
	v_add_co_ci_u32_e64 v22, null, 0, v22, vcc_lo
	s_and_b32 vcc_lo, exec_lo, s2
	s_wait_alu 0xfffe
	s_cbranch_vccz .LBB123_20
.LBB123_4:                              ; =>This Inner Loop Header: Depth=1
	s_wait_loadcnt 0x0
	v_add_co_u32 v23, s2, v0, s20
	s_wait_alu 0xf1ff
	v_add_co_ci_u32_e64 v24, null, 0, s21, s2
	s_delay_alu instid0(VALU_DEP_1)
	v_cmp_gt_u64_e32 vcc_lo, s[18:19], v[23:24]
	v_mov_b32_e32 v24, 0
	s_and_saveexec_b32 s3, vcc_lo
	s_cbranch_execz .LBB123_6
; %bb.5:                                ;   in Loop: Header=BB123_4 Depth=1
	v_add_co_u32 v23, s2, v1, s10
	s_wait_alu 0xf1ff
	v_add_co_ci_u32_e64 v24, null, s11, v2, s2
	global_load_u16 v24, v[23:24], off
.LBB123_6:                              ;   in Loop: Header=BB123_4 Depth=1
	s_wait_alu 0xfffe
	s_or_b32 exec_lo, exec_lo, s3
	v_add_co_u32 v25, s2, v13, s20
	s_wait_alu 0xf1ff
	v_add_co_ci_u32_e64 v26, null, s21, v16, s2
	v_mov_b32_e32 v23, 0
	s_delay_alu instid0(VALU_DEP_2)
	v_cmp_gt_u64_e64 s2, s[18:19], v[25:26]
	v_mov_b32_e32 v25, 0
	s_and_saveexec_b32 s4, s2
	s_cbranch_execz .LBB123_8
; %bb.7:                                ;   in Loop: Header=BB123_4 Depth=1
	v_add_co_u32 v25, s3, v19, s10
	s_wait_alu 0xf1ff
	v_add_co_ci_u32_e64 v26, null, s11, v20, s3
	global_load_u16 v25, v[25:26], off
.LBB123_8:                              ;   in Loop: Header=BB123_4 Depth=1
	s_wait_alu 0xfffe
	s_or_b32 exec_lo, exec_lo, s4
	v_add_co_u32 v26, s3, v17, s20
	s_wait_alu 0xf1ff
	v_add_co_ci_u32_e64 v27, null, s21, v18, s3
	s_delay_alu instid0(VALU_DEP_1)
	v_cmp_gt_u64_e64 s3, s[18:19], v[26:27]
	s_and_saveexec_b32 s5, s3
	s_cbranch_execz .LBB123_10
; %bb.9:                                ;   in Loop: Header=BB123_4 Depth=1
	v_add_co_u32 v26, s4, v11, s10
	s_wait_alu 0xf1ff
	v_add_co_ci_u32_e64 v27, null, s11, v12, s4
	global_load_u16 v23, v[26:27], off
.LBB123_10:                             ;   in Loop: Header=BB123_4 Depth=1
	s_wait_alu 0xfffe
	s_or_b32 exec_lo, exec_lo, s5
	v_add_co_u32 v26, s4, v9, s20
	s_wait_alu 0xf1ff
	v_add_co_ci_u32_e64 v27, null, s21, v10, s4
	s_delay_alu instid0(VALU_DEP_1)
	v_cmp_gt_u64_e64 s4, s[18:19], v[26:27]
	v_mov_b32_e32 v26, 0
	s_and_saveexec_b32 s25, s4
	s_cbranch_execnz .LBB123_15
; %bb.11:                               ;   in Loop: Header=BB123_4 Depth=1
	s_wait_alu 0xfffe
	s_or_b32 exec_lo, exec_lo, s25
	s_and_saveexec_b32 s25, vcc_lo
	s_cbranch_execnz .LBB123_16
.LBB123_12:                             ;   in Loop: Header=BB123_4 Depth=1
	s_wait_alu 0xfffe
	s_or_b32 exec_lo, exec_lo, s25
	s_and_saveexec_b32 s5, s2
	s_cbranch_execnz .LBB123_17
.LBB123_13:                             ;   in Loop: Header=BB123_4 Depth=1
	s_wait_alu 0xfffe
	s_or_b32 exec_lo, exec_lo, s5
	s_and_saveexec_b32 s5, s3
	s_cbranch_execnz .LBB123_18
.LBB123_14:                             ;   in Loop: Header=BB123_4 Depth=1
	s_wait_alu 0xfffe
	s_or_b32 exec_lo, exec_lo, s5
	s_and_saveexec_b32 s3, s4
	s_cbranch_execz .LBB123_3
	s_branch .LBB123_19
.LBB123_15:                             ;   in Loop: Header=BB123_4 Depth=1
	v_add_co_u32 v26, s5, v5, s10
	s_wait_alu 0xf1ff
	v_add_co_ci_u32_e64 v27, null, s11, v6, s5
	global_load_u16 v26, v[26:27], off
	s_wait_alu 0xfffe
	s_or_b32 exec_lo, exec_lo, s25
	s_and_saveexec_b32 s25, vcc_lo
	s_cbranch_execz .LBB123_12
.LBB123_16:                             ;   in Loop: Header=BB123_4 Depth=1
	s_wait_loadcnt 0x0
	v_cvt_f32_f16_e32 v27, v24
	v_cmp_u_f16_e32 vcc_lo, v24, v24
	s_delay_alu instid0(VALU_DEP_2)
	v_cmp_gt_f32_e64 s5, s22, v27
	s_or_b32 vcc_lo, vcc_lo, s5
	s_wait_alu 0xfffe
	v_cndmask_b32_e32 v24, s23, v24, vcc_lo
	v_add_co_u32 v27, vcc_lo, v3, s10
	s_wait_alu 0xfffd
	v_add_co_ci_u32_e64 v28, null, s11, v4, vcc_lo
	global_store_b16 v[27:28], v24, off
	s_or_b32 exec_lo, exec_lo, s25
	s_and_saveexec_b32 s5, s2
	s_cbranch_execz .LBB123_13
.LBB123_17:                             ;   in Loop: Header=BB123_4 Depth=1
	s_wait_loadcnt 0x0
	v_cvt_f32_f16_e32 v24, v25
	v_cmp_u_f16_e32 vcc_lo, v25, v25
	s_delay_alu instid0(VALU_DEP_2)
	v_cmp_gt_f32_e64 s2, s22, v24
	s_or_b32 vcc_lo, vcc_lo, s2
	s_wait_alu 0xfffe
	v_cndmask_b32_e32 v27, s23, v25, vcc_lo
	v_add_co_u32 v24, vcc_lo, v21, s10
	s_wait_alu 0xfffd
	v_add_co_ci_u32_e64 v25, null, s11, v22, vcc_lo
	global_store_b16 v[24:25], v27, off
	s_or_b32 exec_lo, exec_lo, s5
	s_and_saveexec_b32 s5, s3
	s_cbranch_execz .LBB123_14
.LBB123_18:                             ;   in Loop: Header=BB123_4 Depth=1
	s_wait_loadcnt 0x0
	v_cvt_f32_f16_e32 v24, v23
	v_cmp_u_f16_e32 vcc_lo, v23, v23
	s_delay_alu instid0(VALU_DEP_2)
	v_cmp_gt_f32_e64 s2, s22, v24
	s_or_b32 vcc_lo, vcc_lo, s2
	s_wait_alu 0xfffe
	v_cndmask_b32_e32 v25, s23, v23, vcc_lo
	v_add_co_u32 v23, vcc_lo, v14, s10
	s_wait_alu 0xfffd
	v_add_co_ci_u32_e64 v24, null, s11, v15, vcc_lo
	global_store_b16 v[23:24], v25, off
	s_or_b32 exec_lo, exec_lo, s5
	s_and_saveexec_b32 s3, s4
	s_cbranch_execz .LBB123_3
.LBB123_19:                             ;   in Loop: Header=BB123_4 Depth=1
	s_wait_loadcnt 0x0
	v_cvt_f32_f16_e32 v23, v26
	v_cmp_u_f16_e32 vcc_lo, v26, v26
	s_delay_alu instid0(VALU_DEP_2)
	v_cmp_gt_f32_e64 s2, s22, v23
	s_or_b32 vcc_lo, vcc_lo, s2
	s_wait_alu 0xfffe
	v_cndmask_b32_e32 v25, s23, v26, vcc_lo
	v_add_co_u32 v23, vcc_lo, v7, s10
	s_wait_alu 0xfffd
	v_add_co_ci_u32_e64 v24, null, s11, v8, vcc_lo
	global_store_b16 v[23:24], v25, off
	s_branch .LBB123_3
.LBB123_20:
	s_mov_b32 s2, 0
.LBB123_21:
	s_wait_alu 0xfffe
	s_and_not1_b32 vcc_lo, exec_lo, s2
	s_wait_alu 0xfffe
	s_cbranch_vccnz .LBB123_25
; %bb.22:
	v_cmp_gt_i64_e64 s2, 0x10000, s[12:13]
	v_dual_mov_b32 v2, 0 :: v_dual_lshlrev_b32 v1, 2, v0
	s_mov_b32 s14, 0
	s_and_b32 s2, s2, exec_lo
	s_cselect_b32 s13, s13, 0
	s_cselect_b32 s12, s12, 0x10000
	s_mov_b32 s2, exec_lo
	s_wait_alu 0xfffe
	v_cmpx_gt_i64_e64 s[12:13], v[1:2]
	s_cbranch_execz .LBB123_25
; %bb.23:
	s_load_b32 s0, s[0:1], 0xc5c
	v_lshlrev_b32_e32 v3, 3, v0
	s_cvt_f16_f32 s15, s22
	v_mov_b32_e32 v1, v2
	s_mov_b32 s16, s22
	s_delay_alu instid0(VALU_DEP_2) | instskip(NEXT) | instid1(VALU_DEP_1)
	v_add_co_u32 v2, s1, s10, v3
	v_add_co_ci_u32_e64 v3, null, s11, 0, s1
	s_wait_alu 0xfffe
	s_pack_ll_b32_b16 s11, s15, s15
	s_wait_alu 0xfffe
	s_lshr_b32 s18, s11, 16
	s_wait_kmcnt 0x0
	s_and_b32 s10, s0, 0xffff
	s_wait_alu 0xfffe
	s_lshl_b32 s17, s10, 3
.LBB123_24:                             ; =>This Inner Loop Header: Depth=1
	v_add_co_u32 v4, vcc_lo, s6, v2
	s_wait_alu 0xfffd
	v_add_co_ci_u32_e64 v5, null, s7, v3, vcc_lo
	v_add_co_u32 v0, vcc_lo, v0, s10
	s_wait_alu 0xfffd
	v_add_co_ci_u32_e64 v1, null, 0, v1, vcc_lo
	global_load_b64 v[4:5], v[4:5], off
	v_add_co_u32 v6, vcc_lo, s8, v2
	s_wait_alu 0xfffd
	v_add_co_ci_u32_e64 v7, null, s9, v3, vcc_lo
	v_lshlrev_b64_e32 v[8:9], 2, v[0:1]
	s_wait_loadcnt 0x0
	v_cvt_f32_f16_e32 v10, v4
	v_lshrrev_b32_e32 v11, 16, v5
	v_lshrrev_b32_e32 v12, 16, v4
	v_cmp_u_f16_e32 vcc_lo, v4, v4
	v_cvt_f32_f16_e32 v13, v5
	v_cmp_gt_f32_e64 s1, s22, v10
	v_cvt_f32_f16_e32 v10, v11
	v_cvt_f32_f16_e32 v14, v12
	v_cmp_u_f16_e64 s0, v5, v5
	v_cmp_gt_f32_e64 s4, s16, v13
	s_or_b32 vcc_lo, vcc_lo, s1
	v_cmp_u_f16_e64 s2, v11, v11
	v_cmp_u_f16_e64 s3, v12, v12
	v_cmp_gt_f32_e64 s5, s22, v10
	s_wait_alu 0xfffe
	v_cndmask_b32_e32 v4, s15, v4, vcc_lo
	v_cmp_gt_f32_e32 vcc_lo, s22, v14
	s_or_b32 s0, s0, s4
	s_wait_alu 0xfffe
	v_cndmask_b32_e64 v5, s18, v5, s0
	s_or_b32 s0, s2, s5
	s_or_b32 vcc_lo, s3, vcc_lo
	s_wait_alu 0xfffe
	v_cndmask_b32_e64 v10, s15, v11, s0
	v_cndmask_b32_e32 v11, s11, v12, vcc_lo
	v_cmp_le_i64_e64 s0, s[12:13], v[8:9]
	v_add_co_u32 v2, vcc_lo, v2, s17
	s_delay_alu instid0(VALU_DEP_4) | instskip(NEXT) | instid1(VALU_DEP_4)
	v_perm_b32 v5, v10, v5, 0x5040100
	v_perm_b32 v4, v11, v4, 0x5040100
	s_wait_alu 0xfffd
	v_add_co_ci_u32_e64 v3, null, 0, v3, vcc_lo
	s_or_b32 s14, s0, s14
	global_store_b64 v[6:7], v[4:5], off
	s_wait_alu 0xfffe
	s_and_not1_b32 exec_lo, exec_lo, s14
	s_cbranch_execnz .LBB123_24
.LBB123_25:
	s_endpgm
	.section	.rodata,"a",@progbits
	.p2align	6, 0x0
	.amdhsa_kernel _ZN2at6native12_GLOBAL__N_125multi_tensor_apply_kernelINS1_18TensorListMetadataILi2EEENS1_21BinaryOpScalarFunctorIN3c104HalfELi2ELi1ELi1EEEJNS0_7minimumIfEEfEEEvT_T0_DpT1_
		.amdhsa_group_segment_fixed_size 0
		.amdhsa_private_segment_fixed_size 0
		.amdhsa_kernarg_size 3408
		.amdhsa_user_sgpr_count 2
		.amdhsa_user_sgpr_dispatch_ptr 0
		.amdhsa_user_sgpr_queue_ptr 0
		.amdhsa_user_sgpr_kernarg_segment_ptr 1
		.amdhsa_user_sgpr_dispatch_id 0
		.amdhsa_user_sgpr_private_segment_size 0
		.amdhsa_wavefront_size32 1
		.amdhsa_uses_dynamic_stack 0
		.amdhsa_enable_private_segment 0
		.amdhsa_system_sgpr_workgroup_id_x 1
		.amdhsa_system_sgpr_workgroup_id_y 0
		.amdhsa_system_sgpr_workgroup_id_z 0
		.amdhsa_system_sgpr_workgroup_info 0
		.amdhsa_system_vgpr_workitem_id 0
		.amdhsa_next_free_vgpr 29
		.amdhsa_next_free_sgpr 26
		.amdhsa_reserve_vcc 1
		.amdhsa_float_round_mode_32 0
		.amdhsa_float_round_mode_16_64 0
		.amdhsa_float_denorm_mode_32 3
		.amdhsa_float_denorm_mode_16_64 3
		.amdhsa_fp16_overflow 0
		.amdhsa_workgroup_processor_mode 1
		.amdhsa_memory_ordered 1
		.amdhsa_forward_progress 1
		.amdhsa_inst_pref_size 15
		.amdhsa_round_robin_scheduling 0
		.amdhsa_exception_fp_ieee_invalid_op 0
		.amdhsa_exception_fp_denorm_src 0
		.amdhsa_exception_fp_ieee_div_zero 0
		.amdhsa_exception_fp_ieee_overflow 0
		.amdhsa_exception_fp_ieee_underflow 0
		.amdhsa_exception_fp_ieee_inexact 0
		.amdhsa_exception_int_div_zero 0
	.end_amdhsa_kernel
	.section	.text._ZN2at6native12_GLOBAL__N_125multi_tensor_apply_kernelINS1_18TensorListMetadataILi2EEENS1_21BinaryOpScalarFunctorIN3c104HalfELi2ELi1ELi1EEEJNS0_7minimumIfEEfEEEvT_T0_DpT1_,"axG",@progbits,_ZN2at6native12_GLOBAL__N_125multi_tensor_apply_kernelINS1_18TensorListMetadataILi2EEENS1_21BinaryOpScalarFunctorIN3c104HalfELi2ELi1ELi1EEEJNS0_7minimumIfEEfEEEvT_T0_DpT1_,comdat
.Lfunc_end123:
	.size	_ZN2at6native12_GLOBAL__N_125multi_tensor_apply_kernelINS1_18TensorListMetadataILi2EEENS1_21BinaryOpScalarFunctorIN3c104HalfELi2ELi1ELi1EEEJNS0_7minimumIfEEfEEEvT_T0_DpT1_, .Lfunc_end123-_ZN2at6native12_GLOBAL__N_125multi_tensor_apply_kernelINS1_18TensorListMetadataILi2EEENS1_21BinaryOpScalarFunctorIN3c104HalfELi2ELi1ELi1EEEJNS0_7minimumIfEEfEEEvT_T0_DpT1_
                                        ; -- End function
	.set _ZN2at6native12_GLOBAL__N_125multi_tensor_apply_kernelINS1_18TensorListMetadataILi2EEENS1_21BinaryOpScalarFunctorIN3c104HalfELi2ELi1ELi1EEEJNS0_7minimumIfEEfEEEvT_T0_DpT1_.num_vgpr, 29
	.set _ZN2at6native12_GLOBAL__N_125multi_tensor_apply_kernelINS1_18TensorListMetadataILi2EEENS1_21BinaryOpScalarFunctorIN3c104HalfELi2ELi1ELi1EEEJNS0_7minimumIfEEfEEEvT_T0_DpT1_.num_agpr, 0
	.set _ZN2at6native12_GLOBAL__N_125multi_tensor_apply_kernelINS1_18TensorListMetadataILi2EEENS1_21BinaryOpScalarFunctorIN3c104HalfELi2ELi1ELi1EEEJNS0_7minimumIfEEfEEEvT_T0_DpT1_.numbered_sgpr, 26
	.set _ZN2at6native12_GLOBAL__N_125multi_tensor_apply_kernelINS1_18TensorListMetadataILi2EEENS1_21BinaryOpScalarFunctorIN3c104HalfELi2ELi1ELi1EEEJNS0_7minimumIfEEfEEEvT_T0_DpT1_.num_named_barrier, 0
	.set _ZN2at6native12_GLOBAL__N_125multi_tensor_apply_kernelINS1_18TensorListMetadataILi2EEENS1_21BinaryOpScalarFunctorIN3c104HalfELi2ELi1ELi1EEEJNS0_7minimumIfEEfEEEvT_T0_DpT1_.private_seg_size, 0
	.set _ZN2at6native12_GLOBAL__N_125multi_tensor_apply_kernelINS1_18TensorListMetadataILi2EEENS1_21BinaryOpScalarFunctorIN3c104HalfELi2ELi1ELi1EEEJNS0_7minimumIfEEfEEEvT_T0_DpT1_.uses_vcc, 1
	.set _ZN2at6native12_GLOBAL__N_125multi_tensor_apply_kernelINS1_18TensorListMetadataILi2EEENS1_21BinaryOpScalarFunctorIN3c104HalfELi2ELi1ELi1EEEJNS0_7minimumIfEEfEEEvT_T0_DpT1_.uses_flat_scratch, 0
	.set _ZN2at6native12_GLOBAL__N_125multi_tensor_apply_kernelINS1_18TensorListMetadataILi2EEENS1_21BinaryOpScalarFunctorIN3c104HalfELi2ELi1ELi1EEEJNS0_7minimumIfEEfEEEvT_T0_DpT1_.has_dyn_sized_stack, 0
	.set _ZN2at6native12_GLOBAL__N_125multi_tensor_apply_kernelINS1_18TensorListMetadataILi2EEENS1_21BinaryOpScalarFunctorIN3c104HalfELi2ELi1ELi1EEEJNS0_7minimumIfEEfEEEvT_T0_DpT1_.has_recursion, 0
	.set _ZN2at6native12_GLOBAL__N_125multi_tensor_apply_kernelINS1_18TensorListMetadataILi2EEENS1_21BinaryOpScalarFunctorIN3c104HalfELi2ELi1ELi1EEEJNS0_7minimumIfEEfEEEvT_T0_DpT1_.has_indirect_call, 0
	.section	.AMDGPU.csdata,"",@progbits
; Kernel info:
; codeLenInByte = 1912
; TotalNumSgprs: 28
; NumVgprs: 29
; ScratchSize: 0
; MemoryBound: 0
; FloatMode: 240
; IeeeMode: 1
; LDSByteSize: 0 bytes/workgroup (compile time only)
; SGPRBlocks: 0
; VGPRBlocks: 3
; NumSGPRsForWavesPerEU: 28
; NumVGPRsForWavesPerEU: 29
; Occupancy: 16
; WaveLimiterHint : 0
; COMPUTE_PGM_RSRC2:SCRATCH_EN: 0
; COMPUTE_PGM_RSRC2:USER_SGPR: 2
; COMPUTE_PGM_RSRC2:TRAP_HANDLER: 0
; COMPUTE_PGM_RSRC2:TGID_X_EN: 1
; COMPUTE_PGM_RSRC2:TGID_Y_EN: 0
; COMPUTE_PGM_RSRC2:TGID_Z_EN: 0
; COMPUTE_PGM_RSRC2:TIDIG_COMP_CNT: 0
	.section	.text._ZN2at6native12_GLOBAL__N_125multi_tensor_apply_kernelINS1_18TensorListMetadataILi2EEENS1_21BinaryOpScalarFunctorIN3c108BFloat16ELi2ELi1ELi1EEEJNS0_7minimumIfEEfEEEvT_T0_DpT1_,"axG",@progbits,_ZN2at6native12_GLOBAL__N_125multi_tensor_apply_kernelINS1_18TensorListMetadataILi2EEENS1_21BinaryOpScalarFunctorIN3c108BFloat16ELi2ELi1ELi1EEEJNS0_7minimumIfEEfEEEvT_T0_DpT1_,comdat
	.globl	_ZN2at6native12_GLOBAL__N_125multi_tensor_apply_kernelINS1_18TensorListMetadataILi2EEENS1_21BinaryOpScalarFunctorIN3c108BFloat16ELi2ELi1ELi1EEEJNS0_7minimumIfEEfEEEvT_T0_DpT1_ ; -- Begin function _ZN2at6native12_GLOBAL__N_125multi_tensor_apply_kernelINS1_18TensorListMetadataILi2EEENS1_21BinaryOpScalarFunctorIN3c108BFloat16ELi2ELi1ELi1EEEJNS0_7minimumIfEEfEEEvT_T0_DpT1_
	.p2align	8
	.type	_ZN2at6native12_GLOBAL__N_125multi_tensor_apply_kernelINS1_18TensorListMetadataILi2EEENS1_21BinaryOpScalarFunctorIN3c108BFloat16ELi2ELi1ELi1EEEJNS0_7minimumIfEEfEEEvT_T0_DpT1_,@function
_ZN2at6native12_GLOBAL__N_125multi_tensor_apply_kernelINS1_18TensorListMetadataILi2EEENS1_21BinaryOpScalarFunctorIN3c108BFloat16ELi2ELi1ELi1EEEJNS0_7minimumIfEEfEEEvT_T0_DpT1_: ; @_ZN2at6native12_GLOBAL__N_125multi_tensor_apply_kernelINS1_18TensorListMetadataILi2EEENS1_21BinaryOpScalarFunctorIN3c108BFloat16ELi2ELi1ELi1EEEJNS0_7minimumIfEEfEEEvT_T0_DpT1_
; %bb.0:
	s_load_u8 s8, s[0:1], ttmp9 offset:0x600
	s_mov_b32 s2, ttmp9
	s_mov_b32 s3, 0
	s_delay_alu instid0(SALU_CYCLE_1)
	s_mul_u64 s[4:5], s[2:3], 3
	s_add_nc_u64 s[6:7], s[0:1], s[2:3]
	s_mov_b32 s15, s3
	s_add_nc_u64 s[4:5], s[6:7], s[4:5]
	s_mov_b32 s17, s3
	s_load_b32 s4, s[4:5], 0x740
	s_wait_kmcnt 0x0
	s_lshl_b32 s2, s8, 3
	s_clause 0x3
	s_load_b64 s[6:7], s[0:1], s2 offset:0x0
	s_load_b64 s[8:9], s[0:1], s2 offset:0x200
	;; [unrolled: 1-line block ×3, first 2 shown]
	s_load_b32 s22, s[0:1], 0xc4c
	s_ashr_i32 s5, s4, 31
	s_delay_alu instid0(SALU_CYCLE_1)
	s_lshl_b64 s[10:11], s[4:5], 17
	s_lshl_b64 s[4:5], s[4:5], 16
	s_wait_kmcnt 0x0
	s_add_nc_u64 s[18:19], s[6:7], s[10:11]
	s_and_b32 s14, s8, 7
	s_and_b32 s16, s12, 3
	s_and_b32 s2, s18, 7
	s_or_b64 s[14:15], s[14:15], s[16:17]
	s_sub_nc_u64 s[12:13], s[12:13], s[4:5]
	s_or_b64 s[2:3], s[14:15], s[2:3]
	s_delay_alu instid0(SALU_CYCLE_1)
	s_cmp_eq_u64 s[2:3], 0
	s_mov_b32 s2, -1
	s_cbranch_scc1 .LBB124_21
; %bb.1:
	v_cmp_lt_i64_e64 s2, s[12:13], 1
	s_and_b32 vcc_lo, exec_lo, s2
	s_cbranch_vccnz .LBB124_20
; %bb.2:
	s_load_b32 s2, s[0:1], 0xc5c
	v_cmp_gt_i64_e64 s3, 0x10000, s[12:13]
	v_dual_mov_b32 v10, 0 :: v_dual_lshlrev_b32 v9, 1, v0
	v_cmp_gt_u64_e64 s4, 0x10000, s[12:13]
	s_mov_b32 s19, 0
	s_mov_b64 s[20:21], 0
	s_and_b32 s3, s3, exec_lo
	v_add_co_u32 v1, s5, s6, v9
	s_cselect_b32 s15, s13, 0
	s_cselect_b32 s14, s12, 0x10000
	v_add_co_ci_u32_e64 v2, null, s7, 0, s5
	v_add_co_u32 v3, s5, s8, v9
	s_wait_alu 0xf1ff
	v_add_co_ci_u32_e64 v4, null, s9, 0, s5
	s_wait_kmcnt 0x0
	s_and_b32 s2, s2, 0xffff
	s_and_b32 s3, s4, exec_lo
	s_cselect_b32 s17, s13, 0
	s_cselect_b32 s16, s12, 0x10000
	s_mul_i32 s4, s2, 3
	s_lshl_b32 s18, s2, 2
	v_mad_co_u64_u32 v[7:8], null, s2, 6, v[9:10]
	v_add_co_u32 v14, s5, s18, v9
	s_wait_alu 0xfffe
	v_add_co_u32 v9, s4, s4, v0
	s_wait_alu 0xf1ff
	v_add_co_ci_u32_e64 v10, null, 0, 0, s4
	v_add_co_u32 v13, s4, v0, s2
	s_lshl_b32 s3, s2, 1
	v_add_co_u32 v5, vcc_lo, s6, v7
	v_lshlrev_b32_e32 v21, 1, v13
	v_add_co_ci_u32_e64 v15, null, 0, 0, s5
	v_add_co_ci_u32_e64 v6, null, s7, v8, vcc_lo
	v_add_co_u32 v7, vcc_lo, s8, v7
	s_wait_alu 0xfffe
	v_add_co_u32 v17, s3, s3, v0
	s_wait_alu 0xfffd
	v_add_co_ci_u32_e64 v8, null, s9, v8, vcc_lo
	v_add_co_u32 v11, vcc_lo, s6, v14
	s_wait_alu 0xf1ff
	v_add_co_ci_u32_e64 v18, null, 0, 0, s3
	v_add_co_u32 v19, s3, s6, v21
	s_wait_alu 0xfffd
	v_add_co_ci_u32_e64 v12, null, s7, v15, vcc_lo
	v_add_co_u32 v14, vcc_lo, s8, v14
	s_wait_alu 0xf1ff
	v_add_co_ci_u32_e64 v20, null, s7, 0, s3
	v_add_co_u32 v21, s3, s8, v21
	s_wait_alu 0xfffd
	v_add_co_ci_u32_e64 v15, null, s9, v15, vcc_lo
	v_add_co_ci_u32_e64 v16, null, 0, 0, s4
	s_wait_alu 0xf1ff
	v_add_co_ci_u32_e64 v22, null, s9, 0, s3
	s_lshl_b32 s23, s2, 3
	s_branch .LBB124_4
.LBB124_3:                              ;   in Loop: Header=BB124_4 Depth=1
	s_wait_alu 0xfffe
	s_or_b32 exec_lo, exec_lo, s4
	v_add_co_u32 v1, vcc_lo, v1, s23
	s_wait_alu 0xfffd
	v_add_co_ci_u32_e64 v2, null, 0, v2, vcc_lo
	v_add_co_u32 v3, vcc_lo, v3, s23
	s_wait_alu 0xfffd
	v_add_co_ci_u32_e64 v4, null, 0, v4, vcc_lo
	;; [unrolled: 3-line block ×5, first 2 shown]
	v_add_co_u32 v14, vcc_lo, v14, s23
	s_add_nc_u64 s[20:21], s[20:21], s[18:19]
	s_wait_alu 0xfffd
	v_add_co_ci_u32_e64 v15, null, 0, v15, vcc_lo
	v_add_co_u32 v19, vcc_lo, v19, s23
	s_wait_alu 0xfffe
	v_cmp_lt_i64_e64 s2, s[20:21], s[14:15]
	s_wait_alu 0xfffd
	v_add_co_ci_u32_e64 v20, null, 0, v20, vcc_lo
	v_add_co_u32 v21, vcc_lo, v21, s23
	s_wait_alu 0xfffd
	v_add_co_ci_u32_e64 v22, null, 0, v22, vcc_lo
	s_and_b32 vcc_lo, exec_lo, s2
	s_wait_alu 0xfffe
	s_cbranch_vccz .LBB124_20
.LBB124_4:                              ; =>This Inner Loop Header: Depth=1
	v_add_co_u32 v23, s2, v0, s20
	s_wait_alu 0xf1ff
	v_add_co_ci_u32_e64 v24, null, 0, s21, s2
	s_delay_alu instid0(VALU_DEP_1)
	v_cmp_gt_u64_e64 s4, s[16:17], v[23:24]
	v_mov_b32_e32 v24, 0
	s_and_saveexec_b32 s2, s4
	s_cbranch_execz .LBB124_6
; %bb.5:                                ;   in Loop: Header=BB124_4 Depth=1
	v_add_co_u32 v23, vcc_lo, v1, s10
	s_wait_alu 0xfffd
	v_add_co_ci_u32_e64 v24, null, s11, v2, vcc_lo
	global_load_u16 v23, v[23:24], off
	s_wait_loadcnt 0x0
	v_lshlrev_b32_e32 v24, 16, v23
.LBB124_6:                              ;   in Loop: Header=BB124_4 Depth=1
	s_wait_alu 0xfffe
	s_or_b32 exec_lo, exec_lo, s2
	v_add_co_u32 v25, vcc_lo, v13, s20
	s_wait_alu 0xfffd
	v_add_co_ci_u32_e64 v26, null, s21, v16, vcc_lo
	v_mov_b32_e32 v23, 0
	s_delay_alu instid0(VALU_DEP_2)
	v_cmp_gt_u64_e32 vcc_lo, s[16:17], v[25:26]
	v_mov_b32_e32 v25, 0
	s_and_saveexec_b32 s3, vcc_lo
	s_cbranch_execz .LBB124_8
; %bb.7:                                ;   in Loop: Header=BB124_4 Depth=1
	v_add_co_u32 v25, s2, v19, s10
	s_wait_alu 0xf1ff
	v_add_co_ci_u32_e64 v26, null, s11, v20, s2
	global_load_u16 v25, v[25:26], off
	s_wait_loadcnt 0x0
	v_lshlrev_b32_e32 v25, 16, v25
.LBB124_8:                              ;   in Loop: Header=BB124_4 Depth=1
	s_wait_alu 0xfffe
	s_or_b32 exec_lo, exec_lo, s3
	v_add_co_u32 v26, s2, v17, s20
	s_wait_alu 0xf1ff
	v_add_co_ci_u32_e64 v27, null, s21, v18, s2
	s_delay_alu instid0(VALU_DEP_1)
	v_cmp_gt_u64_e64 s2, s[16:17], v[26:27]
	s_and_saveexec_b32 s5, s2
	s_cbranch_execz .LBB124_10
; %bb.9:                                ;   in Loop: Header=BB124_4 Depth=1
	v_add_co_u32 v26, s3, v11, s10
	s_wait_alu 0xf1ff
	v_add_co_ci_u32_e64 v27, null, s11, v12, s3
	global_load_u16 v23, v[26:27], off
	s_wait_loadcnt 0x0
	v_lshlrev_b32_e32 v23, 16, v23
.LBB124_10:                             ;   in Loop: Header=BB124_4 Depth=1
	s_wait_alu 0xfffe
	s_or_b32 exec_lo, exec_lo, s5
	v_add_co_u32 v26, s3, v9, s20
	s_wait_alu 0xf1ff
	v_add_co_ci_u32_e64 v27, null, s21, v10, s3
	s_delay_alu instid0(VALU_DEP_1)
	v_cmp_gt_u64_e64 s3, s[16:17], v[26:27]
	v_mov_b32_e32 v26, 0
	s_and_saveexec_b32 s24, s3
	s_cbranch_execnz .LBB124_15
; %bb.11:                               ;   in Loop: Header=BB124_4 Depth=1
	s_or_b32 exec_lo, exec_lo, s24
	s_and_saveexec_b32 s24, s4
	s_cbranch_execnz .LBB124_16
.LBB124_12:                             ;   in Loop: Header=BB124_4 Depth=1
	s_or_b32 exec_lo, exec_lo, s24
	s_and_saveexec_b32 s5, vcc_lo
	s_cbranch_execnz .LBB124_17
.LBB124_13:                             ;   in Loop: Header=BB124_4 Depth=1
	s_wait_alu 0xfffe
	s_or_b32 exec_lo, exec_lo, s5
	s_and_saveexec_b32 s4, s2
	s_cbranch_execnz .LBB124_18
.LBB124_14:                             ;   in Loop: Header=BB124_4 Depth=1
	s_wait_alu 0xfffe
	s_or_b32 exec_lo, exec_lo, s4
	s_and_saveexec_b32 s4, s3
	s_cbranch_execz .LBB124_3
	s_branch .LBB124_19
.LBB124_15:                             ;   in Loop: Header=BB124_4 Depth=1
	v_add_co_u32 v26, s5, v5, s10
	s_wait_alu 0xf1ff
	v_add_co_ci_u32_e64 v27, null, s11, v6, s5
	global_load_u16 v26, v[26:27], off
	s_wait_loadcnt 0x0
	v_lshlrev_b32_e32 v26, 16, v26
	s_or_b32 exec_lo, exec_lo, s24
	s_and_saveexec_b32 s24, s4
	s_cbranch_execz .LBB124_12
.LBB124_16:                             ;   in Loop: Header=BB124_4 Depth=1
	v_cmp_u_f32_e64 s4, v24, v24
	v_cmp_gt_f32_e64 s5, s22, v24
	s_or_b32 s4, s4, s5
	s_wait_alu 0xfffe
	v_cndmask_b32_e64 v24, s22, v24, s4
	s_delay_alu instid0(VALU_DEP_1) | instskip(NEXT) | instid1(VALU_DEP_1)
	v_bfe_u32 v27, v24, 16, 1
	v_add3_u32 v27, v24, v27, 0x7fff
	s_delay_alu instid0(VALU_DEP_1)
	v_lshrrev_b32_e32 v29, 16, v27
	v_add_co_u32 v27, s4, v3, s10
	s_wait_alu 0xf1ff
	v_add_co_ci_u32_e64 v28, null, s11, v4, s4
	v_cmp_o_f32_e64 s4, v24, v24
	s_wait_alu 0xf1ff
	s_delay_alu instid0(VALU_DEP_1)
	v_cndmask_b32_e64 v24, 0x7fc0, v29, s4
	global_store_b16 v[27:28], v24, off
	s_or_b32 exec_lo, exec_lo, s24
	s_and_saveexec_b32 s5, vcc_lo
	s_cbranch_execz .LBB124_13
.LBB124_17:                             ;   in Loop: Header=BB124_4 Depth=1
	v_cmp_u_f32_e32 vcc_lo, v25, v25
	v_cmp_gt_f32_e64 s4, s22, v25
	s_or_b32 vcc_lo, vcc_lo, s4
	s_wait_alu 0xfffe
	v_cndmask_b32_e32 v24, s22, v25, vcc_lo
	s_delay_alu instid0(VALU_DEP_1) | instskip(SKIP_1) | instid1(VALU_DEP_2)
	v_bfe_u32 v25, v24, 16, 1
	v_cmp_o_f32_e32 vcc_lo, v24, v24
	v_add3_u32 v25, v24, v25, 0x7fff
	s_delay_alu instid0(VALU_DEP_1) | instskip(SKIP_1) | instid1(VALU_DEP_1)
	v_lshrrev_b32_e32 v25, 16, v25
	s_wait_alu 0xfffd
	v_cndmask_b32_e32 v27, 0x7fc0, v25, vcc_lo
	v_add_co_u32 v24, vcc_lo, v21, s10
	s_wait_alu 0xfffd
	v_add_co_ci_u32_e64 v25, null, s11, v22, vcc_lo
	global_store_b16 v[24:25], v27, off
	s_or_b32 exec_lo, exec_lo, s5
	s_and_saveexec_b32 s4, s2
	s_cbranch_execz .LBB124_14
.LBB124_18:                             ;   in Loop: Header=BB124_4 Depth=1
	v_cmp_u_f32_e32 vcc_lo, v23, v23
	v_cmp_gt_f32_e64 s2, s22, v23
	s_or_b32 vcc_lo, vcc_lo, s2
	s_wait_alu 0xfffe
	v_cndmask_b32_e32 v23, s22, v23, vcc_lo
	s_delay_alu instid0(VALU_DEP_1) | instskip(SKIP_1) | instid1(VALU_DEP_2)
	v_bfe_u32 v24, v23, 16, 1
	v_cmp_o_f32_e32 vcc_lo, v23, v23
	v_add3_u32 v24, v23, v24, 0x7fff
	s_delay_alu instid0(VALU_DEP_1) | instskip(SKIP_1) | instid1(VALU_DEP_1)
	v_lshrrev_b32_e32 v24, 16, v24
	s_wait_alu 0xfffd
	v_cndmask_b32_e32 v25, 0x7fc0, v24, vcc_lo
	v_add_co_u32 v23, vcc_lo, v14, s10
	s_wait_alu 0xfffd
	v_add_co_ci_u32_e64 v24, null, s11, v15, vcc_lo
	global_store_b16 v[23:24], v25, off
	s_or_b32 exec_lo, exec_lo, s4
	s_and_saveexec_b32 s4, s3
	s_cbranch_execz .LBB124_3
.LBB124_19:                             ;   in Loop: Header=BB124_4 Depth=1
	v_cmp_u_f32_e32 vcc_lo, v26, v26
	v_cmp_gt_f32_e64 s2, s22, v26
	s_or_b32 vcc_lo, vcc_lo, s2
	s_wait_alu 0xfffe
	v_cndmask_b32_e32 v23, s22, v26, vcc_lo
	s_delay_alu instid0(VALU_DEP_1) | instskip(SKIP_1) | instid1(VALU_DEP_2)
	v_bfe_u32 v24, v23, 16, 1
	v_cmp_o_f32_e32 vcc_lo, v23, v23
	v_add3_u32 v24, v23, v24, 0x7fff
	s_delay_alu instid0(VALU_DEP_1) | instskip(SKIP_1) | instid1(VALU_DEP_1)
	v_lshrrev_b32_e32 v24, 16, v24
	s_wait_alu 0xfffd
	v_cndmask_b32_e32 v25, 0x7fc0, v24, vcc_lo
	v_add_co_u32 v23, vcc_lo, v7, s10
	s_wait_alu 0xfffd
	v_add_co_ci_u32_e64 v24, null, s11, v8, vcc_lo
	global_store_b16 v[23:24], v25, off
	s_branch .LBB124_3
.LBB124_20:
	s_mov_b32 s2, 0
.LBB124_21:
	s_wait_alu 0xfffe
	s_and_not1_b32 vcc_lo, exec_lo, s2
	s_wait_alu 0xfffe
	s_cbranch_vccnz .LBB124_25
; %bb.22:
	v_cmp_gt_i64_e64 s2, 0x10000, s[12:13]
	v_dual_mov_b32 v2, 0 :: v_dual_lshlrev_b32 v1, 2, v0
	s_mov_b32 s5, 0
	s_and_b32 s2, s2, exec_lo
	s_cselect_b32 s13, s13, 0
	s_cselect_b32 s12, s12, 0x10000
	s_mov_b32 s2, exec_lo
	s_wait_alu 0xfffe
	v_cmpx_gt_i64_e64 s[12:13], v[1:2]
	s_cbranch_execz .LBB124_25
; %bb.23:
	s_load_b32 s0, s[0:1], 0xc5c
	v_lshlrev_b32_e32 v3, 3, v0
	v_mov_b32_e32 v1, v2
	s_delay_alu instid0(VALU_DEP_2) | instskip(NEXT) | instid1(VALU_DEP_1)
	v_add_co_u32 v2, s1, s10, v3
	v_add_co_ci_u32_e64 v3, null, s11, 0, s1
	s_wait_kmcnt 0x0
	s_and_b32 s10, s0, 0xffff
	s_wait_alu 0xfffe
	s_lshl_b32 s11, s10, 3
.LBB124_24:                             ; =>This Inner Loop Header: Depth=1
	v_add_co_u32 v4, vcc_lo, s6, v2
	s_wait_alu 0xfffd
	v_add_co_ci_u32_e64 v5, null, s7, v3, vcc_lo
	v_add_co_u32 v0, vcc_lo, v0, s10
	s_wait_alu 0xfffd
	v_add_co_ci_u32_e64 v1, null, 0, v1, vcc_lo
	global_load_b64 v[4:5], v[4:5], off
	v_add_co_u32 v6, vcc_lo, s8, v2
	s_wait_alu 0xfffd
	v_add_co_ci_u32_e64 v7, null, s9, v3, vcc_lo
	v_lshlrev_b64_e32 v[8:9], 2, v[0:1]
	s_wait_loadcnt 0x0
	v_and_b32_e32 v11, 0xffff0000, v4
	v_lshlrev_b32_e32 v10, 16, v4
	v_alignbit_b32 v4, v5, v4, 16
	v_and_b32_e32 v5, 0xffff0000, v5
	s_delay_alu instid0(VALU_DEP_4) | instskip(NEXT) | instid1(VALU_DEP_4)
	v_cmp_u_f32_e64 s1, v11, v11
	v_cmp_u_f32_e32 vcc_lo, v10, v10
	v_cmp_gt_f32_e64 s0, s22, v10
	v_cmp_gt_f32_e64 s2, s22, v11
	v_and_b32_e32 v4, 0xffff0000, v4
	v_cmp_u_f32_e64 s3, v5, v5
	v_cmp_gt_f32_e64 s4, s22, v5
	s_or_b32 vcc_lo, vcc_lo, s0
	s_wait_alu 0xfffe
	v_cndmask_b32_e32 v10, s22, v10, vcc_lo
	s_or_b32 vcc_lo, s1, s2
	v_cmp_gt_f32_e64 s0, s22, v4
	s_wait_alu 0xfffe
	v_cndmask_b32_e32 v11, s22, v11, vcc_lo
	v_cmp_u_f32_e32 vcc_lo, v4, v4
	s_or_b32 s1, s3, s4
	v_bfe_u32 v12, v10, 16, 1
	s_wait_alu 0xfffe
	v_cndmask_b32_e64 v5, s22, v5, s1
	v_bfe_u32 v13, v11, 16, 1
	s_or_b32 vcc_lo, vcc_lo, s0
	v_cmp_o_f32_e64 s0, v11, v11
	s_wait_alu 0xfffe
	v_cndmask_b32_e32 v4, s22, v4, vcc_lo
	v_bfe_u32 v14, v5, 16, 1
	v_add3_u32 v12, v10, v12, 0x7fff
	v_add3_u32 v13, v11, v13, 0x7fff
	v_cmp_o_f32_e32 vcc_lo, v5, v5
	v_bfe_u32 v15, v4, 16, 1
	v_add3_u32 v14, v5, v14, 0x7fff
	v_lshrrev_b32_e32 v12, 16, v12
	v_and_b32_e32 v13, 0xffff0000, v13
	v_cmp_o_f32_e64 s1, v10, v10
	v_add3_u32 v15, v4, v15, 0x7fff
	v_and_b32_e32 v14, 0xffff0000, v14
	s_wait_alu 0xf1ff
	v_cndmask_b32_e64 v10, 0x7fc00000, v13, s0
	v_cndmask_b32_e64 v11, 0x7fc0, v12, s1
	v_lshrrev_b32_e32 v5, 16, v15
	s_wait_alu 0xfffd
	v_cndmask_b32_e32 v12, 0x7fc00000, v14, vcc_lo
	v_cmp_o_f32_e32 vcc_lo, v4, v4
	v_cmp_le_i64_e64 s0, s[12:13], v[8:9]
	v_or_b32_e32 v10, v11, v10
	s_wait_alu 0xfffd
	v_cndmask_b32_e32 v4, 0x7fc0, v5, vcc_lo
	v_add_co_u32 v2, vcc_lo, v2, s11
	s_wait_alu 0xfffd
	v_add_co_ci_u32_e64 v3, null, 0, v3, vcc_lo
	s_delay_alu instid0(VALU_DEP_3)
	v_or3_b32 v5, 0, v4, v12
	v_or3_b32 v4, v10, 0, 0
	s_or_b32 s5, s0, s5
	global_store_b64 v[6:7], v[4:5], off
	s_wait_alu 0xfffe
	s_and_not1_b32 exec_lo, exec_lo, s5
	s_cbranch_execnz .LBB124_24
.LBB124_25:
	s_endpgm
	.section	.rodata,"a",@progbits
	.p2align	6, 0x0
	.amdhsa_kernel _ZN2at6native12_GLOBAL__N_125multi_tensor_apply_kernelINS1_18TensorListMetadataILi2EEENS1_21BinaryOpScalarFunctorIN3c108BFloat16ELi2ELi1ELi1EEEJNS0_7minimumIfEEfEEEvT_T0_DpT1_
		.amdhsa_group_segment_fixed_size 0
		.amdhsa_private_segment_fixed_size 0
		.amdhsa_kernarg_size 3408
		.amdhsa_user_sgpr_count 2
		.amdhsa_user_sgpr_dispatch_ptr 0
		.amdhsa_user_sgpr_queue_ptr 0
		.amdhsa_user_sgpr_kernarg_segment_ptr 1
		.amdhsa_user_sgpr_dispatch_id 0
		.amdhsa_user_sgpr_private_segment_size 0
		.amdhsa_wavefront_size32 1
		.amdhsa_uses_dynamic_stack 0
		.amdhsa_enable_private_segment 0
		.amdhsa_system_sgpr_workgroup_id_x 1
		.amdhsa_system_sgpr_workgroup_id_y 0
		.amdhsa_system_sgpr_workgroup_id_z 0
		.amdhsa_system_sgpr_workgroup_info 0
		.amdhsa_system_vgpr_workitem_id 0
		.amdhsa_next_free_vgpr 30
		.amdhsa_next_free_sgpr 25
		.amdhsa_reserve_vcc 1
		.amdhsa_float_round_mode_32 0
		.amdhsa_float_round_mode_16_64 0
		.amdhsa_float_denorm_mode_32 3
		.amdhsa_float_denorm_mode_16_64 3
		.amdhsa_fp16_overflow 0
		.amdhsa_workgroup_processor_mode 1
		.amdhsa_memory_ordered 1
		.amdhsa_forward_progress 1
		.amdhsa_inst_pref_size 18
		.amdhsa_round_robin_scheduling 0
		.amdhsa_exception_fp_ieee_invalid_op 0
		.amdhsa_exception_fp_denorm_src 0
		.amdhsa_exception_fp_ieee_div_zero 0
		.amdhsa_exception_fp_ieee_overflow 0
		.amdhsa_exception_fp_ieee_underflow 0
		.amdhsa_exception_fp_ieee_inexact 0
		.amdhsa_exception_int_div_zero 0
	.end_amdhsa_kernel
	.section	.text._ZN2at6native12_GLOBAL__N_125multi_tensor_apply_kernelINS1_18TensorListMetadataILi2EEENS1_21BinaryOpScalarFunctorIN3c108BFloat16ELi2ELi1ELi1EEEJNS0_7minimumIfEEfEEEvT_T0_DpT1_,"axG",@progbits,_ZN2at6native12_GLOBAL__N_125multi_tensor_apply_kernelINS1_18TensorListMetadataILi2EEENS1_21BinaryOpScalarFunctorIN3c108BFloat16ELi2ELi1ELi1EEEJNS0_7minimumIfEEfEEEvT_T0_DpT1_,comdat
.Lfunc_end124:
	.size	_ZN2at6native12_GLOBAL__N_125multi_tensor_apply_kernelINS1_18TensorListMetadataILi2EEENS1_21BinaryOpScalarFunctorIN3c108BFloat16ELi2ELi1ELi1EEEJNS0_7minimumIfEEfEEEvT_T0_DpT1_, .Lfunc_end124-_ZN2at6native12_GLOBAL__N_125multi_tensor_apply_kernelINS1_18TensorListMetadataILi2EEENS1_21BinaryOpScalarFunctorIN3c108BFloat16ELi2ELi1ELi1EEEJNS0_7minimumIfEEfEEEvT_T0_DpT1_
                                        ; -- End function
	.set _ZN2at6native12_GLOBAL__N_125multi_tensor_apply_kernelINS1_18TensorListMetadataILi2EEENS1_21BinaryOpScalarFunctorIN3c108BFloat16ELi2ELi1ELi1EEEJNS0_7minimumIfEEfEEEvT_T0_DpT1_.num_vgpr, 30
	.set _ZN2at6native12_GLOBAL__N_125multi_tensor_apply_kernelINS1_18TensorListMetadataILi2EEENS1_21BinaryOpScalarFunctorIN3c108BFloat16ELi2ELi1ELi1EEEJNS0_7minimumIfEEfEEEvT_T0_DpT1_.num_agpr, 0
	.set _ZN2at6native12_GLOBAL__N_125multi_tensor_apply_kernelINS1_18TensorListMetadataILi2EEENS1_21BinaryOpScalarFunctorIN3c108BFloat16ELi2ELi1ELi1EEEJNS0_7minimumIfEEfEEEvT_T0_DpT1_.numbered_sgpr, 25
	.set _ZN2at6native12_GLOBAL__N_125multi_tensor_apply_kernelINS1_18TensorListMetadataILi2EEENS1_21BinaryOpScalarFunctorIN3c108BFloat16ELi2ELi1ELi1EEEJNS0_7minimumIfEEfEEEvT_T0_DpT1_.num_named_barrier, 0
	.set _ZN2at6native12_GLOBAL__N_125multi_tensor_apply_kernelINS1_18TensorListMetadataILi2EEENS1_21BinaryOpScalarFunctorIN3c108BFloat16ELi2ELi1ELi1EEEJNS0_7minimumIfEEfEEEvT_T0_DpT1_.private_seg_size, 0
	.set _ZN2at6native12_GLOBAL__N_125multi_tensor_apply_kernelINS1_18TensorListMetadataILi2EEENS1_21BinaryOpScalarFunctorIN3c108BFloat16ELi2ELi1ELi1EEEJNS0_7minimumIfEEfEEEvT_T0_DpT1_.uses_vcc, 1
	.set _ZN2at6native12_GLOBAL__N_125multi_tensor_apply_kernelINS1_18TensorListMetadataILi2EEENS1_21BinaryOpScalarFunctorIN3c108BFloat16ELi2ELi1ELi1EEEJNS0_7minimumIfEEfEEEvT_T0_DpT1_.uses_flat_scratch, 0
	.set _ZN2at6native12_GLOBAL__N_125multi_tensor_apply_kernelINS1_18TensorListMetadataILi2EEENS1_21BinaryOpScalarFunctorIN3c108BFloat16ELi2ELi1ELi1EEEJNS0_7minimumIfEEfEEEvT_T0_DpT1_.has_dyn_sized_stack, 0
	.set _ZN2at6native12_GLOBAL__N_125multi_tensor_apply_kernelINS1_18TensorListMetadataILi2EEENS1_21BinaryOpScalarFunctorIN3c108BFloat16ELi2ELi1ELi1EEEJNS0_7minimumIfEEfEEEvT_T0_DpT1_.has_recursion, 0
	.set _ZN2at6native12_GLOBAL__N_125multi_tensor_apply_kernelINS1_18TensorListMetadataILi2EEENS1_21BinaryOpScalarFunctorIN3c108BFloat16ELi2ELi1ELi1EEEJNS0_7minimumIfEEfEEEvT_T0_DpT1_.has_indirect_call, 0
	.section	.AMDGPU.csdata,"",@progbits
; Kernel info:
; codeLenInByte = 2256
; TotalNumSgprs: 27
; NumVgprs: 30
; ScratchSize: 0
; MemoryBound: 0
; FloatMode: 240
; IeeeMode: 1
; LDSByteSize: 0 bytes/workgroup (compile time only)
; SGPRBlocks: 0
; VGPRBlocks: 3
; NumSGPRsForWavesPerEU: 27
; NumVGPRsForWavesPerEU: 30
; Occupancy: 16
; WaveLimiterHint : 0
; COMPUTE_PGM_RSRC2:SCRATCH_EN: 0
; COMPUTE_PGM_RSRC2:USER_SGPR: 2
; COMPUTE_PGM_RSRC2:TRAP_HANDLER: 0
; COMPUTE_PGM_RSRC2:TGID_X_EN: 1
; COMPUTE_PGM_RSRC2:TGID_Y_EN: 0
; COMPUTE_PGM_RSRC2:TGID_Z_EN: 0
; COMPUTE_PGM_RSRC2:TIDIG_COMP_CNT: 0
	.section	.text._ZN2at6native12_GLOBAL__N_125multi_tensor_apply_kernelINS1_18TensorListMetadataILi1EEENS1_21BinaryOpScalarFunctorIhLi1ELi1ELi0EEEJNS0_7maximumIhEEhEEEvT_T0_DpT1_,"axG",@progbits,_ZN2at6native12_GLOBAL__N_125multi_tensor_apply_kernelINS1_18TensorListMetadataILi1EEENS1_21BinaryOpScalarFunctorIhLi1ELi1ELi0EEEJNS0_7maximumIhEEhEEEvT_T0_DpT1_,comdat
	.globl	_ZN2at6native12_GLOBAL__N_125multi_tensor_apply_kernelINS1_18TensorListMetadataILi1EEENS1_21BinaryOpScalarFunctorIhLi1ELi1ELi0EEEJNS0_7maximumIhEEhEEEvT_T0_DpT1_ ; -- Begin function _ZN2at6native12_GLOBAL__N_125multi_tensor_apply_kernelINS1_18TensorListMetadataILi1EEENS1_21BinaryOpScalarFunctorIhLi1ELi1ELi0EEEJNS0_7maximumIhEEhEEEvT_T0_DpT1_
	.p2align	8
	.type	_ZN2at6native12_GLOBAL__N_125multi_tensor_apply_kernelINS1_18TensorListMetadataILi1EEENS1_21BinaryOpScalarFunctorIhLi1ELi1ELi0EEEJNS0_7maximumIhEEhEEEvT_T0_DpT1_,@function
_ZN2at6native12_GLOBAL__N_125multi_tensor_apply_kernelINS1_18TensorListMetadataILi1EEENS1_21BinaryOpScalarFunctorIhLi1ELi1ELi0EEEJNS0_7maximumIhEEhEEEvT_T0_DpT1_: ; @_ZN2at6native12_GLOBAL__N_125multi_tensor_apply_kernelINS1_18TensorListMetadataILi1EEENS1_21BinaryOpScalarFunctorIhLi1ELi1ELi0EEEJNS0_7maximumIhEEhEEEvT_T0_DpT1_
; %bb.0:
	s_load_u8 s6, s[0:1], ttmp9 offset:0x6e0
	s_mov_b32 s2, ttmp9
	s_mov_b32 s3, 0
	s_delay_alu instid0(SALU_CYCLE_1) | instskip(SKIP_1) | instid1(SALU_CYCLE_1)
	s_mul_u64 s[4:5], s[2:3], 3
	s_add_nc_u64 s[2:3], s[0:1], s[2:3]
	s_add_nc_u64 s[2:3], s[2:3], s[4:5]
	s_load_b32 s2, s[2:3], 0x820
	s_wait_kmcnt 0x0
	s_lshl_b32 s3, s6, 3
	s_clause 0x2
	s_load_b32 s8, s[0:1], 0xd28
	s_load_b64 s[4:5], s[0:1], s3 offset:0x370
	s_load_b64 s[6:7], s[0:1], s3 offset:0x0
	s_ashr_i32 s3, s2, 31
	s_wait_kmcnt 0x0
	s_lshr_b32 s20, s8, 16
	s_or_b32 s8, s4, s6
	s_delay_alu instid0(SALU_CYCLE_1)
	s_and_b32 s10, s8, 3
	s_lshl_b64 s[8:9], s[2:3], 16
	s_cmp_eq_u32 s10, 0
	s_sub_nc_u64 s[10:11], s[4:5], s[8:9]
	s_cbranch_scc1 .LBB125_21
; %bb.1:
	v_cmp_lt_i64_e64 s2, s[10:11], 1
	s_and_b32 vcc_lo, exec_lo, s2
	s_cbranch_vccnz .LBB125_20
; %bb.2:
	s_load_b32 s2, s[0:1], 0xd3c
	v_cmp_gt_i64_e64 s4, 0x10000, s[10:11]
	s_mov_b32 s3, 0
	v_cmp_gt_u64_e64 s14, 0x10000, s[10:11]
	s_mov_b32 s19, s3
	v_add_co_u32 v11, s5, s8, v0
	s_and_b32 s4, s4, exec_lo
	s_cselect_b32 s13, s11, 0
	s_cselect_b32 s12, s10, 0x10000
	v_add_co_ci_u32_e64 v12, null, s9, 0, s5
	s_mov_b32 s5, s3
	v_add_co_u32 v1, vcc_lo, s6, v11
	s_delay_alu instid0(VALU_DEP_1)
	v_add_co_ci_u32_e64 v2, null, s7, v12, vcc_lo
	s_wait_kmcnt 0x0
	s_and_b32 s2, s2, 0xffff
	s_and_b32 s4, s14, exec_lo
	s_mul_i32 s18, s2, 3
	s_cselect_b32 s15, s11, 0
	s_add_nc_u64 s[22:23], s[8:9], s[18:19]
	s_cselect_b32 s14, s10, 0x10000
	s_add_nc_u64 s[22:23], s[6:7], s[22:23]
	s_lshl_b32 s4, s2, 1
	v_add_co_u32 v3, s17, s22, v0
	s_delay_alu instid0(VALU_DEP_1)
	v_add_co_ci_u32_e64 v4, null, s23, 0, s17
	s_wait_alu 0xfffe
	s_add_nc_u64 s[22:23], s[8:9], s[4:5]
	v_add_co_u32 v5, s5, s18, v0
	s_wait_alu 0xfffe
	s_add_nc_u64 s[18:19], s[6:7], s[22:23]
	v_add_co_ci_u32_e64 v6, null, 0, 0, s5
	s_wait_alu 0xfffe
	v_add_co_u32 v7, s5, s18, v0
	v_add_co_u32 v9, s4, s4, v0
	s_wait_alu 0xf1ff
	v_add_co_ci_u32_e64 v8, null, s19, 0, s5
	v_add_co_ci_u32_e64 v10, null, 0, 0, s4
	s_add_nc_u64 s[4:5], s[6:7], s[2:3]
	s_lshl_b32 s16, s2, 2
	s_wait_alu 0xfffe
	v_add_co_u32 v11, vcc_lo, s4, v11
	v_add_co_u32 v13, s2, v0, s2
	s_wait_alu 0xfffd
	v_add_co_ci_u32_e64 v12, null, s5, v12, vcc_lo
	s_wait_alu 0xf1ff
	v_add_co_ci_u32_e64 v14, null, 0, 0, s2
	s_mov_b32 s17, s3
	s_mov_b64 s[18:19], 0
	s_and_b32 s21, s20, 0xff
	s_branch .LBB125_4
.LBB125_3:                              ;   in Loop: Header=BB125_4 Depth=1
	s_wait_alu 0xfffe
	s_or_b32 exec_lo, exec_lo, s2
	s_add_nc_u64 s[18:19], s[18:19], s[16:17]
	s_wait_alu 0xfffe
	v_cmp_lt_i64_e64 s2, s[18:19], s[12:13]
	s_and_b32 vcc_lo, exec_lo, s2
	s_wait_alu 0xfffe
	s_cbranch_vccz .LBB125_20
.LBB125_4:                              ; =>This Inner Loop Header: Depth=1
	s_wait_alu 0xfffe
	v_add_co_u32 v15, s2, v0, s18
	s_wait_alu 0xf1ff
	v_add_co_ci_u32_e64 v16, null, 0, s19, s2
	s_delay_alu instid0(VALU_DEP_1)
	v_cmp_gt_u64_e32 vcc_lo, s[14:15], v[15:16]
	v_mov_b32_e32 v15, s20
	s_and_saveexec_b32 s3, vcc_lo
	s_cbranch_execz .LBB125_6
; %bb.5:                                ;   in Loop: Header=BB125_4 Depth=1
	v_add_co_u32 v15, s2, v1, s18
	s_wait_alu 0xf1ff
	v_add_co_ci_u32_e64 v16, null, s19, v2, s2
	global_load_u8 v15, v[15:16], off
	s_wait_loadcnt 0x0
	v_max_u16 v15, v15, s21
.LBB125_6:                              ;   in Loop: Header=BB125_4 Depth=1
	s_wait_alu 0xfffe
	s_or_b32 exec_lo, exec_lo, s3
	v_add_co_u32 v16, s2, v13, s18
	s_wait_alu 0xf1ff
	v_add_co_ci_u32_e64 v17, null, s19, v14, s2
	s_delay_alu instid0(VALU_DEP_1)
	v_cmp_gt_u64_e64 s2, s[14:15], v[16:17]
	v_mov_b32_e32 v16, s20
	s_and_saveexec_b32 s4, s2
	s_cbranch_execz .LBB125_8
; %bb.7:                                ;   in Loop: Header=BB125_4 Depth=1
	v_add_co_u32 v16, s3, v11, s18
	s_wait_alu 0xf1ff
	v_add_co_ci_u32_e64 v17, null, s19, v12, s3
	global_load_u8 v16, v[16:17], off
	s_wait_loadcnt 0x0
	v_max_u16 v16, v16, s21
.LBB125_8:                              ;   in Loop: Header=BB125_4 Depth=1
	s_wait_alu 0xfffe
	s_or_b32 exec_lo, exec_lo, s4
	v_add_co_u32 v17, s3, v9, s18
	s_wait_alu 0xf1ff
	v_add_co_ci_u32_e64 v18, null, s19, v10, s3
	s_delay_alu instid0(VALU_DEP_1)
	v_cmp_gt_u64_e64 s3, s[14:15], v[17:18]
	v_mov_b32_e32 v17, s20
	s_and_saveexec_b32 s5, s3
	s_cbranch_execz .LBB125_10
; %bb.9:                                ;   in Loop: Header=BB125_4 Depth=1
	v_add_co_u32 v17, s4, v7, s18
	s_wait_alu 0xf1ff
	v_add_co_ci_u32_e64 v18, null, s19, v8, s4
	global_load_u8 v17, v[17:18], off
	s_wait_loadcnt 0x0
	v_max_u16 v17, v17, s21
.LBB125_10:                             ;   in Loop: Header=BB125_4 Depth=1
	s_wait_alu 0xfffe
	s_or_b32 exec_lo, exec_lo, s5
	v_add_co_u32 v18, s4, v5, s18
	s_wait_alu 0xf1ff
	v_add_co_ci_u32_e64 v19, null, s19, v6, s4
	s_delay_alu instid0(VALU_DEP_1)
	v_cmp_gt_u64_e64 s4, s[14:15], v[18:19]
	v_mov_b32_e32 v18, s20
	s_and_saveexec_b32 s22, s4
	s_cbranch_execnz .LBB125_15
; %bb.11:                               ;   in Loop: Header=BB125_4 Depth=1
	s_wait_alu 0xfffe
	s_or_b32 exec_lo, exec_lo, s22
	s_and_saveexec_b32 s5, vcc_lo
	s_cbranch_execnz .LBB125_16
.LBB125_12:                             ;   in Loop: Header=BB125_4 Depth=1
	s_wait_alu 0xfffe
	s_or_b32 exec_lo, exec_lo, s5
	s_and_saveexec_b32 s5, s2
	s_cbranch_execnz .LBB125_17
.LBB125_13:                             ;   in Loop: Header=BB125_4 Depth=1
	s_wait_alu 0xfffe
	s_or_b32 exec_lo, exec_lo, s5
	s_and_saveexec_b32 s2, s3
	s_cbranch_execnz .LBB125_18
.LBB125_14:                             ;   in Loop: Header=BB125_4 Depth=1
	s_wait_alu 0xfffe
	s_or_b32 exec_lo, exec_lo, s2
	s_and_saveexec_b32 s2, s4
	s_cbranch_execz .LBB125_3
	s_branch .LBB125_19
.LBB125_15:                             ;   in Loop: Header=BB125_4 Depth=1
	v_add_co_u32 v18, s5, v3, s18
	s_wait_alu 0xf1ff
	v_add_co_ci_u32_e64 v19, null, s19, v4, s5
	global_load_u8 v18, v[18:19], off
	s_wait_loadcnt 0x0
	v_max_u16 v18, v18, s21
	s_wait_alu 0xfffe
	s_or_b32 exec_lo, exec_lo, s22
	s_and_saveexec_b32 s5, vcc_lo
	s_cbranch_execz .LBB125_12
.LBB125_16:                             ;   in Loop: Header=BB125_4 Depth=1
	v_add_co_u32 v19, vcc_lo, v1, s18
	s_wait_alu 0xfffd
	v_add_co_ci_u32_e64 v20, null, s19, v2, vcc_lo
	global_store_b8 v[19:20], v15, off
	s_wait_alu 0xfffe
	s_or_b32 exec_lo, exec_lo, s5
	s_and_saveexec_b32 s5, s2
	s_cbranch_execz .LBB125_13
.LBB125_17:                             ;   in Loop: Header=BB125_4 Depth=1
	v_add_co_u32 v19, vcc_lo, v11, s18
	s_wait_alu 0xfffd
	v_add_co_ci_u32_e64 v20, null, s19, v12, vcc_lo
	global_store_b8 v[19:20], v16, off
	s_wait_alu 0xfffe
	s_or_b32 exec_lo, exec_lo, s5
	s_and_saveexec_b32 s2, s3
	s_cbranch_execz .LBB125_14
.LBB125_18:                             ;   in Loop: Header=BB125_4 Depth=1
	v_add_co_u32 v15, vcc_lo, v7, s18
	s_wait_alu 0xfffd
	v_add_co_ci_u32_e64 v16, null, s19, v8, vcc_lo
	global_store_b8 v[15:16], v17, off
	s_wait_alu 0xfffe
	s_or_b32 exec_lo, exec_lo, s2
	s_and_saveexec_b32 s2, s4
	s_cbranch_execz .LBB125_3
.LBB125_19:                             ;   in Loop: Header=BB125_4 Depth=1
	v_add_co_u32 v15, vcc_lo, v3, s18
	s_wait_alu 0xfffd
	v_add_co_ci_u32_e64 v16, null, s19, v4, vcc_lo
	global_store_b8 v[15:16], v18, off
	s_branch .LBB125_3
.LBB125_20:
	s_cbranch_execz .LBB125_22
	s_branch .LBB125_25
.LBB125_21:
.LBB125_22:
	v_cmp_gt_i64_e64 s2, 0x10000, s[10:11]
	v_dual_mov_b32 v3, 0 :: v_dual_lshlrev_b32 v2, 2, v0
	s_mov_b32 s4, 0
	s_mov_b32 s5, exec_lo
	s_and_b32 s2, s2, exec_lo
	s_cselect_b32 s3, s11, 0
	s_cselect_b32 s2, s10, 0x10000
	s_wait_alu 0xfffe
	v_cmpx_gt_i64_e64 s[2:3], v[2:3]
	s_cbranch_execz .LBB125_25
; %bb.23:
	s_load_b32 s5, s[0:1], 0xd3c
	s_add_nc_u64 s[0:1], s[6:7], s[8:9]
	v_mov_b32_e32 v1, v3
	v_add_co_u32 v2, s0, s0, v2
	s_wait_alu 0xf1ff
	v_add_co_ci_u32_e64 v3, null, s1, 0, s0
	s_and_b32 s6, s20, 0xff
	s_wait_kmcnt 0x0
	s_and_b32 s1, s5, 0xffff
	s_wait_alu 0xfffe
	s_lshl_b32 s5, s1, 2
.LBB125_24:                             ; =>This Inner Loop Header: Depth=1
	global_load_b32 v4, v[2:3], off
	v_add_co_u32 v0, vcc_lo, v0, s1
	s_wait_alu 0xfffd
	v_add_co_ci_u32_e64 v1, null, 0, v1, vcc_lo
	s_wait_loadcnt 0x0
	v_lshrrev_b32_e32 v5, 8, v4
	v_lshrrev_b32_e32 v6, 16, v4
	;; [unrolled: 1-line block ×3, first 2 shown]
	v_and_b32_e32 v4, 0xff, v4
	s_delay_alu instid0(VALU_DEP_4) | instskip(NEXT) | instid1(VALU_DEP_4)
	v_and_b32_e32 v5, 0xff, v5
	v_and_b32_e32 v6, 0xff, v6
	s_delay_alu instid0(VALU_DEP_4) | instskip(NEXT) | instid1(VALU_DEP_4)
	v_max_u16 v7, v7, s6
	v_max_u16 v4, v4, s6
	s_delay_alu instid0(VALU_DEP_4) | instskip(NEXT) | instid1(VALU_DEP_4)
	v_max_u16 v5, v5, s6
	v_max_u16 v6, v6, s6
	s_delay_alu instid0(VALU_DEP_4) | instskip(NEXT) | instid1(VALU_DEP_3)
	v_lshlrev_b16 v7, 8, v7
	v_lshlrev_b16 v5, 8, v5
	s_delay_alu instid0(VALU_DEP_2) | instskip(NEXT) | instid1(VALU_DEP_2)
	v_or_b32_e32 v6, v6, v7
	v_or_b32_e32 v4, v4, v5
	s_delay_alu instid0(VALU_DEP_2) | instskip(NEXT) | instid1(VALU_DEP_2)
	v_lshlrev_b32_e32 v6, 16, v6
	v_and_b32_e32 v7, 0xffff, v4
	v_lshlrev_b64_e32 v[4:5], 2, v[0:1]
	s_delay_alu instid0(VALU_DEP_2) | instskip(NEXT) | instid1(VALU_DEP_2)
	v_or_b32_e32 v6, v7, v6
	v_cmp_le_i64_e32 vcc_lo, s[2:3], v[4:5]
	global_store_b32 v[2:3], v6, off
	s_wait_alu 0xfffe
	v_add_co_u32 v2, s0, v2, s5
	s_wait_alu 0xf1ff
	v_add_co_ci_u32_e64 v3, null, 0, v3, s0
	s_or_b32 s4, vcc_lo, s4
	s_wait_alu 0xfffe
	s_and_not1_b32 exec_lo, exec_lo, s4
	s_cbranch_execnz .LBB125_24
.LBB125_25:
	s_endpgm
	.section	.rodata,"a",@progbits
	.p2align	6, 0x0
	.amdhsa_kernel _ZN2at6native12_GLOBAL__N_125multi_tensor_apply_kernelINS1_18TensorListMetadataILi1EEENS1_21BinaryOpScalarFunctorIhLi1ELi1ELi0EEEJNS0_7maximumIhEEhEEEvT_T0_DpT1_
		.amdhsa_group_segment_fixed_size 0
		.amdhsa_private_segment_fixed_size 0
		.amdhsa_kernarg_size 3632
		.amdhsa_user_sgpr_count 2
		.amdhsa_user_sgpr_dispatch_ptr 0
		.amdhsa_user_sgpr_queue_ptr 0
		.amdhsa_user_sgpr_kernarg_segment_ptr 1
		.amdhsa_user_sgpr_dispatch_id 0
		.amdhsa_user_sgpr_private_segment_size 0
		.amdhsa_wavefront_size32 1
		.amdhsa_uses_dynamic_stack 0
		.amdhsa_enable_private_segment 0
		.amdhsa_system_sgpr_workgroup_id_x 1
		.amdhsa_system_sgpr_workgroup_id_y 0
		.amdhsa_system_sgpr_workgroup_id_z 0
		.amdhsa_system_sgpr_workgroup_info 0
		.amdhsa_system_vgpr_workitem_id 0
		.amdhsa_next_free_vgpr 21
		.amdhsa_next_free_sgpr 24
		.amdhsa_reserve_vcc 1
		.amdhsa_float_round_mode_32 0
		.amdhsa_float_round_mode_16_64 0
		.amdhsa_float_denorm_mode_32 3
		.amdhsa_float_denorm_mode_16_64 3
		.amdhsa_fp16_overflow 0
		.amdhsa_workgroup_processor_mode 1
		.amdhsa_memory_ordered 1
		.amdhsa_forward_progress 1
		.amdhsa_inst_pref_size 12
		.amdhsa_round_robin_scheduling 0
		.amdhsa_exception_fp_ieee_invalid_op 0
		.amdhsa_exception_fp_denorm_src 0
		.amdhsa_exception_fp_ieee_div_zero 0
		.amdhsa_exception_fp_ieee_overflow 0
		.amdhsa_exception_fp_ieee_underflow 0
		.amdhsa_exception_fp_ieee_inexact 0
		.amdhsa_exception_int_div_zero 0
	.end_amdhsa_kernel
	.section	.text._ZN2at6native12_GLOBAL__N_125multi_tensor_apply_kernelINS1_18TensorListMetadataILi1EEENS1_21BinaryOpScalarFunctorIhLi1ELi1ELi0EEEJNS0_7maximumIhEEhEEEvT_T0_DpT1_,"axG",@progbits,_ZN2at6native12_GLOBAL__N_125multi_tensor_apply_kernelINS1_18TensorListMetadataILi1EEENS1_21BinaryOpScalarFunctorIhLi1ELi1ELi0EEEJNS0_7maximumIhEEhEEEvT_T0_DpT1_,comdat
.Lfunc_end125:
	.size	_ZN2at6native12_GLOBAL__N_125multi_tensor_apply_kernelINS1_18TensorListMetadataILi1EEENS1_21BinaryOpScalarFunctorIhLi1ELi1ELi0EEEJNS0_7maximumIhEEhEEEvT_T0_DpT1_, .Lfunc_end125-_ZN2at6native12_GLOBAL__N_125multi_tensor_apply_kernelINS1_18TensorListMetadataILi1EEENS1_21BinaryOpScalarFunctorIhLi1ELi1ELi0EEEJNS0_7maximumIhEEhEEEvT_T0_DpT1_
                                        ; -- End function
	.set _ZN2at6native12_GLOBAL__N_125multi_tensor_apply_kernelINS1_18TensorListMetadataILi1EEENS1_21BinaryOpScalarFunctorIhLi1ELi1ELi0EEEJNS0_7maximumIhEEhEEEvT_T0_DpT1_.num_vgpr, 21
	.set _ZN2at6native12_GLOBAL__N_125multi_tensor_apply_kernelINS1_18TensorListMetadataILi1EEENS1_21BinaryOpScalarFunctorIhLi1ELi1ELi0EEEJNS0_7maximumIhEEhEEEvT_T0_DpT1_.num_agpr, 0
	.set _ZN2at6native12_GLOBAL__N_125multi_tensor_apply_kernelINS1_18TensorListMetadataILi1EEENS1_21BinaryOpScalarFunctorIhLi1ELi1ELi0EEEJNS0_7maximumIhEEhEEEvT_T0_DpT1_.numbered_sgpr, 24
	.set _ZN2at6native12_GLOBAL__N_125multi_tensor_apply_kernelINS1_18TensorListMetadataILi1EEENS1_21BinaryOpScalarFunctorIhLi1ELi1ELi0EEEJNS0_7maximumIhEEhEEEvT_T0_DpT1_.num_named_barrier, 0
	.set _ZN2at6native12_GLOBAL__N_125multi_tensor_apply_kernelINS1_18TensorListMetadataILi1EEENS1_21BinaryOpScalarFunctorIhLi1ELi1ELi0EEEJNS0_7maximumIhEEhEEEvT_T0_DpT1_.private_seg_size, 0
	.set _ZN2at6native12_GLOBAL__N_125multi_tensor_apply_kernelINS1_18TensorListMetadataILi1EEENS1_21BinaryOpScalarFunctorIhLi1ELi1ELi0EEEJNS0_7maximumIhEEhEEEvT_T0_DpT1_.uses_vcc, 1
	.set _ZN2at6native12_GLOBAL__N_125multi_tensor_apply_kernelINS1_18TensorListMetadataILi1EEENS1_21BinaryOpScalarFunctorIhLi1ELi1ELi0EEEJNS0_7maximumIhEEhEEEvT_T0_DpT1_.uses_flat_scratch, 0
	.set _ZN2at6native12_GLOBAL__N_125multi_tensor_apply_kernelINS1_18TensorListMetadataILi1EEENS1_21BinaryOpScalarFunctorIhLi1ELi1ELi0EEEJNS0_7maximumIhEEhEEEvT_T0_DpT1_.has_dyn_sized_stack, 0
	.set _ZN2at6native12_GLOBAL__N_125multi_tensor_apply_kernelINS1_18TensorListMetadataILi1EEENS1_21BinaryOpScalarFunctorIhLi1ELi1ELi0EEEJNS0_7maximumIhEEhEEEvT_T0_DpT1_.has_recursion, 0
	.set _ZN2at6native12_GLOBAL__N_125multi_tensor_apply_kernelINS1_18TensorListMetadataILi1EEENS1_21BinaryOpScalarFunctorIhLi1ELi1ELi0EEEJNS0_7maximumIhEEhEEEvT_T0_DpT1_.has_indirect_call, 0
	.section	.AMDGPU.csdata,"",@progbits
; Kernel info:
; codeLenInByte = 1480
; TotalNumSgprs: 26
; NumVgprs: 21
; ScratchSize: 0
; MemoryBound: 0
; FloatMode: 240
; IeeeMode: 1
; LDSByteSize: 0 bytes/workgroup (compile time only)
; SGPRBlocks: 0
; VGPRBlocks: 2
; NumSGPRsForWavesPerEU: 26
; NumVGPRsForWavesPerEU: 21
; Occupancy: 16
; WaveLimiterHint : 0
; COMPUTE_PGM_RSRC2:SCRATCH_EN: 0
; COMPUTE_PGM_RSRC2:USER_SGPR: 2
; COMPUTE_PGM_RSRC2:TRAP_HANDLER: 0
; COMPUTE_PGM_RSRC2:TGID_X_EN: 1
; COMPUTE_PGM_RSRC2:TGID_Y_EN: 0
; COMPUTE_PGM_RSRC2:TGID_Z_EN: 0
; COMPUTE_PGM_RSRC2:TIDIG_COMP_CNT: 0
	.section	.text._ZN2at6native12_GLOBAL__N_125multi_tensor_apply_kernelINS1_18TensorListMetadataILi1EEENS1_21BinaryOpScalarFunctorIaLi1ELi1ELi0EEEJNS0_7maximumIaEEaEEEvT_T0_DpT1_,"axG",@progbits,_ZN2at6native12_GLOBAL__N_125multi_tensor_apply_kernelINS1_18TensorListMetadataILi1EEENS1_21BinaryOpScalarFunctorIaLi1ELi1ELi0EEEJNS0_7maximumIaEEaEEEvT_T0_DpT1_,comdat
	.globl	_ZN2at6native12_GLOBAL__N_125multi_tensor_apply_kernelINS1_18TensorListMetadataILi1EEENS1_21BinaryOpScalarFunctorIaLi1ELi1ELi0EEEJNS0_7maximumIaEEaEEEvT_T0_DpT1_ ; -- Begin function _ZN2at6native12_GLOBAL__N_125multi_tensor_apply_kernelINS1_18TensorListMetadataILi1EEENS1_21BinaryOpScalarFunctorIaLi1ELi1ELi0EEEJNS0_7maximumIaEEaEEEvT_T0_DpT1_
	.p2align	8
	.type	_ZN2at6native12_GLOBAL__N_125multi_tensor_apply_kernelINS1_18TensorListMetadataILi1EEENS1_21BinaryOpScalarFunctorIaLi1ELi1ELi0EEEJNS0_7maximumIaEEaEEEvT_T0_DpT1_,@function
_ZN2at6native12_GLOBAL__N_125multi_tensor_apply_kernelINS1_18TensorListMetadataILi1EEENS1_21BinaryOpScalarFunctorIaLi1ELi1ELi0EEEJNS0_7maximumIaEEaEEEvT_T0_DpT1_: ; @_ZN2at6native12_GLOBAL__N_125multi_tensor_apply_kernelINS1_18TensorListMetadataILi1EEENS1_21BinaryOpScalarFunctorIaLi1ELi1ELi0EEEJNS0_7maximumIaEEaEEEvT_T0_DpT1_
; %bb.0:
	s_load_u8 s6, s[0:1], ttmp9 offset:0x6e0
	s_mov_b32 s2, ttmp9
	s_mov_b32 s3, 0
	s_delay_alu instid0(SALU_CYCLE_1) | instskip(SKIP_1) | instid1(SALU_CYCLE_1)
	s_mul_u64 s[4:5], s[2:3], 3
	s_add_nc_u64 s[2:3], s[0:1], s[2:3]
	s_add_nc_u64 s[2:3], s[2:3], s[4:5]
	s_load_b32 s2, s[2:3], 0x820
	s_wait_kmcnt 0x0
	s_lshl_b32 s3, s6, 3
	s_clause 0x2
	s_load_b32 s8, s[0:1], 0xd28
	s_load_b64 s[4:5], s[0:1], s3 offset:0x370
	s_load_b64 s[6:7], s[0:1], s3 offset:0x0
	s_ashr_i32 s3, s2, 31
	s_wait_kmcnt 0x0
	s_lshr_b32 s20, s8, 16
	s_or_b32 s8, s4, s6
	s_delay_alu instid0(SALU_CYCLE_1)
	s_and_b32 s10, s8, 3
	s_lshl_b64 s[8:9], s[2:3], 16
	s_cmp_eq_u32 s10, 0
	s_sub_nc_u64 s[10:11], s[4:5], s[8:9]
	s_cbranch_scc1 .LBB126_21
; %bb.1:
	v_cmp_lt_i64_e64 s2, s[10:11], 1
	s_and_b32 vcc_lo, exec_lo, s2
	s_cbranch_vccnz .LBB126_20
; %bb.2:
	s_load_b32 s2, s[0:1], 0xd3c
	v_cmp_gt_i64_e64 s4, 0x10000, s[10:11]
	s_mov_b32 s3, 0
	v_cmp_gt_u64_e64 s14, 0x10000, s[10:11]
	s_mov_b32 s19, s3
	v_add_co_u32 v11, s5, s8, v0
	s_and_b32 s4, s4, exec_lo
	s_cselect_b32 s13, s11, 0
	s_cselect_b32 s12, s10, 0x10000
	v_add_co_ci_u32_e64 v12, null, s9, 0, s5
	s_mov_b32 s5, s3
	v_add_co_u32 v1, vcc_lo, s6, v11
	s_delay_alu instid0(VALU_DEP_1)
	v_add_co_ci_u32_e64 v2, null, s7, v12, vcc_lo
	s_wait_kmcnt 0x0
	s_and_b32 s2, s2, 0xffff
	s_and_b32 s4, s14, exec_lo
	s_mul_i32 s18, s2, 3
	s_cselect_b32 s15, s11, 0
	s_add_nc_u64 s[22:23], s[8:9], s[18:19]
	s_cselect_b32 s14, s10, 0x10000
	s_add_nc_u64 s[22:23], s[6:7], s[22:23]
	s_lshl_b32 s4, s2, 1
	v_add_co_u32 v3, s17, s22, v0
	s_delay_alu instid0(VALU_DEP_1)
	v_add_co_ci_u32_e64 v4, null, s23, 0, s17
	s_wait_alu 0xfffe
	s_add_nc_u64 s[22:23], s[8:9], s[4:5]
	v_add_co_u32 v5, s5, s18, v0
	s_wait_alu 0xfffe
	s_add_nc_u64 s[18:19], s[6:7], s[22:23]
	v_add_co_ci_u32_e64 v6, null, 0, 0, s5
	s_wait_alu 0xfffe
	v_add_co_u32 v7, s5, s18, v0
	v_add_co_u32 v9, s4, s4, v0
	s_wait_alu 0xf1ff
	v_add_co_ci_u32_e64 v8, null, s19, 0, s5
	v_add_co_ci_u32_e64 v10, null, 0, 0, s4
	s_add_nc_u64 s[4:5], s[6:7], s[2:3]
	s_lshl_b32 s16, s2, 2
	s_wait_alu 0xfffe
	v_add_co_u32 v11, vcc_lo, s4, v11
	v_add_co_u32 v13, s2, v0, s2
	s_wait_alu 0xfffd
	v_add_co_ci_u32_e64 v12, null, s5, v12, vcc_lo
	s_wait_alu 0xf1ff
	v_add_co_ci_u32_e64 v14, null, 0, 0, s2
	s_mov_b32 s17, s3
	s_mov_b64 s[18:19], 0
	s_bfe_i32 s21, s20, 0x80000
	s_branch .LBB126_4
.LBB126_3:                              ;   in Loop: Header=BB126_4 Depth=1
	s_wait_alu 0xfffe
	s_or_b32 exec_lo, exec_lo, s2
	s_add_nc_u64 s[18:19], s[18:19], s[16:17]
	s_wait_alu 0xfffe
	v_cmp_lt_i64_e64 s2, s[18:19], s[12:13]
	s_and_b32 vcc_lo, exec_lo, s2
	s_wait_alu 0xfffe
	s_cbranch_vccz .LBB126_20
.LBB126_4:                              ; =>This Inner Loop Header: Depth=1
	s_wait_loadcnt 0x0
	s_wait_alu 0xfffe
	v_add_co_u32 v15, s2, v0, s18
	s_wait_alu 0xf1ff
	v_add_co_ci_u32_e64 v16, null, 0, s19, s2
	s_delay_alu instid0(VALU_DEP_1)
	v_cmp_gt_u64_e32 vcc_lo, s[14:15], v[15:16]
	v_mov_b32_e32 v16, 0
	s_and_saveexec_b32 s3, vcc_lo
	s_cbranch_execz .LBB126_6
; %bb.5:                                ;   in Loop: Header=BB126_4 Depth=1
	v_add_co_u32 v15, s2, v1, s18
	s_wait_alu 0xf1ff
	v_add_co_ci_u32_e64 v16, null, s19, v2, s2
	global_load_u8 v16, v[15:16], off
.LBB126_6:                              ;   in Loop: Header=BB126_4 Depth=1
	s_wait_alu 0xfffe
	s_or_b32 exec_lo, exec_lo, s3
	v_add_co_u32 v17, s2, v13, s18
	s_wait_alu 0xf1ff
	v_add_co_ci_u32_e64 v18, null, s19, v14, s2
	v_mov_b32_e32 v15, 0
	s_delay_alu instid0(VALU_DEP_2)
	v_cmp_gt_u64_e64 s2, s[14:15], v[17:18]
	v_mov_b32_e32 v17, 0
	s_and_saveexec_b32 s4, s2
	s_cbranch_execz .LBB126_8
; %bb.7:                                ;   in Loop: Header=BB126_4 Depth=1
	v_add_co_u32 v17, s3, v11, s18
	s_wait_alu 0xf1ff
	v_add_co_ci_u32_e64 v18, null, s19, v12, s3
	global_load_u8 v17, v[17:18], off
.LBB126_8:                              ;   in Loop: Header=BB126_4 Depth=1
	s_wait_alu 0xfffe
	s_or_b32 exec_lo, exec_lo, s4
	v_add_co_u32 v18, s3, v9, s18
	s_wait_alu 0xf1ff
	v_add_co_ci_u32_e64 v19, null, s19, v10, s3
	s_delay_alu instid0(VALU_DEP_1)
	v_cmp_gt_u64_e64 s3, s[14:15], v[18:19]
	s_and_saveexec_b32 s5, s3
	s_cbranch_execz .LBB126_10
; %bb.9:                                ;   in Loop: Header=BB126_4 Depth=1
	v_add_co_u32 v18, s4, v7, s18
	s_wait_alu 0xf1ff
	v_add_co_ci_u32_e64 v19, null, s19, v8, s4
	global_load_u8 v15, v[18:19], off
.LBB126_10:                             ;   in Loop: Header=BB126_4 Depth=1
	s_wait_alu 0xfffe
	s_or_b32 exec_lo, exec_lo, s5
	v_add_co_u32 v18, s4, v5, s18
	s_wait_alu 0xf1ff
	v_add_co_ci_u32_e64 v19, null, s19, v6, s4
	s_delay_alu instid0(VALU_DEP_1)
	v_cmp_gt_u64_e64 s4, s[14:15], v[18:19]
	v_mov_b32_e32 v18, 0
	s_and_saveexec_b32 s22, s4
	s_cbranch_execnz .LBB126_15
; %bb.11:                               ;   in Loop: Header=BB126_4 Depth=1
	s_wait_alu 0xfffe
	s_or_b32 exec_lo, exec_lo, s22
	s_and_saveexec_b32 s5, vcc_lo
	s_cbranch_execnz .LBB126_16
.LBB126_12:                             ;   in Loop: Header=BB126_4 Depth=1
	s_wait_alu 0xfffe
	s_or_b32 exec_lo, exec_lo, s5
	s_and_saveexec_b32 s5, s2
	s_cbranch_execnz .LBB126_17
.LBB126_13:                             ;   in Loop: Header=BB126_4 Depth=1
	s_wait_alu 0xfffe
	s_or_b32 exec_lo, exec_lo, s5
	s_and_saveexec_b32 s2, s3
	s_cbranch_execnz .LBB126_18
.LBB126_14:                             ;   in Loop: Header=BB126_4 Depth=1
	s_wait_alu 0xfffe
	s_or_b32 exec_lo, exec_lo, s2
	s_and_saveexec_b32 s2, s4
	s_cbranch_execz .LBB126_3
	s_branch .LBB126_19
.LBB126_15:                             ;   in Loop: Header=BB126_4 Depth=1
	v_add_co_u32 v18, s5, v3, s18
	s_wait_alu 0xf1ff
	v_add_co_ci_u32_e64 v19, null, s19, v4, s5
	global_load_u8 v18, v[18:19], off
	s_wait_alu 0xfffe
	s_or_b32 exec_lo, exec_lo, s22
	s_and_saveexec_b32 s5, vcc_lo
	s_cbranch_execz .LBB126_12
.LBB126_16:                             ;   in Loop: Header=BB126_4 Depth=1
	s_wait_loadcnt 0x0
	v_bfe_i32 v16, v16, 0, 8
	v_add_co_u32 v19, vcc_lo, v1, s18
	s_wait_alu 0xfffd
	v_add_co_ci_u32_e64 v20, null, s19, v2, vcc_lo
	s_delay_alu instid0(VALU_DEP_3)
	v_max_i16 v16, v16, s21
	global_store_b8 v[19:20], v16, off
	s_wait_alu 0xfffe
	s_or_b32 exec_lo, exec_lo, s5
	s_and_saveexec_b32 s5, s2
	s_cbranch_execz .LBB126_13
.LBB126_17:                             ;   in Loop: Header=BB126_4 Depth=1
	s_wait_loadcnt 0x0
	v_bfe_i32 v16, v17, 0, 8
	s_delay_alu instid0(VALU_DEP_1)
	v_max_i16 v19, v16, s21
	v_add_co_u32 v16, vcc_lo, v11, s18
	s_wait_alu 0xfffd
	v_add_co_ci_u32_e64 v17, null, s19, v12, vcc_lo
	global_store_b8 v[16:17], v19, off
	s_wait_alu 0xfffe
	s_or_b32 exec_lo, exec_lo, s5
	s_and_saveexec_b32 s2, s3
	s_cbranch_execz .LBB126_14
.LBB126_18:                             ;   in Loop: Header=BB126_4 Depth=1
	s_wait_loadcnt 0x0
	v_bfe_i32 v15, v15, 0, 8
	s_delay_alu instid0(VALU_DEP_1)
	v_max_i16 v17, v15, s21
	v_add_co_u32 v15, vcc_lo, v7, s18
	s_wait_alu 0xfffd
	v_add_co_ci_u32_e64 v16, null, s19, v8, vcc_lo
	global_store_b8 v[15:16], v17, off
	s_wait_alu 0xfffe
	s_or_b32 exec_lo, exec_lo, s2
	s_and_saveexec_b32 s2, s4
	s_cbranch_execz .LBB126_3
.LBB126_19:                             ;   in Loop: Header=BB126_4 Depth=1
	s_wait_loadcnt 0x0
	v_bfe_i32 v15, v18, 0, 8
	s_delay_alu instid0(VALU_DEP_1)
	v_max_i16 v17, v15, s21
	v_add_co_u32 v15, vcc_lo, v3, s18
	s_wait_alu 0xfffd
	v_add_co_ci_u32_e64 v16, null, s19, v4, vcc_lo
	global_store_b8 v[15:16], v17, off
	s_branch .LBB126_3
.LBB126_20:
	s_cbranch_execz .LBB126_22
	s_branch .LBB126_25
.LBB126_21:
.LBB126_22:
	v_cmp_gt_i64_e64 s2, 0x10000, s[10:11]
	v_dual_mov_b32 v3, 0 :: v_dual_lshlrev_b32 v2, 2, v0
	s_mov_b32 s4, 0
	s_mov_b32 s5, exec_lo
	s_and_b32 s2, s2, exec_lo
	s_cselect_b32 s3, s11, 0
	s_cselect_b32 s2, s10, 0x10000
	s_wait_alu 0xfffe
	v_cmpx_gt_i64_e64 s[2:3], v[2:3]
	s_cbranch_execz .LBB126_25
; %bb.23:
	s_load_b32 s5, s[0:1], 0xd3c
	s_add_nc_u64 s[0:1], s[6:7], s[8:9]
	v_mov_b32_e32 v1, v3
	v_add_co_u32 v2, s0, s0, v2
	s_wait_alu 0xf1ff
	v_add_co_ci_u32_e64 v3, null, s1, 0, s0
	s_bfe_i32 s6, s20, 0x80000
	s_wait_kmcnt 0x0
	s_and_b32 s1, s5, 0xffff
	s_wait_alu 0xfffe
	s_lshl_b32 s5, s1, 2
.LBB126_24:                             ; =>This Inner Loop Header: Depth=1
	global_load_b32 v4, v[2:3], off
	v_add_co_u32 v0, vcc_lo, v0, s1
	s_wait_alu 0xfffd
	v_add_co_ci_u32_e64 v1, null, 0, v1, vcc_lo
	s_wait_loadcnt 0x0
	v_lshrrev_b32_e32 v5, 8, v4
	v_lshrrev_b32_e32 v6, 24, v4
	;; [unrolled: 1-line block ×3, first 2 shown]
	v_bfe_i32 v4, v4, 0, 8
	s_delay_alu instid0(VALU_DEP_4) | instskip(NEXT) | instid1(VALU_DEP_4)
	v_bfe_i32 v5, v5, 0, 8
	v_bfe_i32 v6, v6, 0, 8
	s_delay_alu instid0(VALU_DEP_4) | instskip(NEXT) | instid1(VALU_DEP_4)
	v_bfe_i32 v7, v7, 0, 8
	v_max_i16 v4, v4, s6
	s_delay_alu instid0(VALU_DEP_4) | instskip(NEXT) | instid1(VALU_DEP_4)
	v_max_i16 v5, v5, s6
	v_max_i16 v6, v6, s6
	s_delay_alu instid0(VALU_DEP_4) | instskip(NEXT) | instid1(VALU_DEP_4)
	v_max_i16 v7, v7, s6
	v_and_b32_e32 v4, 0xff, v4
	s_delay_alu instid0(VALU_DEP_4) | instskip(NEXT) | instid1(VALU_DEP_4)
	v_lshlrev_b16 v5, 8, v5
	v_lshlrev_b16 v6, 8, v6
	s_delay_alu instid0(VALU_DEP_4) | instskip(NEXT) | instid1(VALU_DEP_3)
	v_and_b32_e32 v7, 0xff, v7
	v_or_b32_e32 v4, v4, v5
	s_delay_alu instid0(VALU_DEP_2) | instskip(NEXT) | instid1(VALU_DEP_2)
	v_or_b32_e32 v5, v7, v6
	v_and_b32_e32 v6, 0xffff, v4
	s_delay_alu instid0(VALU_DEP_2) | instskip(SKIP_1) | instid1(VALU_DEP_2)
	v_lshlrev_b32_e32 v7, 16, v5
	v_lshlrev_b64_e32 v[4:5], 2, v[0:1]
	v_or_b32_e32 v6, v6, v7
	s_delay_alu instid0(VALU_DEP_2)
	v_cmp_le_i64_e32 vcc_lo, s[2:3], v[4:5]
	global_store_b32 v[2:3], v6, off
	s_wait_alu 0xfffe
	v_add_co_u32 v2, s0, v2, s5
	s_wait_alu 0xf1ff
	v_add_co_ci_u32_e64 v3, null, 0, v3, s0
	s_or_b32 s4, vcc_lo, s4
	s_wait_alu 0xfffe
	s_and_not1_b32 exec_lo, exec_lo, s4
	s_cbranch_execnz .LBB126_24
.LBB126_25:
	s_endpgm
	.section	.rodata,"a",@progbits
	.p2align	6, 0x0
	.amdhsa_kernel _ZN2at6native12_GLOBAL__N_125multi_tensor_apply_kernelINS1_18TensorListMetadataILi1EEENS1_21BinaryOpScalarFunctorIaLi1ELi1ELi0EEEJNS0_7maximumIaEEaEEEvT_T0_DpT1_
		.amdhsa_group_segment_fixed_size 0
		.amdhsa_private_segment_fixed_size 0
		.amdhsa_kernarg_size 3632
		.amdhsa_user_sgpr_count 2
		.amdhsa_user_sgpr_dispatch_ptr 0
		.amdhsa_user_sgpr_queue_ptr 0
		.amdhsa_user_sgpr_kernarg_segment_ptr 1
		.amdhsa_user_sgpr_dispatch_id 0
		.amdhsa_user_sgpr_private_segment_size 0
		.amdhsa_wavefront_size32 1
		.amdhsa_uses_dynamic_stack 0
		.amdhsa_enable_private_segment 0
		.amdhsa_system_sgpr_workgroup_id_x 1
		.amdhsa_system_sgpr_workgroup_id_y 0
		.amdhsa_system_sgpr_workgroup_id_z 0
		.amdhsa_system_sgpr_workgroup_info 0
		.amdhsa_system_vgpr_workitem_id 0
		.amdhsa_next_free_vgpr 21
		.amdhsa_next_free_sgpr 24
		.amdhsa_reserve_vcc 1
		.amdhsa_float_round_mode_32 0
		.amdhsa_float_round_mode_16_64 0
		.amdhsa_float_denorm_mode_32 3
		.amdhsa_float_denorm_mode_16_64 3
		.amdhsa_fp16_overflow 0
		.amdhsa_workgroup_processor_mode 1
		.amdhsa_memory_ordered 1
		.amdhsa_forward_progress 1
		.amdhsa_inst_pref_size 13
		.amdhsa_round_robin_scheduling 0
		.amdhsa_exception_fp_ieee_invalid_op 0
		.amdhsa_exception_fp_denorm_src 0
		.amdhsa_exception_fp_ieee_div_zero 0
		.amdhsa_exception_fp_ieee_overflow 0
		.amdhsa_exception_fp_ieee_underflow 0
		.amdhsa_exception_fp_ieee_inexact 0
		.amdhsa_exception_int_div_zero 0
	.end_amdhsa_kernel
	.section	.text._ZN2at6native12_GLOBAL__N_125multi_tensor_apply_kernelINS1_18TensorListMetadataILi1EEENS1_21BinaryOpScalarFunctorIaLi1ELi1ELi0EEEJNS0_7maximumIaEEaEEEvT_T0_DpT1_,"axG",@progbits,_ZN2at6native12_GLOBAL__N_125multi_tensor_apply_kernelINS1_18TensorListMetadataILi1EEENS1_21BinaryOpScalarFunctorIaLi1ELi1ELi0EEEJNS0_7maximumIaEEaEEEvT_T0_DpT1_,comdat
.Lfunc_end126:
	.size	_ZN2at6native12_GLOBAL__N_125multi_tensor_apply_kernelINS1_18TensorListMetadataILi1EEENS1_21BinaryOpScalarFunctorIaLi1ELi1ELi0EEEJNS0_7maximumIaEEaEEEvT_T0_DpT1_, .Lfunc_end126-_ZN2at6native12_GLOBAL__N_125multi_tensor_apply_kernelINS1_18TensorListMetadataILi1EEENS1_21BinaryOpScalarFunctorIaLi1ELi1ELi0EEEJNS0_7maximumIaEEaEEEvT_T0_DpT1_
                                        ; -- End function
	.set _ZN2at6native12_GLOBAL__N_125multi_tensor_apply_kernelINS1_18TensorListMetadataILi1EEENS1_21BinaryOpScalarFunctorIaLi1ELi1ELi0EEEJNS0_7maximumIaEEaEEEvT_T0_DpT1_.num_vgpr, 21
	.set _ZN2at6native12_GLOBAL__N_125multi_tensor_apply_kernelINS1_18TensorListMetadataILi1EEENS1_21BinaryOpScalarFunctorIaLi1ELi1ELi0EEEJNS0_7maximumIaEEaEEEvT_T0_DpT1_.num_agpr, 0
	.set _ZN2at6native12_GLOBAL__N_125multi_tensor_apply_kernelINS1_18TensorListMetadataILi1EEENS1_21BinaryOpScalarFunctorIaLi1ELi1ELi0EEEJNS0_7maximumIaEEaEEEvT_T0_DpT1_.numbered_sgpr, 24
	.set _ZN2at6native12_GLOBAL__N_125multi_tensor_apply_kernelINS1_18TensorListMetadataILi1EEENS1_21BinaryOpScalarFunctorIaLi1ELi1ELi0EEEJNS0_7maximumIaEEaEEEvT_T0_DpT1_.num_named_barrier, 0
	.set _ZN2at6native12_GLOBAL__N_125multi_tensor_apply_kernelINS1_18TensorListMetadataILi1EEENS1_21BinaryOpScalarFunctorIaLi1ELi1ELi0EEEJNS0_7maximumIaEEaEEEvT_T0_DpT1_.private_seg_size, 0
	.set _ZN2at6native12_GLOBAL__N_125multi_tensor_apply_kernelINS1_18TensorListMetadataILi1EEENS1_21BinaryOpScalarFunctorIaLi1ELi1ELi0EEEJNS0_7maximumIaEEaEEEvT_T0_DpT1_.uses_vcc, 1
	.set _ZN2at6native12_GLOBAL__N_125multi_tensor_apply_kernelINS1_18TensorListMetadataILi1EEENS1_21BinaryOpScalarFunctorIaLi1ELi1ELi0EEEJNS0_7maximumIaEEaEEEvT_T0_DpT1_.uses_flat_scratch, 0
	.set _ZN2at6native12_GLOBAL__N_125multi_tensor_apply_kernelINS1_18TensorListMetadataILi1EEENS1_21BinaryOpScalarFunctorIaLi1ELi1ELi0EEEJNS0_7maximumIaEEaEEEvT_T0_DpT1_.has_dyn_sized_stack, 0
	.set _ZN2at6native12_GLOBAL__N_125multi_tensor_apply_kernelINS1_18TensorListMetadataILi1EEENS1_21BinaryOpScalarFunctorIaLi1ELi1ELi0EEEJNS0_7maximumIaEEaEEEvT_T0_DpT1_.has_recursion, 0
	.set _ZN2at6native12_GLOBAL__N_125multi_tensor_apply_kernelINS1_18TensorListMetadataILi1EEENS1_21BinaryOpScalarFunctorIaLi1ELi1ELi0EEEJNS0_7maximumIaEEaEEEvT_T0_DpT1_.has_indirect_call, 0
	.section	.AMDGPU.csdata,"",@progbits
; Kernel info:
; codeLenInByte = 1564
; TotalNumSgprs: 26
; NumVgprs: 21
; ScratchSize: 0
; MemoryBound: 0
; FloatMode: 240
; IeeeMode: 1
; LDSByteSize: 0 bytes/workgroup (compile time only)
; SGPRBlocks: 0
; VGPRBlocks: 2
; NumSGPRsForWavesPerEU: 26
; NumVGPRsForWavesPerEU: 21
; Occupancy: 16
; WaveLimiterHint : 0
; COMPUTE_PGM_RSRC2:SCRATCH_EN: 0
; COMPUTE_PGM_RSRC2:USER_SGPR: 2
; COMPUTE_PGM_RSRC2:TRAP_HANDLER: 0
; COMPUTE_PGM_RSRC2:TGID_X_EN: 1
; COMPUTE_PGM_RSRC2:TGID_Y_EN: 0
; COMPUTE_PGM_RSRC2:TGID_Z_EN: 0
; COMPUTE_PGM_RSRC2:TIDIG_COMP_CNT: 0
	.section	.text._ZN2at6native12_GLOBAL__N_125multi_tensor_apply_kernelINS1_18TensorListMetadataILi1EEENS1_21BinaryOpScalarFunctorIiLi1ELi1ELi0EEEJNS0_7maximumIiEEiEEEvT_T0_DpT1_,"axG",@progbits,_ZN2at6native12_GLOBAL__N_125multi_tensor_apply_kernelINS1_18TensorListMetadataILi1EEENS1_21BinaryOpScalarFunctorIiLi1ELi1ELi0EEEJNS0_7maximumIiEEiEEEvT_T0_DpT1_,comdat
	.globl	_ZN2at6native12_GLOBAL__N_125multi_tensor_apply_kernelINS1_18TensorListMetadataILi1EEENS1_21BinaryOpScalarFunctorIiLi1ELi1ELi0EEEJNS0_7maximumIiEEiEEEvT_T0_DpT1_ ; -- Begin function _ZN2at6native12_GLOBAL__N_125multi_tensor_apply_kernelINS1_18TensorListMetadataILi1EEENS1_21BinaryOpScalarFunctorIiLi1ELi1ELi0EEEJNS0_7maximumIiEEiEEEvT_T0_DpT1_
	.p2align	8
	.type	_ZN2at6native12_GLOBAL__N_125multi_tensor_apply_kernelINS1_18TensorListMetadataILi1EEENS1_21BinaryOpScalarFunctorIiLi1ELi1ELi0EEEJNS0_7maximumIiEEiEEEvT_T0_DpT1_,@function
_ZN2at6native12_GLOBAL__N_125multi_tensor_apply_kernelINS1_18TensorListMetadataILi1EEENS1_21BinaryOpScalarFunctorIiLi1ELi1ELi0EEEJNS0_7maximumIiEEiEEEvT_T0_DpT1_: ; @_ZN2at6native12_GLOBAL__N_125multi_tensor_apply_kernelINS1_18TensorListMetadataILi1EEENS1_21BinaryOpScalarFunctorIiLi1ELi1ELi0EEEJNS0_7maximumIiEEiEEEvT_T0_DpT1_
; %bb.0:
	s_load_u8 s8, s[0:1], ttmp9 offset:0x6e0
	s_mov_b32 s2, ttmp9
	s_mov_b32 s3, 0
	s_delay_alu instid0(SALU_CYCLE_1)
	s_mul_u64 s[4:5], s[2:3], 3
	s_add_nc_u64 s[6:7], s[0:1], s[2:3]
	s_mov_b32 s13, s3
	s_add_nc_u64 s[4:5], s[6:7], s[4:5]
	s_load_b32 s4, s[4:5], 0x820
	s_wait_kmcnt 0x0
	s_lshl_b32 s2, s8, 3
	s_clause 0x2
	s_load_b64 s[6:7], s[0:1], s2 offset:0x0
	s_load_b64 s[10:11], s[0:1], s2 offset:0x370
	s_load_b32 s22, s[0:1], 0xd2c
	s_ashr_i32 s5, s4, 31
	s_delay_alu instid0(SALU_CYCLE_1)
	s_lshl_b64 s[8:9], s[4:5], 18
	s_lshl_b64 s[4:5], s[4:5], 16
	s_wait_kmcnt 0x0
	s_and_b32 s2, s6, 15
	s_and_b32 s12, s10, 3
	s_sub_nc_u64 s[10:11], s[10:11], s[4:5]
	s_or_b64 s[2:3], s[2:3], s[12:13]
	s_delay_alu instid0(SALU_CYCLE_1)
	s_cmp_eq_u64 s[2:3], 0
	s_cbranch_scc1 .LBB127_21
; %bb.1:
	v_cmp_lt_i64_e64 s2, s[10:11], 1
	s_and_b32 vcc_lo, exec_lo, s2
	s_cbranch_vccnz .LBB127_20
; %bb.2:
	s_load_b32 s2, s[0:1], 0xd3c
	v_cmp_gt_i64_e64 s12, 0x10000, s[10:11]
	v_lshlrev_b32_e32 v1, 2, v0
	s_add_nc_u64 s[4:5], s[6:7], s[8:9]
	s_mov_b32 s3, 0
	v_cmp_gt_u64_e64 s16, 0x10000, s[10:11]
	s_mov_b32 s13, s3
	v_add_co_u32 v1, s14, s4, v1
	s_and_b32 s12, s12, exec_lo
	v_add_co_ci_u32_e64 v2, null, s5, 0, s14
	s_cselect_b32 s15, s11, 0
	s_cselect_b32 s14, s10, 0x10000
	s_wait_kmcnt 0x0
	s_and_b32 s2, s2, 0xffff
	s_and_b32 s12, s16, exec_lo
	s_mul_u64 s[18:19], s[2:3], 12
	v_add_co_u32 v5, s3, v0, s2
	s_cselect_b32 s17, s11, 0
	s_cselect_b32 s16, s10, 0x10000
	s_lshl_b32 s20, s2, 1
	v_lshlrev_b32_e32 v3, 2, v5
	s_mul_i32 s21, s2, 3
	v_add_co_ci_u32_e64 v8, null, 0, 0, s3
	v_add_co_u32 v9, s3, s20, v0
	v_add_co_u32 v6, s21, s21, v0
	s_wait_alu 0xf1ff
	v_add_co_ci_u32_e64 v10, null, 0, 0, s3
	v_add_co_u32 v3, s3, s4, v3
	v_add_co_ci_u32_e64 v7, null, 0, 0, s21
	s_wait_alu 0xf1ff
	v_add_co_ci_u32_e64 v4, null, s5, 0, s3
	s_lshl_b32 s12, s2, 2
	s_lshl_b32 s23, s2, 4
	;; [unrolled: 1-line block ×3, first 2 shown]
	s_mov_b64 s[20:21], 0
	s_branch .LBB127_4
.LBB127_3:                              ;   in Loop: Header=BB127_4 Depth=1
	s_wait_alu 0xfffe
	s_or_b32 exec_lo, exec_lo, s2
	s_add_nc_u64 s[20:21], s[20:21], s[12:13]
	v_add_co_u32 v1, vcc_lo, v1, s23
	s_wait_alu 0xfffe
	v_cmp_lt_i64_e64 s2, s[20:21], s[14:15]
	s_wait_alu 0xfffd
	v_add_co_ci_u32_e64 v2, null, 0, v2, vcc_lo
	v_add_co_u32 v3, vcc_lo, v3, s23
	s_wait_alu 0xfffd
	v_add_co_ci_u32_e64 v4, null, 0, v4, vcc_lo
	s_and_b32 vcc_lo, exec_lo, s2
	s_wait_alu 0xfffe
	s_cbranch_vccz .LBB127_20
.LBB127_4:                              ; =>This Inner Loop Header: Depth=1
	s_wait_loadcnt 0x0
	s_wait_alu 0xfffe
	v_add_co_u32 v11, s2, v0, s20
	s_wait_alu 0xf1ff
	v_add_co_ci_u32_e64 v12, null, 0, s21, s2
	s_delay_alu instid0(VALU_DEP_1)
	v_cmp_gt_u64_e32 vcc_lo, s[16:17], v[11:12]
	v_mov_b32_e32 v11, 0
	s_and_saveexec_b32 s2, vcc_lo
	s_cbranch_execz .LBB127_6
; %bb.5:                                ;   in Loop: Header=BB127_4 Depth=1
	global_load_b32 v11, v[1:2], off
.LBB127_6:                              ;   in Loop: Header=BB127_4 Depth=1
	s_wait_alu 0xfffe
	s_or_b32 exec_lo, exec_lo, s2
	v_add_co_u32 v12, s2, v5, s20
	s_wait_alu 0xf1ff
	v_add_co_ci_u32_e64 v13, null, s21, v8, s2
	s_delay_alu instid0(VALU_DEP_1)
	v_cmp_gt_u64_e64 s2, s[16:17], v[12:13]
	v_dual_mov_b32 v12, 0 :: v_dual_mov_b32 v13, 0
	s_and_saveexec_b32 s3, s2
	s_cbranch_execz .LBB127_8
; %bb.7:                                ;   in Loop: Header=BB127_4 Depth=1
	global_load_b32 v13, v[3:4], off
.LBB127_8:                              ;   in Loop: Header=BB127_4 Depth=1
	s_wait_alu 0xfffe
	s_or_b32 exec_lo, exec_lo, s3
	v_add_co_u32 v14, s3, v9, s20
	s_wait_alu 0xf1ff
	v_add_co_ci_u32_e64 v15, null, s21, v10, s3
	s_delay_alu instid0(VALU_DEP_1)
	v_cmp_gt_u64_e64 s3, s[16:17], v[14:15]
	s_and_saveexec_b32 s5, s3
	s_cbranch_execz .LBB127_10
; %bb.9:                                ;   in Loop: Header=BB127_4 Depth=1
	v_add_co_u32 v14, s4, v1, s24
	s_wait_alu 0xf1ff
	v_add_co_ci_u32_e64 v15, null, 0, v2, s4
	global_load_b32 v12, v[14:15], off
.LBB127_10:                             ;   in Loop: Header=BB127_4 Depth=1
	s_wait_alu 0xfffe
	s_or_b32 exec_lo, exec_lo, s5
	v_add_co_u32 v14, s4, v6, s20
	s_wait_alu 0xf1ff
	v_add_co_ci_u32_e64 v15, null, s21, v7, s4
	s_delay_alu instid0(VALU_DEP_1)
	v_cmp_gt_u64_e64 s4, s[16:17], v[14:15]
	v_mov_b32_e32 v14, 0
	s_and_saveexec_b32 s25, s4
	s_cbranch_execnz .LBB127_15
; %bb.11:                               ;   in Loop: Header=BB127_4 Depth=1
	s_wait_alu 0xfffe
	s_or_b32 exec_lo, exec_lo, s25
	s_and_saveexec_b32 s5, vcc_lo
	s_cbranch_execnz .LBB127_16
.LBB127_12:                             ;   in Loop: Header=BB127_4 Depth=1
	s_wait_alu 0xfffe
	s_or_b32 exec_lo, exec_lo, s5
	s_and_saveexec_b32 s5, s2
	s_cbranch_execnz .LBB127_17
.LBB127_13:                             ;   in Loop: Header=BB127_4 Depth=1
	s_wait_alu 0xfffe
	s_or_b32 exec_lo, exec_lo, s5
	s_and_saveexec_b32 s2, s3
	s_cbranch_execnz .LBB127_18
.LBB127_14:                             ;   in Loop: Header=BB127_4 Depth=1
	s_wait_alu 0xfffe
	s_or_b32 exec_lo, exec_lo, s2
	s_and_saveexec_b32 s2, s4
	s_cbranch_execz .LBB127_3
	s_branch .LBB127_19
.LBB127_15:                             ;   in Loop: Header=BB127_4 Depth=1
	v_add_co_u32 v14, s5, v1, s18
	s_wait_alu 0xf1ff
	v_add_co_ci_u32_e64 v15, null, s19, v2, s5
	global_load_b32 v14, v[14:15], off
	s_wait_alu 0xfffe
	s_or_b32 exec_lo, exec_lo, s25
	s_and_saveexec_b32 s5, vcc_lo
	s_cbranch_execz .LBB127_12
.LBB127_16:                             ;   in Loop: Header=BB127_4 Depth=1
	s_wait_loadcnt 0x0
	v_max_i32_e32 v11, s22, v11
	global_store_b32 v[1:2], v11, off
	s_wait_alu 0xfffe
	s_or_b32 exec_lo, exec_lo, s5
	s_and_saveexec_b32 s5, s2
	s_cbranch_execz .LBB127_13
.LBB127_17:                             ;   in Loop: Header=BB127_4 Depth=1
	s_wait_loadcnt 0x0
	v_max_i32_e32 v11, s22, v13
	global_store_b32 v[3:4], v11, off
	s_wait_alu 0xfffe
	s_or_b32 exec_lo, exec_lo, s5
	s_and_saveexec_b32 s2, s3
	s_cbranch_execz .LBB127_14
.LBB127_18:                             ;   in Loop: Header=BB127_4 Depth=1
	s_wait_loadcnt 0x0
	v_add_co_u32 v11, vcc_lo, v1, s24
	v_max_i32_e32 v13, s22, v12
	s_wait_alu 0xfffd
	v_add_co_ci_u32_e64 v12, null, 0, v2, vcc_lo
	global_store_b32 v[11:12], v13, off
	s_wait_alu 0xfffe
	s_or_b32 exec_lo, exec_lo, s2
	s_and_saveexec_b32 s2, s4
	s_cbranch_execz .LBB127_3
.LBB127_19:                             ;   in Loop: Header=BB127_4 Depth=1
	s_wait_loadcnt 0x0
	v_add_co_u32 v11, vcc_lo, v1, s18
	v_max_i32_e32 v13, s22, v14
	s_wait_alu 0xfffd
	v_add_co_ci_u32_e64 v12, null, s19, v2, vcc_lo
	global_store_b32 v[11:12], v13, off
	s_branch .LBB127_3
.LBB127_20:
	s_cbranch_execz .LBB127_22
	s_branch .LBB127_25
.LBB127_21:
.LBB127_22:
	v_cmp_gt_i64_e64 s2, 0x10000, s[10:11]
	v_dual_mov_b32 v2, 0 :: v_dual_lshlrev_b32 v1, 2, v0
	s_mov_b32 s4, 0
	s_mov_b32 s5, exec_lo
	s_and_b32 s2, s2, exec_lo
	s_cselect_b32 s3, s11, 0
	s_cselect_b32 s2, s10, 0x10000
	s_wait_alu 0xfffe
	v_cmpx_gt_i64_e64 s[2:3], v[1:2]
	s_cbranch_execz .LBB127_25
; %bb.23:
	s_load_b32 s5, s[0:1], 0xd3c
	v_lshlrev_b32_e32 v1, 4, v0
	s_add_nc_u64 s[0:1], s[6:7], s[8:9]
	s_delay_alu instid0(VALU_DEP_1) | instid1(SALU_CYCLE_1)
	v_add_co_u32 v3, s0, s0, v1
	s_wait_alu 0xf1ff
	v_add_co_ci_u32_e64 v4, null, s1, 0, s0
	v_mov_b32_e32 v1, v2
	s_delay_alu instid0(VALU_DEP_3) | instskip(SKIP_1) | instid1(VALU_DEP_3)
	v_add_co_u32 v2, vcc_lo, v3, 8
	s_wait_alu 0xfffd
	v_add_co_ci_u32_e64 v3, null, 0, v4, vcc_lo
	s_wait_kmcnt 0x0
	s_and_b32 s1, s5, 0xffff
	s_wait_alu 0xfffe
	s_lshl_b32 s5, s1, 4
.LBB127_24:                             ; =>This Inner Loop Header: Depth=1
	global_load_b128 v[4:7], v[2:3], off offset:-8
	v_add_co_u32 v0, vcc_lo, v0, s1
	s_wait_alu 0xfffd
	v_add_co_ci_u32_e64 v1, null, 0, v1, vcc_lo
	s_delay_alu instid0(VALU_DEP_1) | instskip(NEXT) | instid1(VALU_DEP_1)
	v_lshlrev_b64_e32 v[8:9], 2, v[0:1]
	v_cmp_le_i64_e32 vcc_lo, s[2:3], v[8:9]
	s_or_b32 s4, vcc_lo, s4
	s_wait_loadcnt 0x0
	v_max_i32_e32 v4, s22, v4
	v_max_i32_e32 v5, s22, v5
	;; [unrolled: 1-line block ×4, first 2 shown]
	global_store_b128 v[2:3], v[4:7], off offset:-8
	s_wait_alu 0xfffe
	v_add_co_u32 v2, s0, v2, s5
	s_wait_alu 0xf1ff
	v_add_co_ci_u32_e64 v3, null, 0, v3, s0
	s_and_not1_b32 exec_lo, exec_lo, s4
	s_cbranch_execnz .LBB127_24
.LBB127_25:
	s_endpgm
	.section	.rodata,"a",@progbits
	.p2align	6, 0x0
	.amdhsa_kernel _ZN2at6native12_GLOBAL__N_125multi_tensor_apply_kernelINS1_18TensorListMetadataILi1EEENS1_21BinaryOpScalarFunctorIiLi1ELi1ELi0EEEJNS0_7maximumIiEEiEEEvT_T0_DpT1_
		.amdhsa_group_segment_fixed_size 0
		.amdhsa_private_segment_fixed_size 0
		.amdhsa_kernarg_size 3632
		.amdhsa_user_sgpr_count 2
		.amdhsa_user_sgpr_dispatch_ptr 0
		.amdhsa_user_sgpr_queue_ptr 0
		.amdhsa_user_sgpr_kernarg_segment_ptr 1
		.amdhsa_user_sgpr_dispatch_id 0
		.amdhsa_user_sgpr_private_segment_size 0
		.amdhsa_wavefront_size32 1
		.amdhsa_uses_dynamic_stack 0
		.amdhsa_enable_private_segment 0
		.amdhsa_system_sgpr_workgroup_id_x 1
		.amdhsa_system_sgpr_workgroup_id_y 0
		.amdhsa_system_sgpr_workgroup_id_z 0
		.amdhsa_system_sgpr_workgroup_info 0
		.amdhsa_system_vgpr_workitem_id 0
		.amdhsa_next_free_vgpr 16
		.amdhsa_next_free_sgpr 26
		.amdhsa_reserve_vcc 1
		.amdhsa_float_round_mode_32 0
		.amdhsa_float_round_mode_16_64 0
		.amdhsa_float_denorm_mode_32 3
		.amdhsa_float_denorm_mode_16_64 3
		.amdhsa_fp16_overflow 0
		.amdhsa_workgroup_processor_mode 1
		.amdhsa_memory_ordered 1
		.amdhsa_forward_progress 1
		.amdhsa_inst_pref_size 10
		.amdhsa_round_robin_scheduling 0
		.amdhsa_exception_fp_ieee_invalid_op 0
		.amdhsa_exception_fp_denorm_src 0
		.amdhsa_exception_fp_ieee_div_zero 0
		.amdhsa_exception_fp_ieee_overflow 0
		.amdhsa_exception_fp_ieee_underflow 0
		.amdhsa_exception_fp_ieee_inexact 0
		.amdhsa_exception_int_div_zero 0
	.end_amdhsa_kernel
	.section	.text._ZN2at6native12_GLOBAL__N_125multi_tensor_apply_kernelINS1_18TensorListMetadataILi1EEENS1_21BinaryOpScalarFunctorIiLi1ELi1ELi0EEEJNS0_7maximumIiEEiEEEvT_T0_DpT1_,"axG",@progbits,_ZN2at6native12_GLOBAL__N_125multi_tensor_apply_kernelINS1_18TensorListMetadataILi1EEENS1_21BinaryOpScalarFunctorIiLi1ELi1ELi0EEEJNS0_7maximumIiEEiEEEvT_T0_DpT1_,comdat
.Lfunc_end127:
	.size	_ZN2at6native12_GLOBAL__N_125multi_tensor_apply_kernelINS1_18TensorListMetadataILi1EEENS1_21BinaryOpScalarFunctorIiLi1ELi1ELi0EEEJNS0_7maximumIiEEiEEEvT_T0_DpT1_, .Lfunc_end127-_ZN2at6native12_GLOBAL__N_125multi_tensor_apply_kernelINS1_18TensorListMetadataILi1EEENS1_21BinaryOpScalarFunctorIiLi1ELi1ELi0EEEJNS0_7maximumIiEEiEEEvT_T0_DpT1_
                                        ; -- End function
	.set _ZN2at6native12_GLOBAL__N_125multi_tensor_apply_kernelINS1_18TensorListMetadataILi1EEENS1_21BinaryOpScalarFunctorIiLi1ELi1ELi0EEEJNS0_7maximumIiEEiEEEvT_T0_DpT1_.num_vgpr, 16
	.set _ZN2at6native12_GLOBAL__N_125multi_tensor_apply_kernelINS1_18TensorListMetadataILi1EEENS1_21BinaryOpScalarFunctorIiLi1ELi1ELi0EEEJNS0_7maximumIiEEiEEEvT_T0_DpT1_.num_agpr, 0
	.set _ZN2at6native12_GLOBAL__N_125multi_tensor_apply_kernelINS1_18TensorListMetadataILi1EEENS1_21BinaryOpScalarFunctorIiLi1ELi1ELi0EEEJNS0_7maximumIiEEiEEEvT_T0_DpT1_.numbered_sgpr, 26
	.set _ZN2at6native12_GLOBAL__N_125multi_tensor_apply_kernelINS1_18TensorListMetadataILi1EEENS1_21BinaryOpScalarFunctorIiLi1ELi1ELi0EEEJNS0_7maximumIiEEiEEEvT_T0_DpT1_.num_named_barrier, 0
	.set _ZN2at6native12_GLOBAL__N_125multi_tensor_apply_kernelINS1_18TensorListMetadataILi1EEENS1_21BinaryOpScalarFunctorIiLi1ELi1ELi0EEEJNS0_7maximumIiEEiEEEvT_T0_DpT1_.private_seg_size, 0
	.set _ZN2at6native12_GLOBAL__N_125multi_tensor_apply_kernelINS1_18TensorListMetadataILi1EEENS1_21BinaryOpScalarFunctorIiLi1ELi1ELi0EEEJNS0_7maximumIiEEiEEEvT_T0_DpT1_.uses_vcc, 1
	.set _ZN2at6native12_GLOBAL__N_125multi_tensor_apply_kernelINS1_18TensorListMetadataILi1EEENS1_21BinaryOpScalarFunctorIiLi1ELi1ELi0EEEJNS0_7maximumIiEEiEEEvT_T0_DpT1_.uses_flat_scratch, 0
	.set _ZN2at6native12_GLOBAL__N_125multi_tensor_apply_kernelINS1_18TensorListMetadataILi1EEENS1_21BinaryOpScalarFunctorIiLi1ELi1ELi0EEEJNS0_7maximumIiEEiEEEvT_T0_DpT1_.has_dyn_sized_stack, 0
	.set _ZN2at6native12_GLOBAL__N_125multi_tensor_apply_kernelINS1_18TensorListMetadataILi1EEENS1_21BinaryOpScalarFunctorIiLi1ELi1ELi0EEEJNS0_7maximumIiEEiEEEvT_T0_DpT1_.has_recursion, 0
	.set _ZN2at6native12_GLOBAL__N_125multi_tensor_apply_kernelINS1_18TensorListMetadataILi1EEENS1_21BinaryOpScalarFunctorIiLi1ELi1ELi0EEEJNS0_7maximumIiEEiEEEvT_T0_DpT1_.has_indirect_call, 0
	.section	.AMDGPU.csdata,"",@progbits
; Kernel info:
; codeLenInByte = 1256
; TotalNumSgprs: 28
; NumVgprs: 16
; ScratchSize: 0
; MemoryBound: 0
; FloatMode: 240
; IeeeMode: 1
; LDSByteSize: 0 bytes/workgroup (compile time only)
; SGPRBlocks: 0
; VGPRBlocks: 1
; NumSGPRsForWavesPerEU: 28
; NumVGPRsForWavesPerEU: 16
; Occupancy: 16
; WaveLimiterHint : 0
; COMPUTE_PGM_RSRC2:SCRATCH_EN: 0
; COMPUTE_PGM_RSRC2:USER_SGPR: 2
; COMPUTE_PGM_RSRC2:TRAP_HANDLER: 0
; COMPUTE_PGM_RSRC2:TGID_X_EN: 1
; COMPUTE_PGM_RSRC2:TGID_Y_EN: 0
; COMPUTE_PGM_RSRC2:TGID_Z_EN: 0
; COMPUTE_PGM_RSRC2:TIDIG_COMP_CNT: 0
	.section	.text._ZN2at6native12_GLOBAL__N_125multi_tensor_apply_kernelINS1_18TensorListMetadataILi1EEENS1_21BinaryOpScalarFunctorIlLi1ELi1ELi0EEEJNS0_7maximumIlEElEEEvT_T0_DpT1_,"axG",@progbits,_ZN2at6native12_GLOBAL__N_125multi_tensor_apply_kernelINS1_18TensorListMetadataILi1EEENS1_21BinaryOpScalarFunctorIlLi1ELi1ELi0EEEJNS0_7maximumIlEElEEEvT_T0_DpT1_,comdat
	.globl	_ZN2at6native12_GLOBAL__N_125multi_tensor_apply_kernelINS1_18TensorListMetadataILi1EEENS1_21BinaryOpScalarFunctorIlLi1ELi1ELi0EEEJNS0_7maximumIlEElEEEvT_T0_DpT1_ ; -- Begin function _ZN2at6native12_GLOBAL__N_125multi_tensor_apply_kernelINS1_18TensorListMetadataILi1EEENS1_21BinaryOpScalarFunctorIlLi1ELi1ELi0EEEJNS0_7maximumIlEElEEEvT_T0_DpT1_
	.p2align	8
	.type	_ZN2at6native12_GLOBAL__N_125multi_tensor_apply_kernelINS1_18TensorListMetadataILi1EEENS1_21BinaryOpScalarFunctorIlLi1ELi1ELi0EEEJNS0_7maximumIlEElEEEvT_T0_DpT1_,@function
_ZN2at6native12_GLOBAL__N_125multi_tensor_apply_kernelINS1_18TensorListMetadataILi1EEENS1_21BinaryOpScalarFunctorIlLi1ELi1ELi0EEEJNS0_7maximumIlEElEEEvT_T0_DpT1_: ; @_ZN2at6native12_GLOBAL__N_125multi_tensor_apply_kernelINS1_18TensorListMetadataILi1EEENS1_21BinaryOpScalarFunctorIlLi1ELi1ELi0EEEJNS0_7maximumIlEElEEEvT_T0_DpT1_
; %bb.0:
	s_load_u8 s8, s[0:1], ttmp9 offset:0x6e0
	s_mov_b32 s2, ttmp9
	s_mov_b32 s3, 0
	s_delay_alu instid0(SALU_CYCLE_1)
	s_mul_u64 s[4:5], s[2:3], 3
	s_add_nc_u64 s[6:7], s[0:1], s[2:3]
	s_mov_b32 s15, s3
	s_add_nc_u64 s[4:5], s[6:7], s[4:5]
	s_load_b32 s4, s[4:5], 0x820
	s_wait_kmcnt 0x0
	s_lshl_b32 s2, s8, 3
	s_clause 0x2
	s_load_b64 s[8:9], s[0:1], s2 offset:0x0
	s_load_b64 s[12:13], s[0:1], s2 offset:0x370
	s_load_b64 s[6:7], s[0:1], 0xd30
	s_ashr_i32 s5, s4, 31
	s_delay_alu instid0(SALU_CYCLE_1)
	s_lshl_b64 s[10:11], s[4:5], 19
	s_lshl_b64 s[4:5], s[4:5], 16
	s_wait_kmcnt 0x0
	s_and_b32 s2, s8, 31
	s_and_b32 s14, s12, 3
	s_sub_nc_u64 s[12:13], s[12:13], s[4:5]
	s_or_b64 s[2:3], s[2:3], s[14:15]
	s_delay_alu instid0(SALU_CYCLE_1)
	s_cmp_eq_u64 s[2:3], 0
	s_cbranch_scc1 .LBB128_21
; %bb.1:
	v_cmp_lt_i64_e64 s2, s[12:13], 1
	s_and_b32 vcc_lo, exec_lo, s2
	s_cbranch_vccnz .LBB128_20
; %bb.2:
	s_load_b32 s2, s[0:1], 0xd44
	v_cmp_gt_i64_e64 s14, 0x10000, s[12:13]
	v_lshlrev_b32_e32 v1, 3, v0
	s_add_nc_u64 s[4:5], s[8:9], s[10:11]
	s_mov_b32 s3, 0
	v_cmp_gt_u64_e64 s18, 0x10000, s[12:13]
	s_mov_b32 s15, s3
	v_add_co_u32 v1, s16, s4, v1
	s_and_b32 s14, s14, exec_lo
	v_add_co_ci_u32_e64 v2, null, s5, 0, s16
	s_cselect_b32 s17, s13, 0
	s_cselect_b32 s16, s12, 0x10000
	s_wait_kmcnt 0x0
	s_and_b32 s2, s2, 0xffff
	s_and_b32 s14, s18, exec_lo
	s_mul_u64 s[20:21], s[2:3], 24
	v_add_co_u32 v13, s3, v0, s2
	s_cselect_b32 s19, s13, 0
	s_cselect_b32 s18, s12, 0x10000
	s_lshl_b32 s22, s2, 1
	v_lshlrev_b32_e32 v3, 3, v13
	s_mul_i32 s23, s2, 3
	v_add_co_ci_u32_e64 v16, null, 0, 0, s3
	v_add_co_u32 v17, s3, s22, v0
	v_add_co_u32 v14, s23, s23, v0
	s_wait_alu 0xf1ff
	v_add_co_ci_u32_e64 v18, null, 0, 0, s3
	v_add_co_u32 v3, s3, s4, v3
	v_add_co_ci_u32_e64 v15, null, 0, 0, s23
	s_wait_alu 0xf1ff
	v_add_co_ci_u32_e64 v4, null, s5, 0, s3
	s_lshl_b32 s14, s2, 2
	s_lshl_b32 s24, s2, 5
	;; [unrolled: 1-line block ×3, first 2 shown]
	s_mov_b64 s[22:23], 0
	s_branch .LBB128_4
.LBB128_3:                              ;   in Loop: Header=BB128_4 Depth=1
	s_wait_alu 0xfffe
	s_or_b32 exec_lo, exec_lo, s2
	s_add_nc_u64 s[22:23], s[22:23], s[14:15]
	v_add_co_u32 v1, vcc_lo, v1, s24
	s_wait_alu 0xfffe
	v_cmp_lt_i64_e64 s2, s[22:23], s[16:17]
	s_wait_alu 0xfffd
	v_add_co_ci_u32_e64 v2, null, 0, v2, vcc_lo
	v_add_co_u32 v3, vcc_lo, v3, s24
	s_wait_alu 0xfffd
	v_add_co_ci_u32_e64 v4, null, 0, v4, vcc_lo
	s_and_b32 vcc_lo, exec_lo, s2
	s_wait_alu 0xfffe
	s_cbranch_vccz .LBB128_20
.LBB128_4:                              ; =>This Inner Loop Header: Depth=1
	s_wait_loadcnt 0x0
	s_wait_alu 0xfffe
	v_add_co_u32 v7, s2, v0, s22
	s_wait_alu 0xf1ff
	v_add_co_ci_u32_e64 v8, null, 0, s23, s2
	v_mov_b32_e32 v5, 0
	v_dual_mov_b32 v6, 0 :: v_dual_mov_b32 v9, 0
	s_delay_alu instid0(VALU_DEP_3)
	v_cmp_gt_u64_e32 vcc_lo, s[18:19], v[7:8]
	v_mov_b32_e32 v10, 0
	s_and_saveexec_b32 s2, vcc_lo
	s_cbranch_execz .LBB128_6
; %bb.5:                                ;   in Loop: Header=BB128_4 Depth=1
	global_load_b64 v[9:10], v[1:2], off
.LBB128_6:                              ;   in Loop: Header=BB128_4 Depth=1
	s_wait_alu 0xfffe
	s_or_b32 exec_lo, exec_lo, s2
	v_add_co_u32 v7, s2, v13, s22
	s_wait_alu 0xf1ff
	v_add_co_ci_u32_e64 v8, null, s23, v16, s2
	s_delay_alu instid0(VALU_DEP_1)
	v_cmp_gt_u64_e64 s2, s[18:19], v[7:8]
	s_and_saveexec_b32 s3, s2
	s_cbranch_execz .LBB128_8
; %bb.7:                                ;   in Loop: Header=BB128_4 Depth=1
	global_load_b64 v[5:6], v[3:4], off
.LBB128_8:                              ;   in Loop: Header=BB128_4 Depth=1
	s_wait_alu 0xfffe
	s_or_b32 exec_lo, exec_lo, s3
	v_add_co_u32 v11, s3, v17, s22
	s_wait_alu 0xf1ff
	v_add_co_ci_u32_e64 v12, null, s23, v18, s3
	v_mov_b32_e32 v7, 0
	v_mov_b32_e32 v8, 0
	s_delay_alu instid0(VALU_DEP_3)
	v_cmp_gt_u64_e64 s3, s[18:19], v[11:12]
	v_mov_b32_e32 v11, 0
	v_mov_b32_e32 v12, 0
	s_and_saveexec_b32 s5, s3
	s_cbranch_execz .LBB128_10
; %bb.9:                                ;   in Loop: Header=BB128_4 Depth=1
	v_add_co_u32 v11, s4, v1, s25
	s_wait_alu 0xf1ff
	v_add_co_ci_u32_e64 v12, null, 0, v2, s4
	global_load_b64 v[11:12], v[11:12], off
.LBB128_10:                             ;   in Loop: Header=BB128_4 Depth=1
	s_wait_alu 0xfffe
	s_or_b32 exec_lo, exec_lo, s5
	v_add_co_u32 v19, s4, v14, s22
	s_wait_alu 0xf1ff
	v_add_co_ci_u32_e64 v20, null, s23, v15, s4
	s_delay_alu instid0(VALU_DEP_1)
	v_cmp_gt_u64_e64 s4, s[18:19], v[19:20]
	s_and_saveexec_b32 s26, s4
	s_cbranch_execnz .LBB128_15
; %bb.11:                               ;   in Loop: Header=BB128_4 Depth=1
	s_or_b32 exec_lo, exec_lo, s26
	s_and_saveexec_b32 s5, vcc_lo
	s_cbranch_execnz .LBB128_16
.LBB128_12:                             ;   in Loop: Header=BB128_4 Depth=1
	s_wait_alu 0xfffe
	s_or_b32 exec_lo, exec_lo, s5
	s_and_saveexec_b32 s5, s2
	s_cbranch_execnz .LBB128_17
.LBB128_13:                             ;   in Loop: Header=BB128_4 Depth=1
	s_wait_alu 0xfffe
	s_or_b32 exec_lo, exec_lo, s5
	s_and_saveexec_b32 s2, s3
	s_cbranch_execnz .LBB128_18
.LBB128_14:                             ;   in Loop: Header=BB128_4 Depth=1
	s_wait_alu 0xfffe
	s_or_b32 exec_lo, exec_lo, s2
	s_and_saveexec_b32 s2, s4
	s_cbranch_execz .LBB128_3
	s_branch .LBB128_19
.LBB128_15:                             ;   in Loop: Header=BB128_4 Depth=1
	v_add_co_u32 v7, s5, v1, s20
	s_wait_alu 0xf1ff
	v_add_co_ci_u32_e64 v8, null, s21, v2, s5
	global_load_b64 v[7:8], v[7:8], off
	s_or_b32 exec_lo, exec_lo, s26
	s_and_saveexec_b32 s5, vcc_lo
	s_cbranch_execz .LBB128_12
.LBB128_16:                             ;   in Loop: Header=BB128_4 Depth=1
	s_wait_loadcnt 0x0
	v_cmp_lt_i64_e32 vcc_lo, s[6:7], v[9:10]
	s_wait_alu 0xfffd
	v_cndmask_b32_e32 v10, s7, v10, vcc_lo
	v_cndmask_b32_e32 v9, s6, v9, vcc_lo
	global_store_b64 v[1:2], v[9:10], off
	s_wait_alu 0xfffe
	s_or_b32 exec_lo, exec_lo, s5
	s_and_saveexec_b32 s5, s2
	s_cbranch_execz .LBB128_13
.LBB128_17:                             ;   in Loop: Header=BB128_4 Depth=1
	s_wait_loadcnt 0x0
	v_cmp_lt_i64_e32 vcc_lo, s[6:7], v[5:6]
	s_wait_alu 0xfffd
	v_cndmask_b32_e32 v6, s7, v6, vcc_lo
	v_cndmask_b32_e32 v5, s6, v5, vcc_lo
	global_store_b64 v[3:4], v[5:6], off
	s_wait_alu 0xfffe
	s_or_b32 exec_lo, exec_lo, s5
	s_and_saveexec_b32 s2, s3
	s_cbranch_execz .LBB128_14
.LBB128_18:                             ;   in Loop: Header=BB128_4 Depth=1
	s_wait_loadcnt 0x0
	v_cmp_lt_i64_e32 vcc_lo, s[6:7], v[11:12]
	s_wait_alu 0xfffd
	v_cndmask_b32_e32 v6, s7, v12, vcc_lo
	v_cndmask_b32_e32 v5, s6, v11, vcc_lo
	v_add_co_u32 v9, vcc_lo, v1, s25
	s_wait_alu 0xfffd
	v_add_co_ci_u32_e64 v10, null, 0, v2, vcc_lo
	global_store_b64 v[9:10], v[5:6], off
	s_wait_alu 0xfffe
	s_or_b32 exec_lo, exec_lo, s2
	s_and_saveexec_b32 s2, s4
	s_cbranch_execz .LBB128_3
.LBB128_19:                             ;   in Loop: Header=BB128_4 Depth=1
	s_wait_loadcnt 0x0
	v_cmp_lt_i64_e32 vcc_lo, s[6:7], v[7:8]
	s_wait_alu 0xfffd
	v_cndmask_b32_e32 v6, s7, v8, vcc_lo
	v_cndmask_b32_e32 v5, s6, v7, vcc_lo
	v_add_co_u32 v7, vcc_lo, v1, s20
	s_wait_alu 0xfffd
	v_add_co_ci_u32_e64 v8, null, s21, v2, vcc_lo
	global_store_b64 v[7:8], v[5:6], off
	s_branch .LBB128_3
.LBB128_20:
	s_cbranch_execz .LBB128_22
	s_branch .LBB128_25
.LBB128_21:
.LBB128_22:
	v_cmp_gt_i64_e64 s2, 0x10000, s[12:13]
	v_dual_mov_b32 v2, 0 :: v_dual_lshlrev_b32 v1, 2, v0
	s_mov_b32 s3, 0
	s_and_b32 s2, s2, exec_lo
	s_cselect_b32 s5, s13, 0
	s_cselect_b32 s4, s12, 0x10000
	s_mov_b32 s2, exec_lo
	s_wait_alu 0xfffe
	v_cmpx_gt_i64_e64 s[4:5], v[1:2]
	s_cbranch_execz .LBB128_25
; %bb.23:
	s_load_b32 s2, s[0:1], 0xd44
	v_lshlrev_b32_e32 v1, 5, v0
	s_add_nc_u64 s[0:1], s[8:9], s[10:11]
	s_delay_alu instid0(VALU_DEP_1) | instid1(SALU_CYCLE_1)
	v_add_co_u32 v3, s0, s0, v1
	s_wait_alu 0xf1ff
	v_add_co_ci_u32_e64 v4, null, s1, 0, s0
	v_mov_b32_e32 v1, v2
	s_delay_alu instid0(VALU_DEP_3) | instskip(SKIP_1) | instid1(VALU_DEP_3)
	v_add_co_u32 v2, vcc_lo, v3, 16
	s_wait_alu 0xfffd
	v_add_co_ci_u32_e64 v3, null, 0, v4, vcc_lo
	s_wait_kmcnt 0x0
	s_and_b32 s8, s2, 0xffff
	s_delay_alu instid0(SALU_CYCLE_1)
	s_lshl_b32 s9, s8, 5
.LBB128_24:                             ; =>This Inner Loop Header: Depth=1
	s_wait_loadcnt 0x0
	s_clause 0x1
	global_load_b128 v[4:7], v[2:3], off offset:-16
	global_load_b128 v[8:11], v[2:3], off
	v_add_co_u32 v0, vcc_lo, v0, s8
	s_wait_alu 0xfffd
	v_add_co_ci_u32_e64 v1, null, 0, v1, vcc_lo
	s_delay_alu instid0(VALU_DEP_1)
	v_lshlrev_b64_e32 v[12:13], 2, v[0:1]
	s_wait_loadcnt 0x1
	v_cmp_lt_i64_e32 vcc_lo, s[6:7], v[4:5]
	v_cmp_lt_i64_e64 s0, s[6:7], v[6:7]
	s_wait_loadcnt 0x0
	v_cmp_lt_i64_e64 s1, s[6:7], v[8:9]
	v_cmp_lt_i64_e64 s2, s[6:7], v[10:11]
	s_wait_alu 0xfffd
	v_cndmask_b32_e32 v5, s7, v5, vcc_lo
	s_wait_alu 0xf1ff
	v_cndmask_b32_e64 v7, s7, v7, s0
	v_cndmask_b32_e32 v4, s6, v4, vcc_lo
	v_cndmask_b32_e64 v6, s6, v6, s0
	v_cndmask_b32_e64 v9, s7, v9, s1
	;; [unrolled: 1-line block ×5, first 2 shown]
	v_cmp_le_i64_e32 vcc_lo, s[4:5], v[12:13]
	s_clause 0x1
	global_store_b128 v[2:3], v[4:7], off offset:-16
	global_store_b128 v[2:3], v[8:11], off
	v_add_co_u32 v2, s0, v2, s9
	s_wait_alu 0xf1ff
	v_add_co_ci_u32_e64 v3, null, 0, v3, s0
	s_or_b32 s3, vcc_lo, s3
	s_wait_alu 0xfffe
	s_and_not1_b32 exec_lo, exec_lo, s3
	s_cbranch_execnz .LBB128_24
.LBB128_25:
	s_endpgm
	.section	.rodata,"a",@progbits
	.p2align	6, 0x0
	.amdhsa_kernel _ZN2at6native12_GLOBAL__N_125multi_tensor_apply_kernelINS1_18TensorListMetadataILi1EEENS1_21BinaryOpScalarFunctorIlLi1ELi1ELi0EEEJNS0_7maximumIlEElEEEvT_T0_DpT1_
		.amdhsa_group_segment_fixed_size 0
		.amdhsa_private_segment_fixed_size 0
		.amdhsa_kernarg_size 3640
		.amdhsa_user_sgpr_count 2
		.amdhsa_user_sgpr_dispatch_ptr 0
		.amdhsa_user_sgpr_queue_ptr 0
		.amdhsa_user_sgpr_kernarg_segment_ptr 1
		.amdhsa_user_sgpr_dispatch_id 0
		.amdhsa_user_sgpr_private_segment_size 0
		.amdhsa_wavefront_size32 1
		.amdhsa_uses_dynamic_stack 0
		.amdhsa_enable_private_segment 0
		.amdhsa_system_sgpr_workgroup_id_x 1
		.amdhsa_system_sgpr_workgroup_id_y 0
		.amdhsa_system_sgpr_workgroup_id_z 0
		.amdhsa_system_sgpr_workgroup_info 0
		.amdhsa_system_vgpr_workitem_id 0
		.amdhsa_next_free_vgpr 21
		.amdhsa_next_free_sgpr 27
		.amdhsa_reserve_vcc 1
		.amdhsa_float_round_mode_32 0
		.amdhsa_float_round_mode_16_64 0
		.amdhsa_float_denorm_mode_32 3
		.amdhsa_float_denorm_mode_16_64 3
		.amdhsa_fp16_overflow 0
		.amdhsa_workgroup_processor_mode 1
		.amdhsa_memory_ordered 1
		.amdhsa_forward_progress 1
		.amdhsa_inst_pref_size 12
		.amdhsa_round_robin_scheduling 0
		.amdhsa_exception_fp_ieee_invalid_op 0
		.amdhsa_exception_fp_denorm_src 0
		.amdhsa_exception_fp_ieee_div_zero 0
		.amdhsa_exception_fp_ieee_overflow 0
		.amdhsa_exception_fp_ieee_underflow 0
		.amdhsa_exception_fp_ieee_inexact 0
		.amdhsa_exception_int_div_zero 0
	.end_amdhsa_kernel
	.section	.text._ZN2at6native12_GLOBAL__N_125multi_tensor_apply_kernelINS1_18TensorListMetadataILi1EEENS1_21BinaryOpScalarFunctorIlLi1ELi1ELi0EEEJNS0_7maximumIlEElEEEvT_T0_DpT1_,"axG",@progbits,_ZN2at6native12_GLOBAL__N_125multi_tensor_apply_kernelINS1_18TensorListMetadataILi1EEENS1_21BinaryOpScalarFunctorIlLi1ELi1ELi0EEEJNS0_7maximumIlEElEEEvT_T0_DpT1_,comdat
.Lfunc_end128:
	.size	_ZN2at6native12_GLOBAL__N_125multi_tensor_apply_kernelINS1_18TensorListMetadataILi1EEENS1_21BinaryOpScalarFunctorIlLi1ELi1ELi0EEEJNS0_7maximumIlEElEEEvT_T0_DpT1_, .Lfunc_end128-_ZN2at6native12_GLOBAL__N_125multi_tensor_apply_kernelINS1_18TensorListMetadataILi1EEENS1_21BinaryOpScalarFunctorIlLi1ELi1ELi0EEEJNS0_7maximumIlEElEEEvT_T0_DpT1_
                                        ; -- End function
	.set _ZN2at6native12_GLOBAL__N_125multi_tensor_apply_kernelINS1_18TensorListMetadataILi1EEENS1_21BinaryOpScalarFunctorIlLi1ELi1ELi0EEEJNS0_7maximumIlEElEEEvT_T0_DpT1_.num_vgpr, 21
	.set _ZN2at6native12_GLOBAL__N_125multi_tensor_apply_kernelINS1_18TensorListMetadataILi1EEENS1_21BinaryOpScalarFunctorIlLi1ELi1ELi0EEEJNS0_7maximumIlEElEEEvT_T0_DpT1_.num_agpr, 0
	.set _ZN2at6native12_GLOBAL__N_125multi_tensor_apply_kernelINS1_18TensorListMetadataILi1EEENS1_21BinaryOpScalarFunctorIlLi1ELi1ELi0EEEJNS0_7maximumIlEElEEEvT_T0_DpT1_.numbered_sgpr, 27
	.set _ZN2at6native12_GLOBAL__N_125multi_tensor_apply_kernelINS1_18TensorListMetadataILi1EEENS1_21BinaryOpScalarFunctorIlLi1ELi1ELi0EEEJNS0_7maximumIlEElEEEvT_T0_DpT1_.num_named_barrier, 0
	.set _ZN2at6native12_GLOBAL__N_125multi_tensor_apply_kernelINS1_18TensorListMetadataILi1EEENS1_21BinaryOpScalarFunctorIlLi1ELi1ELi0EEEJNS0_7maximumIlEElEEEvT_T0_DpT1_.private_seg_size, 0
	.set _ZN2at6native12_GLOBAL__N_125multi_tensor_apply_kernelINS1_18TensorListMetadataILi1EEENS1_21BinaryOpScalarFunctorIlLi1ELi1ELi0EEEJNS0_7maximumIlEElEEEvT_T0_DpT1_.uses_vcc, 1
	.set _ZN2at6native12_GLOBAL__N_125multi_tensor_apply_kernelINS1_18TensorListMetadataILi1EEENS1_21BinaryOpScalarFunctorIlLi1ELi1ELi0EEEJNS0_7maximumIlEElEEEvT_T0_DpT1_.uses_flat_scratch, 0
	.set _ZN2at6native12_GLOBAL__N_125multi_tensor_apply_kernelINS1_18TensorListMetadataILi1EEENS1_21BinaryOpScalarFunctorIlLi1ELi1ELi0EEEJNS0_7maximumIlEElEEEvT_T0_DpT1_.has_dyn_sized_stack, 0
	.set _ZN2at6native12_GLOBAL__N_125multi_tensor_apply_kernelINS1_18TensorListMetadataILi1EEENS1_21BinaryOpScalarFunctorIlLi1ELi1ELi0EEEJNS0_7maximumIlEElEEEvT_T0_DpT1_.has_recursion, 0
	.set _ZN2at6native12_GLOBAL__N_125multi_tensor_apply_kernelINS1_18TensorListMetadataILi1EEENS1_21BinaryOpScalarFunctorIlLi1ELi1ELi0EEEJNS0_7maximumIlEElEEEvT_T0_DpT1_.has_indirect_call, 0
	.section	.AMDGPU.csdata,"",@progbits
; Kernel info:
; codeLenInByte = 1428
; TotalNumSgprs: 29
; NumVgprs: 21
; ScratchSize: 0
; MemoryBound: 0
; FloatMode: 240
; IeeeMode: 1
; LDSByteSize: 0 bytes/workgroup (compile time only)
; SGPRBlocks: 0
; VGPRBlocks: 2
; NumSGPRsForWavesPerEU: 29
; NumVGPRsForWavesPerEU: 21
; Occupancy: 16
; WaveLimiterHint : 0
; COMPUTE_PGM_RSRC2:SCRATCH_EN: 0
; COMPUTE_PGM_RSRC2:USER_SGPR: 2
; COMPUTE_PGM_RSRC2:TRAP_HANDLER: 0
; COMPUTE_PGM_RSRC2:TGID_X_EN: 1
; COMPUTE_PGM_RSRC2:TGID_Y_EN: 0
; COMPUTE_PGM_RSRC2:TGID_Z_EN: 0
; COMPUTE_PGM_RSRC2:TIDIG_COMP_CNT: 0
	.section	.text._ZN2at6native12_GLOBAL__N_125multi_tensor_apply_kernelINS1_18TensorListMetadataILi1EEENS1_21BinaryOpScalarFunctorIsLi1ELi1ELi0EEEJNS0_7maximumIsEEsEEEvT_T0_DpT1_,"axG",@progbits,_ZN2at6native12_GLOBAL__N_125multi_tensor_apply_kernelINS1_18TensorListMetadataILi1EEENS1_21BinaryOpScalarFunctorIsLi1ELi1ELi0EEEJNS0_7maximumIsEEsEEEvT_T0_DpT1_,comdat
	.globl	_ZN2at6native12_GLOBAL__N_125multi_tensor_apply_kernelINS1_18TensorListMetadataILi1EEENS1_21BinaryOpScalarFunctorIsLi1ELi1ELi0EEEJNS0_7maximumIsEEsEEEvT_T0_DpT1_ ; -- Begin function _ZN2at6native12_GLOBAL__N_125multi_tensor_apply_kernelINS1_18TensorListMetadataILi1EEENS1_21BinaryOpScalarFunctorIsLi1ELi1ELi0EEEJNS0_7maximumIsEEsEEEvT_T0_DpT1_
	.p2align	8
	.type	_ZN2at6native12_GLOBAL__N_125multi_tensor_apply_kernelINS1_18TensorListMetadataILi1EEENS1_21BinaryOpScalarFunctorIsLi1ELi1ELi0EEEJNS0_7maximumIsEEsEEEvT_T0_DpT1_,@function
_ZN2at6native12_GLOBAL__N_125multi_tensor_apply_kernelINS1_18TensorListMetadataILi1EEENS1_21BinaryOpScalarFunctorIsLi1ELi1ELi0EEEJNS0_7maximumIsEEsEEEvT_T0_DpT1_: ; @_ZN2at6native12_GLOBAL__N_125multi_tensor_apply_kernelINS1_18TensorListMetadataILi1EEENS1_21BinaryOpScalarFunctorIsLi1ELi1ELi0EEEJNS0_7maximumIsEEsEEEvT_T0_DpT1_
; %bb.0:
	s_load_u8 s8, s[0:1], ttmp9 offset:0x6e0
	s_mov_b32 s2, ttmp9
	s_mov_b32 s3, 0
	s_delay_alu instid0(SALU_CYCLE_1)
	s_mul_u64 s[4:5], s[2:3], 3
	s_add_nc_u64 s[6:7], s[0:1], s[2:3]
	s_mov_b32 s13, s3
	s_add_nc_u64 s[4:5], s[6:7], s[4:5]
	s_load_b32 s4, s[4:5], 0x820
	s_wait_kmcnt 0x0
	s_lshl_b32 s2, s8, 3
	s_clause 0x2
	s_load_b32 s5, s[0:1], 0xd28
	s_load_b64 s[6:7], s[0:1], s2 offset:0x0
	s_load_b64 s[10:11], s[0:1], s2 offset:0x370
	s_wait_kmcnt 0x0
	s_lshr_b32 s22, s5, 16
	s_ashr_i32 s5, s4, 31
	s_and_b32 s2, s6, 7
	s_and_b32 s12, s10, 3
	s_lshl_b64 s[8:9], s[4:5], 17
	s_or_b64 s[2:3], s[2:3], s[12:13]
	s_lshl_b64 s[4:5], s[4:5], 16
	s_cmp_eq_u64 s[2:3], 0
	s_sub_nc_u64 s[10:11], s[10:11], s[4:5]
	s_cbranch_scc1 .LBB129_21
; %bb.1:
	v_cmp_lt_i64_e64 s2, s[10:11], 1
	s_and_b32 vcc_lo, exec_lo, s2
	s_cbranch_vccnz .LBB129_20
; %bb.2:
	s_load_b32 s2, s[0:1], 0xd3c
	v_cmp_gt_i64_e64 s12, 0x10000, s[10:11]
	v_lshlrev_b32_e32 v1, 1, v0
	s_add_nc_u64 s[4:5], s[6:7], s[8:9]
	v_cmp_gt_u64_e64 s14, 0x10000, s[10:11]
	s_mov_b32 s3, 0
	v_add_co_u32 v1, s13, s4, v1
	s_and_b32 s12, s12, exec_lo
	v_add_co_ci_u32_e64 v2, null, s5, 0, s13
	s_cselect_b32 s13, s11, 0
	s_cselect_b32 s12, s10, 0x10000
	s_wait_kmcnt 0x0
	s_and_b32 s2, s2, 0xffff
	s_and_b32 s14, s14, exec_lo
	v_add_co_u32 v5, s21, v0, s2
	s_cselect_b32 s15, s11, 0
	s_cselect_b32 s14, s10, 0x10000
	s_lshl_b32 s17, s2, 1
	v_lshlrev_b32_e32 v3, 1, v5
	s_mul_i32 s20, s2, 3
	v_add_co_u32 v9, s17, s17, v0
	v_add_co_u32 v6, s20, s20, v0
	s_delay_alu instid0(VALU_DEP_3)
	v_add_co_u32 v3, s4, s4, v3
	s_wait_alu 0xf1ff
	v_add_co_ci_u32_e64 v7, null, 0, 0, s20
	v_add_co_ci_u32_e64 v8, null, 0, 0, s21
	;; [unrolled: 1-line block ×4, first 2 shown]
	s_lshl_b32 s16, s2, 2
	s_mul_u64 s[18:19], s[2:3], 6
	s_mov_b32 s17, s3
	s_lshl_b32 s23, s2, 3
	s_mov_b64 s[20:21], 0
	s_branch .LBB129_4
.LBB129_3:                              ;   in Loop: Header=BB129_4 Depth=1
	s_wait_alu 0xfffe
	s_or_b32 exec_lo, exec_lo, s2
	s_add_nc_u64 s[20:21], s[20:21], s[16:17]
	v_add_co_u32 v1, vcc_lo, v1, s23
	s_wait_alu 0xfffe
	v_cmp_lt_i64_e64 s2, s[20:21], s[12:13]
	s_wait_alu 0xfffd
	v_add_co_ci_u32_e64 v2, null, 0, v2, vcc_lo
	v_add_co_u32 v3, vcc_lo, v3, s23
	s_wait_alu 0xfffd
	v_add_co_ci_u32_e64 v4, null, 0, v4, vcc_lo
	s_and_b32 vcc_lo, exec_lo, s2
	s_wait_alu 0xfffe
	s_cbranch_vccz .LBB129_20
.LBB129_4:                              ; =>This Inner Loop Header: Depth=1
	s_wait_loadcnt 0x0
	s_wait_alu 0xfffe
	v_add_co_u32 v11, s2, v0, s20
	s_wait_alu 0xf1ff
	v_add_co_ci_u32_e64 v12, null, 0, s21, s2
	s_delay_alu instid0(VALU_DEP_1)
	v_cmp_gt_u64_e32 vcc_lo, s[14:15], v[11:12]
	v_mov_b32_e32 v11, 0
	s_and_saveexec_b32 s2, vcc_lo
	s_cbranch_execz .LBB129_6
; %bb.5:                                ;   in Loop: Header=BB129_4 Depth=1
	global_load_u16 v11, v[1:2], off
.LBB129_6:                              ;   in Loop: Header=BB129_4 Depth=1
	s_wait_alu 0xfffe
	s_or_b32 exec_lo, exec_lo, s2
	v_add_co_u32 v12, s2, v5, s20
	s_wait_alu 0xf1ff
	v_add_co_ci_u32_e64 v13, null, s21, v8, s2
	s_delay_alu instid0(VALU_DEP_1)
	v_cmp_gt_u64_e64 s2, s[14:15], v[12:13]
	v_dual_mov_b32 v12, 0 :: v_dual_mov_b32 v13, 0
	s_and_saveexec_b32 s3, s2
	s_cbranch_execz .LBB129_8
; %bb.7:                                ;   in Loop: Header=BB129_4 Depth=1
	global_load_u16 v13, v[3:4], off
.LBB129_8:                              ;   in Loop: Header=BB129_4 Depth=1
	s_wait_alu 0xfffe
	s_or_b32 exec_lo, exec_lo, s3
	v_add_co_u32 v14, s3, v9, s20
	s_wait_alu 0xf1ff
	v_add_co_ci_u32_e64 v15, null, s21, v10, s3
	s_delay_alu instid0(VALU_DEP_1)
	v_cmp_gt_u64_e64 s3, s[14:15], v[14:15]
	s_and_saveexec_b32 s5, s3
	s_cbranch_execz .LBB129_10
; %bb.9:                                ;   in Loop: Header=BB129_4 Depth=1
	v_add_co_u32 v14, s4, v1, s16
	s_wait_alu 0xf1ff
	v_add_co_ci_u32_e64 v15, null, 0, v2, s4
	global_load_u16 v12, v[14:15], off
.LBB129_10:                             ;   in Loop: Header=BB129_4 Depth=1
	s_wait_alu 0xfffe
	s_or_b32 exec_lo, exec_lo, s5
	v_add_co_u32 v14, s4, v6, s20
	s_wait_alu 0xf1ff
	v_add_co_ci_u32_e64 v15, null, s21, v7, s4
	s_delay_alu instid0(VALU_DEP_1)
	v_cmp_gt_u64_e64 s4, s[14:15], v[14:15]
	v_mov_b32_e32 v14, 0
	s_and_saveexec_b32 s24, s4
	s_cbranch_execnz .LBB129_15
; %bb.11:                               ;   in Loop: Header=BB129_4 Depth=1
	s_or_b32 exec_lo, exec_lo, s24
	s_and_saveexec_b32 s5, vcc_lo
	s_cbranch_execnz .LBB129_16
.LBB129_12:                             ;   in Loop: Header=BB129_4 Depth=1
	s_wait_alu 0xfffe
	s_or_b32 exec_lo, exec_lo, s5
	s_and_saveexec_b32 s5, s2
	s_cbranch_execnz .LBB129_17
.LBB129_13:                             ;   in Loop: Header=BB129_4 Depth=1
	s_wait_alu 0xfffe
	s_or_b32 exec_lo, exec_lo, s5
	s_and_saveexec_b32 s2, s3
	s_cbranch_execnz .LBB129_18
.LBB129_14:                             ;   in Loop: Header=BB129_4 Depth=1
	s_wait_alu 0xfffe
	s_or_b32 exec_lo, exec_lo, s2
	s_and_saveexec_b32 s2, s4
	s_cbranch_execz .LBB129_3
	s_branch .LBB129_19
.LBB129_15:                             ;   in Loop: Header=BB129_4 Depth=1
	v_add_co_u32 v14, s5, v1, s18
	s_wait_alu 0xf1ff
	v_add_co_ci_u32_e64 v15, null, s19, v2, s5
	global_load_u16 v14, v[14:15], off
	s_or_b32 exec_lo, exec_lo, s24
	s_and_saveexec_b32 s5, vcc_lo
	s_cbranch_execz .LBB129_12
.LBB129_16:                             ;   in Loop: Header=BB129_4 Depth=1
	s_wait_loadcnt 0x0
	v_max_i16 v11, v11, s22
	global_store_b16 v[1:2], v11, off
	s_wait_alu 0xfffe
	s_or_b32 exec_lo, exec_lo, s5
	s_and_saveexec_b32 s5, s2
	s_cbranch_execz .LBB129_13
.LBB129_17:                             ;   in Loop: Header=BB129_4 Depth=1
	s_wait_loadcnt 0x0
	v_max_i16 v11, v13, s22
	global_store_b16 v[3:4], v11, off
	s_wait_alu 0xfffe
	s_or_b32 exec_lo, exec_lo, s5
	s_and_saveexec_b32 s2, s3
	s_cbranch_execz .LBB129_14
.LBB129_18:                             ;   in Loop: Header=BB129_4 Depth=1
	s_wait_loadcnt 0x0
	v_add_co_u32 v11, vcc_lo, v1, s16
	v_max_i16 v13, v12, s22
	s_wait_alu 0xfffd
	v_add_co_ci_u32_e64 v12, null, 0, v2, vcc_lo
	global_store_b16 v[11:12], v13, off
	s_wait_alu 0xfffe
	s_or_b32 exec_lo, exec_lo, s2
	s_and_saveexec_b32 s2, s4
	s_cbranch_execz .LBB129_3
.LBB129_19:                             ;   in Loop: Header=BB129_4 Depth=1
	s_wait_loadcnt 0x0
	v_add_co_u32 v11, vcc_lo, v1, s18
	v_max_i16 v13, v14, s22
	s_wait_alu 0xfffd
	v_add_co_ci_u32_e64 v12, null, s19, v2, vcc_lo
	global_store_b16 v[11:12], v13, off
	s_branch .LBB129_3
.LBB129_20:
	s_cbranch_execz .LBB129_22
	s_branch .LBB129_25
.LBB129_21:
.LBB129_22:
	v_cmp_gt_i64_e64 s2, 0x10000, s[10:11]
	v_dual_mov_b32 v2, 0 :: v_dual_lshlrev_b32 v1, 2, v0
	s_mov_b32 s4, 0
	s_mov_b32 s5, exec_lo
	s_and_b32 s2, s2, exec_lo
	s_cselect_b32 s3, s11, 0
	s_cselect_b32 s2, s10, 0x10000
	s_wait_alu 0xfffe
	v_cmpx_gt_i64_e64 s[2:3], v[1:2]
	s_cbranch_execz .LBB129_25
; %bb.23:
	s_load_b32 s5, s[0:1], 0xd3c
	v_lshlrev_b32_e32 v3, 3, v0
	s_add_nc_u64 s[0:1], s[6:7], s[8:9]
	v_mov_b32_e32 v1, v2
	s_delay_alu instid0(VALU_DEP_2)
	v_add_co_u32 v2, s0, s0, v3
	s_wait_alu 0xf1ff
	v_add_co_ci_u32_e64 v3, null, s1, 0, s0
	s_wait_kmcnt 0x0
	s_and_b32 s1, s5, 0xffff
	s_pack_ll_b32_b16 s5, s22, s22
	s_wait_alu 0xfffe
	s_lshl_b32 s6, s1, 3
.LBB129_24:                             ; =>This Inner Loop Header: Depth=1
	global_load_b64 v[4:5], v[2:3], off
	v_add_co_u32 v0, vcc_lo, v0, s1
	s_wait_alu 0xfffd
	v_add_co_ci_u32_e64 v1, null, 0, v1, vcc_lo
	s_delay_alu instid0(VALU_DEP_1) | instskip(NEXT) | instid1(VALU_DEP_1)
	v_lshlrev_b64_e32 v[6:7], 2, v[0:1]
	v_cmp_le_i64_e32 vcc_lo, s[2:3], v[6:7]
	s_or_b32 s4, vcc_lo, s4
	s_wait_loadcnt 0x0
	v_bfi_b32 v4, 0xffff, v4, v4
	v_pk_max_i16 v5, v5, s5
	s_delay_alu instid0(VALU_DEP_2)
	v_pk_max_i16 v4, v4, s5
	global_store_b64 v[2:3], v[4:5], off
	v_add_co_u32 v2, s0, v2, s6
	s_wait_alu 0xf1ff
	v_add_co_ci_u32_e64 v3, null, 0, v3, s0
	s_wait_alu 0xfffe
	s_and_not1_b32 exec_lo, exec_lo, s4
	s_cbranch_execnz .LBB129_24
.LBB129_25:
	s_endpgm
	.section	.rodata,"a",@progbits
	.p2align	6, 0x0
	.amdhsa_kernel _ZN2at6native12_GLOBAL__N_125multi_tensor_apply_kernelINS1_18TensorListMetadataILi1EEENS1_21BinaryOpScalarFunctorIsLi1ELi1ELi0EEEJNS0_7maximumIsEEsEEEvT_T0_DpT1_
		.amdhsa_group_segment_fixed_size 0
		.amdhsa_private_segment_fixed_size 0
		.amdhsa_kernarg_size 3632
		.amdhsa_user_sgpr_count 2
		.amdhsa_user_sgpr_dispatch_ptr 0
		.amdhsa_user_sgpr_queue_ptr 0
		.amdhsa_user_sgpr_kernarg_segment_ptr 1
		.amdhsa_user_sgpr_dispatch_id 0
		.amdhsa_user_sgpr_private_segment_size 0
		.amdhsa_wavefront_size32 1
		.amdhsa_uses_dynamic_stack 0
		.amdhsa_enable_private_segment 0
		.amdhsa_system_sgpr_workgroup_id_x 1
		.amdhsa_system_sgpr_workgroup_id_y 0
		.amdhsa_system_sgpr_workgroup_id_z 0
		.amdhsa_system_sgpr_workgroup_info 0
		.amdhsa_system_vgpr_workitem_id 0
		.amdhsa_next_free_vgpr 16
		.amdhsa_next_free_sgpr 25
		.amdhsa_reserve_vcc 1
		.amdhsa_float_round_mode_32 0
		.amdhsa_float_round_mode_16_64 0
		.amdhsa_float_denorm_mode_32 3
		.amdhsa_float_denorm_mode_16_64 3
		.amdhsa_fp16_overflow 0
		.amdhsa_workgroup_processor_mode 1
		.amdhsa_memory_ordered 1
		.amdhsa_forward_progress 1
		.amdhsa_inst_pref_size 10
		.amdhsa_round_robin_scheduling 0
		.amdhsa_exception_fp_ieee_invalid_op 0
		.amdhsa_exception_fp_denorm_src 0
		.amdhsa_exception_fp_ieee_div_zero 0
		.amdhsa_exception_fp_ieee_overflow 0
		.amdhsa_exception_fp_ieee_underflow 0
		.amdhsa_exception_fp_ieee_inexact 0
		.amdhsa_exception_int_div_zero 0
	.end_amdhsa_kernel
	.section	.text._ZN2at6native12_GLOBAL__N_125multi_tensor_apply_kernelINS1_18TensorListMetadataILi1EEENS1_21BinaryOpScalarFunctorIsLi1ELi1ELi0EEEJNS0_7maximumIsEEsEEEvT_T0_DpT1_,"axG",@progbits,_ZN2at6native12_GLOBAL__N_125multi_tensor_apply_kernelINS1_18TensorListMetadataILi1EEENS1_21BinaryOpScalarFunctorIsLi1ELi1ELi0EEEJNS0_7maximumIsEEsEEEvT_T0_DpT1_,comdat
.Lfunc_end129:
	.size	_ZN2at6native12_GLOBAL__N_125multi_tensor_apply_kernelINS1_18TensorListMetadataILi1EEENS1_21BinaryOpScalarFunctorIsLi1ELi1ELi0EEEJNS0_7maximumIsEEsEEEvT_T0_DpT1_, .Lfunc_end129-_ZN2at6native12_GLOBAL__N_125multi_tensor_apply_kernelINS1_18TensorListMetadataILi1EEENS1_21BinaryOpScalarFunctorIsLi1ELi1ELi0EEEJNS0_7maximumIsEEsEEEvT_T0_DpT1_
                                        ; -- End function
	.set _ZN2at6native12_GLOBAL__N_125multi_tensor_apply_kernelINS1_18TensorListMetadataILi1EEENS1_21BinaryOpScalarFunctorIsLi1ELi1ELi0EEEJNS0_7maximumIsEEsEEEvT_T0_DpT1_.num_vgpr, 16
	.set _ZN2at6native12_GLOBAL__N_125multi_tensor_apply_kernelINS1_18TensorListMetadataILi1EEENS1_21BinaryOpScalarFunctorIsLi1ELi1ELi0EEEJNS0_7maximumIsEEsEEEvT_T0_DpT1_.num_agpr, 0
	.set _ZN2at6native12_GLOBAL__N_125multi_tensor_apply_kernelINS1_18TensorListMetadataILi1EEENS1_21BinaryOpScalarFunctorIsLi1ELi1ELi0EEEJNS0_7maximumIsEEsEEEvT_T0_DpT1_.numbered_sgpr, 25
	.set _ZN2at6native12_GLOBAL__N_125multi_tensor_apply_kernelINS1_18TensorListMetadataILi1EEENS1_21BinaryOpScalarFunctorIsLi1ELi1ELi0EEEJNS0_7maximumIsEEsEEEvT_T0_DpT1_.num_named_barrier, 0
	.set _ZN2at6native12_GLOBAL__N_125multi_tensor_apply_kernelINS1_18TensorListMetadataILi1EEENS1_21BinaryOpScalarFunctorIsLi1ELi1ELi0EEEJNS0_7maximumIsEEsEEEvT_T0_DpT1_.private_seg_size, 0
	.set _ZN2at6native12_GLOBAL__N_125multi_tensor_apply_kernelINS1_18TensorListMetadataILi1EEENS1_21BinaryOpScalarFunctorIsLi1ELi1ELi0EEEJNS0_7maximumIsEEsEEEvT_T0_DpT1_.uses_vcc, 1
	.set _ZN2at6native12_GLOBAL__N_125multi_tensor_apply_kernelINS1_18TensorListMetadataILi1EEENS1_21BinaryOpScalarFunctorIsLi1ELi1ELi0EEEJNS0_7maximumIsEEsEEEvT_T0_DpT1_.uses_flat_scratch, 0
	.set _ZN2at6native12_GLOBAL__N_125multi_tensor_apply_kernelINS1_18TensorListMetadataILi1EEENS1_21BinaryOpScalarFunctorIsLi1ELi1ELi0EEEJNS0_7maximumIsEEsEEEvT_T0_DpT1_.has_dyn_sized_stack, 0
	.set _ZN2at6native12_GLOBAL__N_125multi_tensor_apply_kernelINS1_18TensorListMetadataILi1EEENS1_21BinaryOpScalarFunctorIsLi1ELi1ELi0EEEJNS0_7maximumIsEEsEEEvT_T0_DpT1_.has_recursion, 0
	.set _ZN2at6native12_GLOBAL__N_125multi_tensor_apply_kernelINS1_18TensorListMetadataILi1EEENS1_21BinaryOpScalarFunctorIsLi1ELi1ELi0EEEJNS0_7maximumIsEEsEEEvT_T0_DpT1_.has_indirect_call, 0
	.section	.AMDGPU.csdata,"",@progbits
; Kernel info:
; codeLenInByte = 1252
; TotalNumSgprs: 27
; NumVgprs: 16
; ScratchSize: 0
; MemoryBound: 0
; FloatMode: 240
; IeeeMode: 1
; LDSByteSize: 0 bytes/workgroup (compile time only)
; SGPRBlocks: 0
; VGPRBlocks: 1
; NumSGPRsForWavesPerEU: 27
; NumVGPRsForWavesPerEU: 16
; Occupancy: 16
; WaveLimiterHint : 0
; COMPUTE_PGM_RSRC2:SCRATCH_EN: 0
; COMPUTE_PGM_RSRC2:USER_SGPR: 2
; COMPUTE_PGM_RSRC2:TRAP_HANDLER: 0
; COMPUTE_PGM_RSRC2:TGID_X_EN: 1
; COMPUTE_PGM_RSRC2:TGID_Y_EN: 0
; COMPUTE_PGM_RSRC2:TGID_Z_EN: 0
; COMPUTE_PGM_RSRC2:TIDIG_COMP_CNT: 0
	.section	.text._ZN2at6native12_GLOBAL__N_125multi_tensor_apply_kernelINS1_18TensorListMetadataILi1EEENS1_21BinaryOpScalarFunctorIdLi1ELi1ELi0EEEJNS0_7maximumIdEEdEEEvT_T0_DpT1_,"axG",@progbits,_ZN2at6native12_GLOBAL__N_125multi_tensor_apply_kernelINS1_18TensorListMetadataILi1EEENS1_21BinaryOpScalarFunctorIdLi1ELi1ELi0EEEJNS0_7maximumIdEEdEEEvT_T0_DpT1_,comdat
	.globl	_ZN2at6native12_GLOBAL__N_125multi_tensor_apply_kernelINS1_18TensorListMetadataILi1EEENS1_21BinaryOpScalarFunctorIdLi1ELi1ELi0EEEJNS0_7maximumIdEEdEEEvT_T0_DpT1_ ; -- Begin function _ZN2at6native12_GLOBAL__N_125multi_tensor_apply_kernelINS1_18TensorListMetadataILi1EEENS1_21BinaryOpScalarFunctorIdLi1ELi1ELi0EEEJNS0_7maximumIdEEdEEEvT_T0_DpT1_
	.p2align	8
	.type	_ZN2at6native12_GLOBAL__N_125multi_tensor_apply_kernelINS1_18TensorListMetadataILi1EEENS1_21BinaryOpScalarFunctorIdLi1ELi1ELi0EEEJNS0_7maximumIdEEdEEEvT_T0_DpT1_,@function
_ZN2at6native12_GLOBAL__N_125multi_tensor_apply_kernelINS1_18TensorListMetadataILi1EEENS1_21BinaryOpScalarFunctorIdLi1ELi1ELi0EEEJNS0_7maximumIdEEdEEEvT_T0_DpT1_: ; @_ZN2at6native12_GLOBAL__N_125multi_tensor_apply_kernelINS1_18TensorListMetadataILi1EEENS1_21BinaryOpScalarFunctorIdLi1ELi1ELi0EEEJNS0_7maximumIdEEdEEEvT_T0_DpT1_
; %bb.0:
	s_load_u8 s8, s[0:1], ttmp9 offset:0x6e0
	s_mov_b32 s2, ttmp9
	s_mov_b32 s3, 0
	s_delay_alu instid0(SALU_CYCLE_1)
	s_mul_u64 s[4:5], s[2:3], 3
	s_add_nc_u64 s[6:7], s[0:1], s[2:3]
	s_mov_b32 s15, s3
	s_add_nc_u64 s[4:5], s[6:7], s[4:5]
	s_load_b32 s4, s[4:5], 0x820
	s_wait_kmcnt 0x0
	s_lshl_b32 s2, s8, 3
	s_clause 0x2
	s_load_b64 s[6:7], s[0:1], s2 offset:0x0
	s_load_b64 s[12:13], s[0:1], s2 offset:0x370
	s_load_b64 s[8:9], s[0:1], 0xd30
	s_ashr_i32 s5, s4, 31
	s_delay_alu instid0(SALU_CYCLE_1)
	s_lshl_b64 s[10:11], s[4:5], 19
	s_lshl_b64 s[4:5], s[4:5], 16
	s_wait_kmcnt 0x0
	s_and_b32 s2, s6, 31
	s_and_b32 s14, s12, 3
	s_sub_nc_u64 s[12:13], s[12:13], s[4:5]
	s_or_b64 s[2:3], s[2:3], s[14:15]
	s_delay_alu instid0(SALU_CYCLE_1)
	s_cmp_eq_u64 s[2:3], 0
	s_cbranch_scc1 .LBB130_21
; %bb.1:
	v_cmp_lt_i64_e64 s2, s[12:13], 1
	s_and_b32 vcc_lo, exec_lo, s2
	s_cbranch_vccnz .LBB130_20
; %bb.2:
	s_load_b32 s2, s[0:1], 0xd44
	v_cmp_gt_i64_e64 s14, 0x10000, s[12:13]
	v_lshlrev_b32_e32 v1, 3, v0
	s_add_nc_u64 s[4:5], s[6:7], s[10:11]
	s_mov_b32 s3, 0
	v_cmp_gt_u64_e64 s18, 0x10000, s[12:13]
	s_mov_b32 s15, s3
	v_add_co_u32 v1, s16, s4, v1
	s_and_b32 s14, s14, exec_lo
	v_add_co_ci_u32_e64 v2, null, s5, 0, s16
	s_cselect_b32 s17, s13, 0
	s_cselect_b32 s16, s12, 0x10000
	s_wait_kmcnt 0x0
	s_and_b32 s2, s2, 0xffff
	s_and_b32 s14, s18, exec_lo
	s_mul_u64 s[20:21], s[2:3], 24
	v_add_co_u32 v13, s3, v0, s2
	s_cselect_b32 s19, s13, 0
	s_cselect_b32 s18, s12, 0x10000
	s_lshl_b32 s22, s2, 1
	v_lshlrev_b32_e32 v3, 3, v13
	s_mul_i32 s23, s2, 3
	v_add_co_ci_u32_e64 v16, null, 0, 0, s3
	v_add_co_u32 v17, s3, s22, v0
	v_add_co_u32 v14, s23, s23, v0
	s_wait_alu 0xf1ff
	v_add_co_ci_u32_e64 v18, null, 0, 0, s3
	v_add_co_u32 v3, s3, s4, v3
	v_add_co_ci_u32_e64 v15, null, 0, 0, s23
	s_wait_alu 0xf1ff
	v_add_co_ci_u32_e64 v4, null, s5, 0, s3
	s_lshl_b32 s14, s2, 2
	s_lshl_b32 s24, s2, 5
	;; [unrolled: 1-line block ×3, first 2 shown]
	s_mov_b64 s[22:23], 0
	s_branch .LBB130_4
.LBB130_3:                              ;   in Loop: Header=BB130_4 Depth=1
	s_wait_alu 0xfffe
	s_or_b32 exec_lo, exec_lo, s3
	s_add_nc_u64 s[22:23], s[22:23], s[14:15]
	v_add_co_u32 v1, vcc_lo, v1, s24
	s_wait_alu 0xfffe
	v_cmp_lt_i64_e64 s2, s[22:23], s[16:17]
	s_wait_alu 0xfffd
	v_add_co_ci_u32_e64 v2, null, 0, v2, vcc_lo
	v_add_co_u32 v3, vcc_lo, v3, s24
	s_wait_alu 0xfffd
	v_add_co_ci_u32_e64 v4, null, 0, v4, vcc_lo
	s_and_b32 vcc_lo, exec_lo, s2
	s_wait_alu 0xfffe
	s_cbranch_vccz .LBB130_20
.LBB130_4:                              ; =>This Inner Loop Header: Depth=1
	s_wait_loadcnt 0x0
	s_wait_alu 0xfffe
	v_add_co_u32 v7, s2, v0, s22
	s_wait_alu 0xf1ff
	v_add_co_ci_u32_e64 v8, null, 0, s23, s2
	v_mov_b32_e32 v5, 0
	v_dual_mov_b32 v6, 0 :: v_dual_mov_b32 v9, 0
	s_delay_alu instid0(VALU_DEP_3)
	v_cmp_gt_u64_e32 vcc_lo, s[18:19], v[7:8]
	v_mov_b32_e32 v10, 0
	s_and_saveexec_b32 s2, vcc_lo
	s_cbranch_execz .LBB130_6
; %bb.5:                                ;   in Loop: Header=BB130_4 Depth=1
	global_load_b64 v[9:10], v[1:2], off
.LBB130_6:                              ;   in Loop: Header=BB130_4 Depth=1
	s_wait_alu 0xfffe
	s_or_b32 exec_lo, exec_lo, s2
	v_add_co_u32 v7, s2, v13, s22
	s_wait_alu 0xf1ff
	v_add_co_ci_u32_e64 v8, null, s23, v16, s2
	s_delay_alu instid0(VALU_DEP_1)
	v_cmp_gt_u64_e64 s2, s[18:19], v[7:8]
	s_and_saveexec_b32 s3, s2
	s_cbranch_execz .LBB130_8
; %bb.7:                                ;   in Loop: Header=BB130_4 Depth=1
	global_load_b64 v[5:6], v[3:4], off
.LBB130_8:                              ;   in Loop: Header=BB130_4 Depth=1
	s_wait_alu 0xfffe
	s_or_b32 exec_lo, exec_lo, s3
	v_add_co_u32 v11, s3, v17, s22
	s_wait_alu 0xf1ff
	v_add_co_ci_u32_e64 v12, null, s23, v18, s3
	v_mov_b32_e32 v7, 0
	v_mov_b32_e32 v8, 0
	s_delay_alu instid0(VALU_DEP_3)
	v_cmp_gt_u64_e64 s3, s[18:19], v[11:12]
	v_mov_b32_e32 v11, 0
	v_mov_b32_e32 v12, 0
	s_and_saveexec_b32 s5, s3
	s_cbranch_execz .LBB130_10
; %bb.9:                                ;   in Loop: Header=BB130_4 Depth=1
	v_add_co_u32 v11, s4, v1, s25
	s_wait_alu 0xf1ff
	v_add_co_ci_u32_e64 v12, null, 0, v2, s4
	global_load_b64 v[11:12], v[11:12], off
.LBB130_10:                             ;   in Loop: Header=BB130_4 Depth=1
	s_wait_alu 0xfffe
	s_or_b32 exec_lo, exec_lo, s5
	v_add_co_u32 v19, s4, v14, s22
	s_wait_alu 0xf1ff
	v_add_co_ci_u32_e64 v20, null, s23, v15, s4
	s_delay_alu instid0(VALU_DEP_1)
	v_cmp_gt_u64_e64 s4, s[18:19], v[19:20]
	s_and_saveexec_b32 s26, s4
	s_cbranch_execnz .LBB130_15
; %bb.11:                               ;   in Loop: Header=BB130_4 Depth=1
	s_or_b32 exec_lo, exec_lo, s26
	s_and_saveexec_b32 s26, vcc_lo
	s_cbranch_execnz .LBB130_16
.LBB130_12:                             ;   in Loop: Header=BB130_4 Depth=1
	s_or_b32 exec_lo, exec_lo, s26
	s_and_saveexec_b32 s5, s2
	s_cbranch_execnz .LBB130_17
.LBB130_13:                             ;   in Loop: Header=BB130_4 Depth=1
	s_wait_alu 0xfffe
	s_or_b32 exec_lo, exec_lo, s5
	s_and_saveexec_b32 s5, s3
	s_cbranch_execnz .LBB130_18
.LBB130_14:                             ;   in Loop: Header=BB130_4 Depth=1
	s_wait_alu 0xfffe
	s_or_b32 exec_lo, exec_lo, s5
	s_and_saveexec_b32 s3, s4
	s_cbranch_execz .LBB130_3
	s_branch .LBB130_19
.LBB130_15:                             ;   in Loop: Header=BB130_4 Depth=1
	v_add_co_u32 v7, s5, v1, s20
	s_wait_alu 0xf1ff
	v_add_co_ci_u32_e64 v8, null, s21, v2, s5
	global_load_b64 v[7:8], v[7:8], off
	s_or_b32 exec_lo, exec_lo, s26
	s_and_saveexec_b32 s26, vcc_lo
	s_cbranch_execz .LBB130_12
.LBB130_16:                             ;   in Loop: Header=BB130_4 Depth=1
	s_wait_loadcnt 0x0
	v_cmp_u_f64_e32 vcc_lo, v[9:10], v[9:10]
	v_cmp_lt_f64_e64 s5, s[8:9], v[9:10]
	s_or_b32 vcc_lo, vcc_lo, s5
	s_wait_alu 0xfffe
	v_cndmask_b32_e32 v10, s9, v10, vcc_lo
	v_cndmask_b32_e32 v9, s8, v9, vcc_lo
	global_store_b64 v[1:2], v[9:10], off
	s_or_b32 exec_lo, exec_lo, s26
	s_and_saveexec_b32 s5, s2
	s_cbranch_execz .LBB130_13
.LBB130_17:                             ;   in Loop: Header=BB130_4 Depth=1
	s_wait_loadcnt 0x0
	v_cmp_u_f64_e32 vcc_lo, v[5:6], v[5:6]
	v_cmp_lt_f64_e64 s2, s[8:9], v[5:6]
	s_or_b32 vcc_lo, vcc_lo, s2
	s_wait_alu 0xfffe
	v_cndmask_b32_e32 v6, s9, v6, vcc_lo
	v_cndmask_b32_e32 v5, s8, v5, vcc_lo
	global_store_b64 v[3:4], v[5:6], off
	s_or_b32 exec_lo, exec_lo, s5
	s_and_saveexec_b32 s5, s3
	s_cbranch_execz .LBB130_14
.LBB130_18:                             ;   in Loop: Header=BB130_4 Depth=1
	s_wait_loadcnt 0x0
	v_cmp_u_f64_e32 vcc_lo, v[11:12], v[11:12]
	v_cmp_lt_f64_e64 s2, s[8:9], v[11:12]
	s_or_b32 vcc_lo, vcc_lo, s2
	s_wait_alu 0xfffe
	v_cndmask_b32_e32 v6, s9, v12, vcc_lo
	v_cndmask_b32_e32 v5, s8, v11, vcc_lo
	v_add_co_u32 v9, vcc_lo, v1, s25
	s_wait_alu 0xfffd
	v_add_co_ci_u32_e64 v10, null, 0, v2, vcc_lo
	global_store_b64 v[9:10], v[5:6], off
	s_or_b32 exec_lo, exec_lo, s5
	s_and_saveexec_b32 s3, s4
	s_cbranch_execz .LBB130_3
.LBB130_19:                             ;   in Loop: Header=BB130_4 Depth=1
	s_wait_loadcnt 0x0
	v_cmp_u_f64_e32 vcc_lo, v[7:8], v[7:8]
	v_cmp_lt_f64_e64 s2, s[8:9], v[7:8]
	s_or_b32 vcc_lo, vcc_lo, s2
	s_wait_alu 0xfffe
	v_cndmask_b32_e32 v6, s9, v8, vcc_lo
	v_cndmask_b32_e32 v5, s8, v7, vcc_lo
	v_add_co_u32 v7, vcc_lo, v1, s20
	s_wait_alu 0xfffd
	v_add_co_ci_u32_e64 v8, null, s21, v2, vcc_lo
	global_store_b64 v[7:8], v[5:6], off
	s_branch .LBB130_3
.LBB130_20:
	s_cbranch_execz .LBB130_22
	s_branch .LBB130_25
.LBB130_21:
.LBB130_22:
	v_cmp_gt_i64_e64 s2, 0x10000, s[12:13]
	v_dual_mov_b32 v2, 0 :: v_dual_lshlrev_b32 v1, 2, v0
	s_mov_b32 s14, 0
	s_and_b32 s2, s2, exec_lo
	s_cselect_b32 s13, s13, 0
	s_cselect_b32 s12, s12, 0x10000
	s_mov_b32 s2, exec_lo
	s_wait_alu 0xfffe
	v_cmpx_gt_i64_e64 s[12:13], v[1:2]
	s_cbranch_execz .LBB130_25
; %bb.23:
	s_load_b32 s2, s[0:1], 0xd44
	v_lshlrev_b32_e32 v1, 5, v0
	s_add_nc_u64 s[0:1], s[6:7], s[10:11]
	s_delay_alu instid0(VALU_DEP_1) | instid1(SALU_CYCLE_1)
	v_add_co_u32 v3, s0, s0, v1
	s_wait_alu 0xf1ff
	v_add_co_ci_u32_e64 v4, null, s1, 0, s0
	v_mov_b32_e32 v1, v2
	s_delay_alu instid0(VALU_DEP_3) | instskip(SKIP_1) | instid1(VALU_DEP_3)
	v_add_co_u32 v2, vcc_lo, v3, 16
	s_wait_alu 0xfffd
	v_add_co_ci_u32_e64 v3, null, 0, v4, vcc_lo
	s_wait_kmcnt 0x0
	s_and_b32 s10, s2, 0xffff
	s_delay_alu instid0(SALU_CYCLE_1)
	s_lshl_b32 s11, s10, 5
.LBB130_24:                             ; =>This Inner Loop Header: Depth=1
	s_wait_loadcnt 0x0
	s_clause 0x1
	global_load_b128 v[4:7], v[2:3], off offset:-16
	global_load_b128 v[8:11], v[2:3], off
	v_add_co_u32 v0, s7, v0, s10
	s_wait_alu 0xf1ff
	v_add_co_ci_u32_e64 v1, null, 0, v1, s7
	s_delay_alu instid0(VALU_DEP_1)
	v_lshlrev_b64_e32 v[12:13], 2, v[0:1]
	s_wait_loadcnt 0x1
	v_cmp_u_f64_e32 vcc_lo, v[4:5], v[4:5]
	v_cmp_lt_f64_e64 s0, s[8:9], v[4:5]
	v_cmp_u_f64_e64 s1, v[6:7], v[6:7]
	v_cmp_lt_f64_e64 s2, s[8:9], v[6:7]
	s_wait_loadcnt 0x0
	v_cmp_u_f64_e64 s3, v[8:9], v[8:9]
	v_cmp_lt_f64_e64 s4, s[8:9], v[8:9]
	v_cmp_u_f64_e64 s5, v[10:11], v[10:11]
	v_cmp_lt_f64_e64 s6, s[8:9], v[10:11]
	s_or_b32 vcc_lo, vcc_lo, s0
	s_or_b32 s0, s1, s2
	s_wait_alu 0xfffe
	v_cndmask_b32_e32 v5, s9, v5, vcc_lo
	s_or_b32 s1, s3, s4
	v_cndmask_b32_e64 v7, s9, v7, s0
	s_or_b32 s2, s5, s6
	v_cndmask_b32_e32 v4, s8, v4, vcc_lo
	v_cndmask_b32_e64 v6, s8, v6, s0
	s_wait_alu 0xfffe
	v_cndmask_b32_e64 v9, s9, v9, s1
	v_cndmask_b32_e64 v11, s9, v11, s2
	;; [unrolled: 1-line block ×4, first 2 shown]
	v_cmp_le_i64_e32 vcc_lo, s[12:13], v[12:13]
	s_clause 0x1
	global_store_b128 v[2:3], v[4:7], off offset:-16
	global_store_b128 v[2:3], v[8:11], off
	v_add_co_u32 v2, s0, v2, s11
	s_wait_alu 0xf1ff
	v_add_co_ci_u32_e64 v3, null, 0, v3, s0
	s_or_b32 s14, vcc_lo, s14
	s_delay_alu instid0(SALU_CYCLE_1)
	s_and_not1_b32 exec_lo, exec_lo, s14
	s_cbranch_execnz .LBB130_24
.LBB130_25:
	s_endpgm
	.section	.rodata,"a",@progbits
	.p2align	6, 0x0
	.amdhsa_kernel _ZN2at6native12_GLOBAL__N_125multi_tensor_apply_kernelINS1_18TensorListMetadataILi1EEENS1_21BinaryOpScalarFunctorIdLi1ELi1ELi0EEEJNS0_7maximumIdEEdEEEvT_T0_DpT1_
		.amdhsa_group_segment_fixed_size 0
		.amdhsa_private_segment_fixed_size 0
		.amdhsa_kernarg_size 3640
		.amdhsa_user_sgpr_count 2
		.amdhsa_user_sgpr_dispatch_ptr 0
		.amdhsa_user_sgpr_queue_ptr 0
		.amdhsa_user_sgpr_kernarg_segment_ptr 1
		.amdhsa_user_sgpr_dispatch_id 0
		.amdhsa_user_sgpr_private_segment_size 0
		.amdhsa_wavefront_size32 1
		.amdhsa_uses_dynamic_stack 0
		.amdhsa_enable_private_segment 0
		.amdhsa_system_sgpr_workgroup_id_x 1
		.amdhsa_system_sgpr_workgroup_id_y 0
		.amdhsa_system_sgpr_workgroup_id_z 0
		.amdhsa_system_sgpr_workgroup_info 0
		.amdhsa_system_vgpr_workitem_id 0
		.amdhsa_next_free_vgpr 21
		.amdhsa_next_free_sgpr 27
		.amdhsa_reserve_vcc 1
		.amdhsa_float_round_mode_32 0
		.amdhsa_float_round_mode_16_64 0
		.amdhsa_float_denorm_mode_32 3
		.amdhsa_float_denorm_mode_16_64 3
		.amdhsa_fp16_overflow 0
		.amdhsa_workgroup_processor_mode 1
		.amdhsa_memory_ordered 1
		.amdhsa_forward_progress 1
		.amdhsa_inst_pref_size 12
		.amdhsa_round_robin_scheduling 0
		.amdhsa_exception_fp_ieee_invalid_op 0
		.amdhsa_exception_fp_denorm_src 0
		.amdhsa_exception_fp_ieee_div_zero 0
		.amdhsa_exception_fp_ieee_overflow 0
		.amdhsa_exception_fp_ieee_underflow 0
		.amdhsa_exception_fp_ieee_inexact 0
		.amdhsa_exception_int_div_zero 0
	.end_amdhsa_kernel
	.section	.text._ZN2at6native12_GLOBAL__N_125multi_tensor_apply_kernelINS1_18TensorListMetadataILi1EEENS1_21BinaryOpScalarFunctorIdLi1ELi1ELi0EEEJNS0_7maximumIdEEdEEEvT_T0_DpT1_,"axG",@progbits,_ZN2at6native12_GLOBAL__N_125multi_tensor_apply_kernelINS1_18TensorListMetadataILi1EEENS1_21BinaryOpScalarFunctorIdLi1ELi1ELi0EEEJNS0_7maximumIdEEdEEEvT_T0_DpT1_,comdat
.Lfunc_end130:
	.size	_ZN2at6native12_GLOBAL__N_125multi_tensor_apply_kernelINS1_18TensorListMetadataILi1EEENS1_21BinaryOpScalarFunctorIdLi1ELi1ELi0EEEJNS0_7maximumIdEEdEEEvT_T0_DpT1_, .Lfunc_end130-_ZN2at6native12_GLOBAL__N_125multi_tensor_apply_kernelINS1_18TensorListMetadataILi1EEENS1_21BinaryOpScalarFunctorIdLi1ELi1ELi0EEEJNS0_7maximumIdEEdEEEvT_T0_DpT1_
                                        ; -- End function
	.set _ZN2at6native12_GLOBAL__N_125multi_tensor_apply_kernelINS1_18TensorListMetadataILi1EEENS1_21BinaryOpScalarFunctorIdLi1ELi1ELi0EEEJNS0_7maximumIdEEdEEEvT_T0_DpT1_.num_vgpr, 21
	.set _ZN2at6native12_GLOBAL__N_125multi_tensor_apply_kernelINS1_18TensorListMetadataILi1EEENS1_21BinaryOpScalarFunctorIdLi1ELi1ELi0EEEJNS0_7maximumIdEEdEEEvT_T0_DpT1_.num_agpr, 0
	.set _ZN2at6native12_GLOBAL__N_125multi_tensor_apply_kernelINS1_18TensorListMetadataILi1EEENS1_21BinaryOpScalarFunctorIdLi1ELi1ELi0EEEJNS0_7maximumIdEEdEEEvT_T0_DpT1_.numbered_sgpr, 27
	.set _ZN2at6native12_GLOBAL__N_125multi_tensor_apply_kernelINS1_18TensorListMetadataILi1EEENS1_21BinaryOpScalarFunctorIdLi1ELi1ELi0EEEJNS0_7maximumIdEEdEEEvT_T0_DpT1_.num_named_barrier, 0
	.set _ZN2at6native12_GLOBAL__N_125multi_tensor_apply_kernelINS1_18TensorListMetadataILi1EEENS1_21BinaryOpScalarFunctorIdLi1ELi1ELi0EEEJNS0_7maximumIdEEdEEEvT_T0_DpT1_.private_seg_size, 0
	.set _ZN2at6native12_GLOBAL__N_125multi_tensor_apply_kernelINS1_18TensorListMetadataILi1EEENS1_21BinaryOpScalarFunctorIdLi1ELi1ELi0EEEJNS0_7maximumIdEEdEEEvT_T0_DpT1_.uses_vcc, 1
	.set _ZN2at6native12_GLOBAL__N_125multi_tensor_apply_kernelINS1_18TensorListMetadataILi1EEENS1_21BinaryOpScalarFunctorIdLi1ELi1ELi0EEEJNS0_7maximumIdEEdEEEvT_T0_DpT1_.uses_flat_scratch, 0
	.set _ZN2at6native12_GLOBAL__N_125multi_tensor_apply_kernelINS1_18TensorListMetadataILi1EEENS1_21BinaryOpScalarFunctorIdLi1ELi1ELi0EEEJNS0_7maximumIdEEdEEEvT_T0_DpT1_.has_dyn_sized_stack, 0
	.set _ZN2at6native12_GLOBAL__N_125multi_tensor_apply_kernelINS1_18TensorListMetadataILi1EEENS1_21BinaryOpScalarFunctorIdLi1ELi1ELi0EEEJNS0_7maximumIdEEdEEEvT_T0_DpT1_.has_recursion, 0
	.set _ZN2at6native12_GLOBAL__N_125multi_tensor_apply_kernelINS1_18TensorListMetadataILi1EEENS1_21BinaryOpScalarFunctorIdLi1ELi1ELi0EEEJNS0_7maximumIdEEdEEEvT_T0_DpT1_.has_indirect_call, 0
	.section	.AMDGPU.csdata,"",@progbits
; Kernel info:
; codeLenInByte = 1508
; TotalNumSgprs: 29
; NumVgprs: 21
; ScratchSize: 0
; MemoryBound: 0
; FloatMode: 240
; IeeeMode: 1
; LDSByteSize: 0 bytes/workgroup (compile time only)
; SGPRBlocks: 0
; VGPRBlocks: 2
; NumSGPRsForWavesPerEU: 29
; NumVGPRsForWavesPerEU: 21
; Occupancy: 16
; WaveLimiterHint : 0
; COMPUTE_PGM_RSRC2:SCRATCH_EN: 0
; COMPUTE_PGM_RSRC2:USER_SGPR: 2
; COMPUTE_PGM_RSRC2:TRAP_HANDLER: 0
; COMPUTE_PGM_RSRC2:TGID_X_EN: 1
; COMPUTE_PGM_RSRC2:TGID_Y_EN: 0
; COMPUTE_PGM_RSRC2:TGID_Z_EN: 0
; COMPUTE_PGM_RSRC2:TIDIG_COMP_CNT: 0
	.section	.text._ZN2at6native12_GLOBAL__N_125multi_tensor_apply_kernelINS1_18TensorListMetadataILi1EEENS1_21BinaryOpScalarFunctorIfLi1ELi1ELi0EEEJNS0_7maximumIfEEfEEEvT_T0_DpT1_,"axG",@progbits,_ZN2at6native12_GLOBAL__N_125multi_tensor_apply_kernelINS1_18TensorListMetadataILi1EEENS1_21BinaryOpScalarFunctorIfLi1ELi1ELi0EEEJNS0_7maximumIfEEfEEEvT_T0_DpT1_,comdat
	.globl	_ZN2at6native12_GLOBAL__N_125multi_tensor_apply_kernelINS1_18TensorListMetadataILi1EEENS1_21BinaryOpScalarFunctorIfLi1ELi1ELi0EEEJNS0_7maximumIfEEfEEEvT_T0_DpT1_ ; -- Begin function _ZN2at6native12_GLOBAL__N_125multi_tensor_apply_kernelINS1_18TensorListMetadataILi1EEENS1_21BinaryOpScalarFunctorIfLi1ELi1ELi0EEEJNS0_7maximumIfEEfEEEvT_T0_DpT1_
	.p2align	8
	.type	_ZN2at6native12_GLOBAL__N_125multi_tensor_apply_kernelINS1_18TensorListMetadataILi1EEENS1_21BinaryOpScalarFunctorIfLi1ELi1ELi0EEEJNS0_7maximumIfEEfEEEvT_T0_DpT1_,@function
_ZN2at6native12_GLOBAL__N_125multi_tensor_apply_kernelINS1_18TensorListMetadataILi1EEENS1_21BinaryOpScalarFunctorIfLi1ELi1ELi0EEEJNS0_7maximumIfEEfEEEvT_T0_DpT1_: ; @_ZN2at6native12_GLOBAL__N_125multi_tensor_apply_kernelINS1_18TensorListMetadataILi1EEENS1_21BinaryOpScalarFunctorIfLi1ELi1ELi0EEEJNS0_7maximumIfEEfEEEvT_T0_DpT1_
; %bb.0:
	s_load_u8 s8, s[0:1], ttmp9 offset:0x6e0
	s_mov_b32 s2, ttmp9
	s_mov_b32 s3, 0
	s_delay_alu instid0(SALU_CYCLE_1)
	s_mul_u64 s[4:5], s[2:3], 3
	s_add_nc_u64 s[6:7], s[0:1], s[2:3]
	s_mov_b32 s13, s3
	s_add_nc_u64 s[4:5], s[6:7], s[4:5]
	s_load_b32 s4, s[4:5], 0x820
	s_wait_kmcnt 0x0
	s_lshl_b32 s2, s8, 3
	s_clause 0x2
	s_load_b64 s[6:7], s[0:1], s2 offset:0x0
	s_load_b64 s[10:11], s[0:1], s2 offset:0x370
	s_load_b32 s22, s[0:1], 0xd2c
	s_ashr_i32 s5, s4, 31
	s_delay_alu instid0(SALU_CYCLE_1)
	s_lshl_b64 s[8:9], s[4:5], 18
	s_lshl_b64 s[4:5], s[4:5], 16
	s_wait_kmcnt 0x0
	s_and_b32 s2, s6, 15
	s_and_b32 s12, s10, 3
	s_sub_nc_u64 s[10:11], s[10:11], s[4:5]
	s_or_b64 s[2:3], s[2:3], s[12:13]
	s_delay_alu instid0(SALU_CYCLE_1)
	s_cmp_eq_u64 s[2:3], 0
	s_cbranch_scc1 .LBB131_21
; %bb.1:
	v_cmp_lt_i64_e64 s2, s[10:11], 1
	s_and_b32 vcc_lo, exec_lo, s2
	s_cbranch_vccnz .LBB131_20
; %bb.2:
	s_load_b32 s2, s[0:1], 0xd3c
	v_cmp_gt_i64_e64 s12, 0x10000, s[10:11]
	v_lshlrev_b32_e32 v1, 2, v0
	s_add_nc_u64 s[4:5], s[6:7], s[8:9]
	s_mov_b32 s3, 0
	v_cmp_gt_u64_e64 s16, 0x10000, s[10:11]
	s_mov_b32 s13, s3
	v_add_co_u32 v1, s14, s4, v1
	s_and_b32 s12, s12, exec_lo
	v_add_co_ci_u32_e64 v2, null, s5, 0, s14
	s_cselect_b32 s15, s11, 0
	s_cselect_b32 s14, s10, 0x10000
	s_wait_kmcnt 0x0
	s_and_b32 s2, s2, 0xffff
	s_and_b32 s12, s16, exec_lo
	s_mul_u64 s[18:19], s[2:3], 12
	v_add_co_u32 v5, s3, v0, s2
	s_cselect_b32 s17, s11, 0
	s_cselect_b32 s16, s10, 0x10000
	s_lshl_b32 s20, s2, 1
	v_lshlrev_b32_e32 v3, 2, v5
	s_mul_i32 s21, s2, 3
	v_add_co_ci_u32_e64 v8, null, 0, 0, s3
	v_add_co_u32 v9, s3, s20, v0
	v_add_co_u32 v6, s21, s21, v0
	s_wait_alu 0xf1ff
	v_add_co_ci_u32_e64 v10, null, 0, 0, s3
	v_add_co_u32 v3, s3, s4, v3
	v_add_co_ci_u32_e64 v7, null, 0, 0, s21
	s_wait_alu 0xf1ff
	v_add_co_ci_u32_e64 v4, null, s5, 0, s3
	s_lshl_b32 s12, s2, 2
	s_lshl_b32 s23, s2, 4
	;; [unrolled: 1-line block ×3, first 2 shown]
	s_mov_b64 s[20:21], 0
	s_branch .LBB131_4
.LBB131_3:                              ;   in Loop: Header=BB131_4 Depth=1
	s_wait_alu 0xfffe
	s_or_b32 exec_lo, exec_lo, s3
	s_add_nc_u64 s[20:21], s[20:21], s[12:13]
	v_add_co_u32 v1, vcc_lo, v1, s23
	s_wait_alu 0xfffe
	v_cmp_lt_i64_e64 s2, s[20:21], s[14:15]
	s_wait_alu 0xfffd
	v_add_co_ci_u32_e64 v2, null, 0, v2, vcc_lo
	v_add_co_u32 v3, vcc_lo, v3, s23
	s_wait_alu 0xfffd
	v_add_co_ci_u32_e64 v4, null, 0, v4, vcc_lo
	s_and_b32 vcc_lo, exec_lo, s2
	s_wait_alu 0xfffe
	s_cbranch_vccz .LBB131_20
.LBB131_4:                              ; =>This Inner Loop Header: Depth=1
	s_wait_loadcnt 0x0
	s_wait_alu 0xfffe
	v_add_co_u32 v11, s2, v0, s20
	s_wait_alu 0xf1ff
	v_add_co_ci_u32_e64 v12, null, 0, s21, s2
	s_delay_alu instid0(VALU_DEP_1)
	v_cmp_gt_u64_e32 vcc_lo, s[16:17], v[11:12]
	v_mov_b32_e32 v12, 0
	s_and_saveexec_b32 s2, vcc_lo
	s_cbranch_execz .LBB131_6
; %bb.5:                                ;   in Loop: Header=BB131_4 Depth=1
	global_load_b32 v12, v[1:2], off
.LBB131_6:                              ;   in Loop: Header=BB131_4 Depth=1
	s_wait_alu 0xfffe
	s_or_b32 exec_lo, exec_lo, s2
	v_add_co_u32 v13, s2, v5, s20
	s_wait_alu 0xf1ff
	v_add_co_ci_u32_e64 v14, null, s21, v8, s2
	v_mov_b32_e32 v11, 0
	s_delay_alu instid0(VALU_DEP_2)
	v_cmp_gt_u64_e64 s2, s[16:17], v[13:14]
	v_mov_b32_e32 v13, 0
	s_and_saveexec_b32 s3, s2
	s_cbranch_execz .LBB131_8
; %bb.7:                                ;   in Loop: Header=BB131_4 Depth=1
	global_load_b32 v13, v[3:4], off
.LBB131_8:                              ;   in Loop: Header=BB131_4 Depth=1
	s_wait_alu 0xfffe
	s_or_b32 exec_lo, exec_lo, s3
	v_add_co_u32 v14, s3, v9, s20
	s_wait_alu 0xf1ff
	v_add_co_ci_u32_e64 v15, null, s21, v10, s3
	s_delay_alu instid0(VALU_DEP_1)
	v_cmp_gt_u64_e64 s3, s[16:17], v[14:15]
	s_and_saveexec_b32 s5, s3
	s_cbranch_execz .LBB131_10
; %bb.9:                                ;   in Loop: Header=BB131_4 Depth=1
	v_add_co_u32 v14, s4, v1, s24
	s_wait_alu 0xf1ff
	v_add_co_ci_u32_e64 v15, null, 0, v2, s4
	global_load_b32 v11, v[14:15], off
.LBB131_10:                             ;   in Loop: Header=BB131_4 Depth=1
	s_wait_alu 0xfffe
	s_or_b32 exec_lo, exec_lo, s5
	v_add_co_u32 v14, s4, v6, s20
	s_wait_alu 0xf1ff
	v_add_co_ci_u32_e64 v15, null, s21, v7, s4
	s_delay_alu instid0(VALU_DEP_1)
	v_cmp_gt_u64_e64 s4, s[16:17], v[14:15]
	v_mov_b32_e32 v14, 0
	s_and_saveexec_b32 s25, s4
	s_cbranch_execnz .LBB131_15
; %bb.11:                               ;   in Loop: Header=BB131_4 Depth=1
	s_wait_alu 0xfffe
	s_or_b32 exec_lo, exec_lo, s25
	s_and_saveexec_b32 s25, vcc_lo
	s_cbranch_execnz .LBB131_16
.LBB131_12:                             ;   in Loop: Header=BB131_4 Depth=1
	s_wait_alu 0xfffe
	s_or_b32 exec_lo, exec_lo, s25
	s_and_saveexec_b32 s5, s2
	s_cbranch_execnz .LBB131_17
.LBB131_13:                             ;   in Loop: Header=BB131_4 Depth=1
	s_wait_alu 0xfffe
	s_or_b32 exec_lo, exec_lo, s5
	s_and_saveexec_b32 s5, s3
	s_cbranch_execnz .LBB131_18
.LBB131_14:                             ;   in Loop: Header=BB131_4 Depth=1
	s_wait_alu 0xfffe
	s_or_b32 exec_lo, exec_lo, s5
	s_and_saveexec_b32 s3, s4
	s_cbranch_execz .LBB131_3
	s_branch .LBB131_19
.LBB131_15:                             ;   in Loop: Header=BB131_4 Depth=1
	v_add_co_u32 v14, s5, v1, s18
	s_wait_alu 0xf1ff
	v_add_co_ci_u32_e64 v15, null, s19, v2, s5
	global_load_b32 v14, v[14:15], off
	s_wait_alu 0xfffe
	s_or_b32 exec_lo, exec_lo, s25
	s_and_saveexec_b32 s25, vcc_lo
	s_cbranch_execz .LBB131_12
.LBB131_16:                             ;   in Loop: Header=BB131_4 Depth=1
	s_wait_loadcnt 0x0
	v_cmp_u_f32_e32 vcc_lo, v12, v12
	v_cmp_lt_f32_e64 s5, s22, v12
	s_or_b32 vcc_lo, vcc_lo, s5
	s_wait_alu 0xfffe
	v_cndmask_b32_e32 v12, s22, v12, vcc_lo
	global_store_b32 v[1:2], v12, off
	s_or_b32 exec_lo, exec_lo, s25
	s_and_saveexec_b32 s5, s2
	s_cbranch_execz .LBB131_13
.LBB131_17:                             ;   in Loop: Header=BB131_4 Depth=1
	s_wait_loadcnt 0x0
	v_cmp_u_f32_e32 vcc_lo, v13, v13
	v_cmp_lt_f32_e64 s2, s22, v13
	s_or_b32 vcc_lo, vcc_lo, s2
	s_wait_alu 0xfffe
	v_cndmask_b32_e32 v12, s22, v13, vcc_lo
	global_store_b32 v[3:4], v12, off
	s_or_b32 exec_lo, exec_lo, s5
	s_and_saveexec_b32 s5, s3
	s_cbranch_execz .LBB131_14
.LBB131_18:                             ;   in Loop: Header=BB131_4 Depth=1
	s_wait_loadcnt 0x0
	v_cmp_u_f32_e32 vcc_lo, v11, v11
	v_cmp_lt_f32_e64 s2, s22, v11
	s_or_b32 vcc_lo, vcc_lo, s2
	s_wait_alu 0xfffe
	v_cndmask_b32_e32 v13, s22, v11, vcc_lo
	v_add_co_u32 v11, vcc_lo, v1, s24
	s_wait_alu 0xfffd
	v_add_co_ci_u32_e64 v12, null, 0, v2, vcc_lo
	global_store_b32 v[11:12], v13, off
	s_or_b32 exec_lo, exec_lo, s5
	s_and_saveexec_b32 s3, s4
	s_cbranch_execz .LBB131_3
.LBB131_19:                             ;   in Loop: Header=BB131_4 Depth=1
	s_wait_loadcnt 0x0
	v_cmp_u_f32_e32 vcc_lo, v14, v14
	v_cmp_lt_f32_e64 s2, s22, v14
	s_or_b32 vcc_lo, vcc_lo, s2
	s_wait_alu 0xfffe
	v_cndmask_b32_e32 v13, s22, v14, vcc_lo
	v_add_co_u32 v11, vcc_lo, v1, s18
	s_wait_alu 0xfffd
	v_add_co_ci_u32_e64 v12, null, s19, v2, vcc_lo
	global_store_b32 v[11:12], v13, off
	s_branch .LBB131_3
.LBB131_20:
	s_cbranch_execz .LBB131_22
	s_branch .LBB131_25
.LBB131_21:
.LBB131_22:
	v_cmp_gt_i64_e64 s2, 0x10000, s[10:11]
	v_dual_mov_b32 v2, 0 :: v_dual_lshlrev_b32 v1, 2, v0
	s_mov_b32 s12, 0
	s_and_b32 s2, s2, exec_lo
	s_cselect_b32 s11, s11, 0
	s_cselect_b32 s10, s10, 0x10000
	s_mov_b32 s2, exec_lo
	s_wait_alu 0xfffe
	v_cmpx_gt_i64_e64 s[10:11], v[1:2]
	s_cbranch_execz .LBB131_25
; %bb.23:
	s_load_b32 s2, s[0:1], 0xd3c
	v_lshlrev_b32_e32 v1, 4, v0
	s_add_nc_u64 s[0:1], s[6:7], s[8:9]
	s_delay_alu instid0(VALU_DEP_1) | instid1(SALU_CYCLE_1)
	v_add_co_u32 v3, s0, s0, v1
	s_wait_alu 0xf1ff
	v_add_co_ci_u32_e64 v4, null, s1, 0, s0
	v_mov_b32_e32 v1, v2
	s_delay_alu instid0(VALU_DEP_3) | instskip(SKIP_1) | instid1(VALU_DEP_3)
	v_add_co_u32 v2, vcc_lo, v3, 8
	s_wait_alu 0xfffd
	v_add_co_ci_u32_e64 v3, null, 0, v4, vcc_lo
	s_wait_kmcnt 0x0
	s_and_b32 s7, s2, 0xffff
	s_delay_alu instid0(SALU_CYCLE_1)
	s_lshl_b32 s8, s7, 4
.LBB131_24:                             ; =>This Inner Loop Header: Depth=1
	global_load_b128 v[4:7], v[2:3], off offset:-8
	v_add_co_u32 v0, vcc_lo, v0, s7
	s_wait_alu 0xfffd
	v_add_co_ci_u32_e64 v1, null, 0, v1, vcc_lo
	s_delay_alu instid0(VALU_DEP_1)
	v_lshlrev_b64_e32 v[8:9], 2, v[0:1]
	s_wait_loadcnt 0x0
	v_cmp_u_f32_e32 vcc_lo, v4, v4
	v_cmp_lt_f32_e64 s0, s22, v4
	v_cmp_u_f32_e64 s1, v5, v5
	v_cmp_lt_f32_e64 s2, s22, v5
	v_cmp_u_f32_e64 s3, v6, v6
	v_cmp_lt_f32_e64 s4, s22, v6
	s_or_b32 vcc_lo, vcc_lo, s0
	v_cmp_u_f32_e64 s5, v7, v7
	v_cmp_lt_f32_e64 s6, s22, v7
	s_wait_alu 0xfffe
	v_cndmask_b32_e32 v4, s22, v4, vcc_lo
	s_or_b32 vcc_lo, s1, s2
	s_wait_alu 0xfffe
	v_cndmask_b32_e32 v5, s22, v5, vcc_lo
	s_or_b32 vcc_lo, s3, s4
	;; [unrolled: 3-line block ×3, first 2 shown]
	s_wait_alu 0xfffe
	v_cndmask_b32_e32 v7, s22, v7, vcc_lo
	v_cmp_le_i64_e32 vcc_lo, s[10:11], v[8:9]
	global_store_b128 v[2:3], v[4:7], off offset:-8
	v_add_co_u32 v2, s0, v2, s8
	s_wait_alu 0xf1ff
	v_add_co_ci_u32_e64 v3, null, 0, v3, s0
	s_or_b32 s12, vcc_lo, s12
	s_delay_alu instid0(SALU_CYCLE_1)
	s_and_not1_b32 exec_lo, exec_lo, s12
	s_cbranch_execnz .LBB131_24
.LBB131_25:
	s_endpgm
	.section	.rodata,"a",@progbits
	.p2align	6, 0x0
	.amdhsa_kernel _ZN2at6native12_GLOBAL__N_125multi_tensor_apply_kernelINS1_18TensorListMetadataILi1EEENS1_21BinaryOpScalarFunctorIfLi1ELi1ELi0EEEJNS0_7maximumIfEEfEEEvT_T0_DpT1_
		.amdhsa_group_segment_fixed_size 0
		.amdhsa_private_segment_fixed_size 0
		.amdhsa_kernarg_size 3632
		.amdhsa_user_sgpr_count 2
		.amdhsa_user_sgpr_dispatch_ptr 0
		.amdhsa_user_sgpr_queue_ptr 0
		.amdhsa_user_sgpr_kernarg_segment_ptr 1
		.amdhsa_user_sgpr_dispatch_id 0
		.amdhsa_user_sgpr_private_segment_size 0
		.amdhsa_wavefront_size32 1
		.amdhsa_uses_dynamic_stack 0
		.amdhsa_enable_private_segment 0
		.amdhsa_system_sgpr_workgroup_id_x 1
		.amdhsa_system_sgpr_workgroup_id_y 0
		.amdhsa_system_sgpr_workgroup_id_z 0
		.amdhsa_system_sgpr_workgroup_info 0
		.amdhsa_system_vgpr_workitem_id 0
		.amdhsa_next_free_vgpr 16
		.amdhsa_next_free_sgpr 26
		.amdhsa_reserve_vcc 1
		.amdhsa_float_round_mode_32 0
		.amdhsa_float_round_mode_16_64 0
		.amdhsa_float_denorm_mode_32 3
		.amdhsa_float_denorm_mode_16_64 3
		.amdhsa_fp16_overflow 0
		.amdhsa_workgroup_processor_mode 1
		.amdhsa_memory_ordered 1
		.amdhsa_forward_progress 1
		.amdhsa_inst_pref_size 12
		.amdhsa_round_robin_scheduling 0
		.amdhsa_exception_fp_ieee_invalid_op 0
		.amdhsa_exception_fp_denorm_src 0
		.amdhsa_exception_fp_ieee_div_zero 0
		.amdhsa_exception_fp_ieee_overflow 0
		.amdhsa_exception_fp_ieee_underflow 0
		.amdhsa_exception_fp_ieee_inexact 0
		.amdhsa_exception_int_div_zero 0
	.end_amdhsa_kernel
	.section	.text._ZN2at6native12_GLOBAL__N_125multi_tensor_apply_kernelINS1_18TensorListMetadataILi1EEENS1_21BinaryOpScalarFunctorIfLi1ELi1ELi0EEEJNS0_7maximumIfEEfEEEvT_T0_DpT1_,"axG",@progbits,_ZN2at6native12_GLOBAL__N_125multi_tensor_apply_kernelINS1_18TensorListMetadataILi1EEENS1_21BinaryOpScalarFunctorIfLi1ELi1ELi0EEEJNS0_7maximumIfEEfEEEvT_T0_DpT1_,comdat
.Lfunc_end131:
	.size	_ZN2at6native12_GLOBAL__N_125multi_tensor_apply_kernelINS1_18TensorListMetadataILi1EEENS1_21BinaryOpScalarFunctorIfLi1ELi1ELi0EEEJNS0_7maximumIfEEfEEEvT_T0_DpT1_, .Lfunc_end131-_ZN2at6native12_GLOBAL__N_125multi_tensor_apply_kernelINS1_18TensorListMetadataILi1EEENS1_21BinaryOpScalarFunctorIfLi1ELi1ELi0EEEJNS0_7maximumIfEEfEEEvT_T0_DpT1_
                                        ; -- End function
	.set _ZN2at6native12_GLOBAL__N_125multi_tensor_apply_kernelINS1_18TensorListMetadataILi1EEENS1_21BinaryOpScalarFunctorIfLi1ELi1ELi0EEEJNS0_7maximumIfEEfEEEvT_T0_DpT1_.num_vgpr, 16
	.set _ZN2at6native12_GLOBAL__N_125multi_tensor_apply_kernelINS1_18TensorListMetadataILi1EEENS1_21BinaryOpScalarFunctorIfLi1ELi1ELi0EEEJNS0_7maximumIfEEfEEEvT_T0_DpT1_.num_agpr, 0
	.set _ZN2at6native12_GLOBAL__N_125multi_tensor_apply_kernelINS1_18TensorListMetadataILi1EEENS1_21BinaryOpScalarFunctorIfLi1ELi1ELi0EEEJNS0_7maximumIfEEfEEEvT_T0_DpT1_.numbered_sgpr, 26
	.set _ZN2at6native12_GLOBAL__N_125multi_tensor_apply_kernelINS1_18TensorListMetadataILi1EEENS1_21BinaryOpScalarFunctorIfLi1ELi1ELi0EEEJNS0_7maximumIfEEfEEEvT_T0_DpT1_.num_named_barrier, 0
	.set _ZN2at6native12_GLOBAL__N_125multi_tensor_apply_kernelINS1_18TensorListMetadataILi1EEENS1_21BinaryOpScalarFunctorIfLi1ELi1ELi0EEEJNS0_7maximumIfEEfEEEvT_T0_DpT1_.private_seg_size, 0
	.set _ZN2at6native12_GLOBAL__N_125multi_tensor_apply_kernelINS1_18TensorListMetadataILi1EEENS1_21BinaryOpScalarFunctorIfLi1ELi1ELi0EEEJNS0_7maximumIfEEfEEEvT_T0_DpT1_.uses_vcc, 1
	.set _ZN2at6native12_GLOBAL__N_125multi_tensor_apply_kernelINS1_18TensorListMetadataILi1EEENS1_21BinaryOpScalarFunctorIfLi1ELi1ELi0EEEJNS0_7maximumIfEEfEEEvT_T0_DpT1_.uses_flat_scratch, 0
	.set _ZN2at6native12_GLOBAL__N_125multi_tensor_apply_kernelINS1_18TensorListMetadataILi1EEENS1_21BinaryOpScalarFunctorIfLi1ELi1ELi0EEEJNS0_7maximumIfEEfEEEvT_T0_DpT1_.has_dyn_sized_stack, 0
	.set _ZN2at6native12_GLOBAL__N_125multi_tensor_apply_kernelINS1_18TensorListMetadataILi1EEENS1_21BinaryOpScalarFunctorIfLi1ELi1ELi0EEEJNS0_7maximumIfEEfEEEvT_T0_DpT1_.has_recursion, 0
	.set _ZN2at6native12_GLOBAL__N_125multi_tensor_apply_kernelINS1_18TensorListMetadataILi1EEENS1_21BinaryOpScalarFunctorIfLi1ELi1ELi0EEEJNS0_7maximumIfEEfEEEvT_T0_DpT1_.has_indirect_call, 0
	.section	.AMDGPU.csdata,"",@progbits
; Kernel info:
; codeLenInByte = 1416
; TotalNumSgprs: 28
; NumVgprs: 16
; ScratchSize: 0
; MemoryBound: 0
; FloatMode: 240
; IeeeMode: 1
; LDSByteSize: 0 bytes/workgroup (compile time only)
; SGPRBlocks: 0
; VGPRBlocks: 1
; NumSGPRsForWavesPerEU: 28
; NumVGPRsForWavesPerEU: 16
; Occupancy: 16
; WaveLimiterHint : 0
; COMPUTE_PGM_RSRC2:SCRATCH_EN: 0
; COMPUTE_PGM_RSRC2:USER_SGPR: 2
; COMPUTE_PGM_RSRC2:TRAP_HANDLER: 0
; COMPUTE_PGM_RSRC2:TGID_X_EN: 1
; COMPUTE_PGM_RSRC2:TGID_Y_EN: 0
; COMPUTE_PGM_RSRC2:TGID_Z_EN: 0
; COMPUTE_PGM_RSRC2:TIDIG_COMP_CNT: 0
	.section	.text._ZN2at6native12_GLOBAL__N_125multi_tensor_apply_kernelINS1_18TensorListMetadataILi1EEENS1_21BinaryOpScalarFunctorIN3c104HalfELi1ELi1ELi0EEEJNS0_7maximumIfEEfEEEvT_T0_DpT1_,"axG",@progbits,_ZN2at6native12_GLOBAL__N_125multi_tensor_apply_kernelINS1_18TensorListMetadataILi1EEENS1_21BinaryOpScalarFunctorIN3c104HalfELi1ELi1ELi0EEEJNS0_7maximumIfEEfEEEvT_T0_DpT1_,comdat
	.globl	_ZN2at6native12_GLOBAL__N_125multi_tensor_apply_kernelINS1_18TensorListMetadataILi1EEENS1_21BinaryOpScalarFunctorIN3c104HalfELi1ELi1ELi0EEEJNS0_7maximumIfEEfEEEvT_T0_DpT1_ ; -- Begin function _ZN2at6native12_GLOBAL__N_125multi_tensor_apply_kernelINS1_18TensorListMetadataILi1EEENS1_21BinaryOpScalarFunctorIN3c104HalfELi1ELi1ELi0EEEJNS0_7maximumIfEEfEEEvT_T0_DpT1_
	.p2align	8
	.type	_ZN2at6native12_GLOBAL__N_125multi_tensor_apply_kernelINS1_18TensorListMetadataILi1EEENS1_21BinaryOpScalarFunctorIN3c104HalfELi1ELi1ELi0EEEJNS0_7maximumIfEEfEEEvT_T0_DpT1_,@function
_ZN2at6native12_GLOBAL__N_125multi_tensor_apply_kernelINS1_18TensorListMetadataILi1EEENS1_21BinaryOpScalarFunctorIN3c104HalfELi1ELi1ELi0EEEJNS0_7maximumIfEEfEEEvT_T0_DpT1_: ; @_ZN2at6native12_GLOBAL__N_125multi_tensor_apply_kernelINS1_18TensorListMetadataILi1EEENS1_21BinaryOpScalarFunctorIN3c104HalfELi1ELi1ELi0EEEJNS0_7maximumIfEEfEEEvT_T0_DpT1_
; %bb.0:
	s_load_u8 s8, s[0:1], ttmp9 offset:0x6e0
	s_mov_b32 s2, ttmp9
	s_mov_b32 s3, 0
	s_delay_alu instid0(SALU_CYCLE_1)
	s_mul_u64 s[4:5], s[2:3], 3
	s_add_nc_u64 s[6:7], s[0:1], s[2:3]
	s_mov_b32 s13, s3
	s_add_nc_u64 s[4:5], s[6:7], s[4:5]
	s_load_b32 s4, s[4:5], 0x820
	s_wait_kmcnt 0x0
	s_lshl_b32 s2, s8, 3
	s_clause 0x2
	s_load_b64 s[6:7], s[0:1], s2 offset:0x0
	s_load_b64 s[10:11], s[0:1], s2 offset:0x370
	s_load_b32 s22, s[0:1], 0xd2c
	s_ashr_i32 s5, s4, 31
	s_delay_alu instid0(SALU_CYCLE_1)
	s_lshl_b64 s[8:9], s[4:5], 17
	s_lshl_b64 s[4:5], s[4:5], 16
	s_wait_kmcnt 0x0
	s_and_b32 s2, s6, 7
	s_and_b32 s12, s10, 3
	s_sub_nc_u64 s[10:11], s[10:11], s[4:5]
	s_or_b64 s[2:3], s[2:3], s[12:13]
	s_delay_alu instid0(SALU_CYCLE_1)
	s_cmp_eq_u64 s[2:3], 0
	s_cbranch_scc1 .LBB132_21
; %bb.1:
	v_cmp_lt_i64_e64 s2, s[10:11], 1
	s_and_b32 vcc_lo, exec_lo, s2
	s_cbranch_vccnz .LBB132_20
; %bb.2:
	s_load_b32 s2, s[0:1], 0xd3c
	v_cmp_gt_i64_e64 s12, 0x10000, s[10:11]
	v_lshlrev_b32_e32 v1, 1, v0
	s_add_nc_u64 s[4:5], s[6:7], s[8:9]
	v_cmp_gt_u64_e64 s14, 0x10000, s[10:11]
	s_mov_b32 s3, 0
	s_cvt_f16_f32 s23, s22
	v_add_co_u32 v1, s13, s4, v1
	s_and_b32 s12, s12, exec_lo
	v_add_co_ci_u32_e64 v2, null, s5, 0, s13
	s_cselect_b32 s13, s11, 0
	s_cselect_b32 s12, s10, 0x10000
	s_wait_kmcnt 0x0
	s_and_b32 s2, s2, 0xffff
	s_and_b32 s14, s14, exec_lo
	v_add_co_u32 v5, s21, v0, s2
	s_cselect_b32 s15, s11, 0
	s_cselect_b32 s14, s10, 0x10000
	s_lshl_b32 s17, s2, 1
	v_lshlrev_b32_e32 v3, 1, v5
	s_mul_i32 s20, s2, 3
	v_add_co_u32 v9, s17, s17, v0
	v_add_co_u32 v6, s20, s20, v0
	s_delay_alu instid0(VALU_DEP_3)
	v_add_co_u32 v3, s4, s4, v3
	s_wait_alu 0xf1ff
	v_add_co_ci_u32_e64 v7, null, 0, 0, s20
	v_add_co_ci_u32_e64 v8, null, 0, 0, s21
	;; [unrolled: 1-line block ×4, first 2 shown]
	s_lshl_b32 s16, s2, 2
	s_mul_u64 s[18:19], s[2:3], 6
	s_mov_b32 s17, s3
	s_lshl_b32 s24, s2, 3
	s_mov_b64 s[20:21], 0
	s_branch .LBB132_4
.LBB132_3:                              ;   in Loop: Header=BB132_4 Depth=1
	s_wait_alu 0xfffe
	s_or_b32 exec_lo, exec_lo, s3
	s_add_nc_u64 s[20:21], s[20:21], s[16:17]
	v_add_co_u32 v1, vcc_lo, v1, s24
	s_wait_alu 0xfffe
	v_cmp_lt_i64_e64 s2, s[20:21], s[12:13]
	s_wait_alu 0xfffd
	v_add_co_ci_u32_e64 v2, null, 0, v2, vcc_lo
	v_add_co_u32 v3, vcc_lo, v3, s24
	s_wait_alu 0xfffd
	v_add_co_ci_u32_e64 v4, null, 0, v4, vcc_lo
	s_and_b32 vcc_lo, exec_lo, s2
	s_wait_alu 0xfffe
	s_cbranch_vccz .LBB132_20
.LBB132_4:                              ; =>This Inner Loop Header: Depth=1
	s_wait_loadcnt 0x0
	s_wait_alu 0xfffe
	v_add_co_u32 v11, s2, v0, s20
	s_wait_alu 0xf1ff
	v_add_co_ci_u32_e64 v12, null, 0, s21, s2
	s_delay_alu instid0(VALU_DEP_1)
	v_cmp_gt_u64_e32 vcc_lo, s[14:15], v[11:12]
	v_mov_b32_e32 v12, 0
	s_and_saveexec_b32 s2, vcc_lo
	s_cbranch_execz .LBB132_6
; %bb.5:                                ;   in Loop: Header=BB132_4 Depth=1
	global_load_u16 v12, v[1:2], off
.LBB132_6:                              ;   in Loop: Header=BB132_4 Depth=1
	s_wait_alu 0xfffe
	s_or_b32 exec_lo, exec_lo, s2
	v_add_co_u32 v13, s2, v5, s20
	s_wait_alu 0xf1ff
	v_add_co_ci_u32_e64 v14, null, s21, v8, s2
	v_mov_b32_e32 v11, 0
	s_delay_alu instid0(VALU_DEP_2)
	v_cmp_gt_u64_e64 s2, s[14:15], v[13:14]
	v_mov_b32_e32 v13, 0
	s_and_saveexec_b32 s3, s2
	s_cbranch_execz .LBB132_8
; %bb.7:                                ;   in Loop: Header=BB132_4 Depth=1
	global_load_u16 v13, v[3:4], off
.LBB132_8:                              ;   in Loop: Header=BB132_4 Depth=1
	s_wait_alu 0xfffe
	s_or_b32 exec_lo, exec_lo, s3
	v_add_co_u32 v14, s3, v9, s20
	s_wait_alu 0xf1ff
	v_add_co_ci_u32_e64 v15, null, s21, v10, s3
	s_delay_alu instid0(VALU_DEP_1)
	v_cmp_gt_u64_e64 s3, s[14:15], v[14:15]
	s_and_saveexec_b32 s5, s3
	s_cbranch_execz .LBB132_10
; %bb.9:                                ;   in Loop: Header=BB132_4 Depth=1
	v_add_co_u32 v14, s4, v1, s16
	s_wait_alu 0xf1ff
	v_add_co_ci_u32_e64 v15, null, 0, v2, s4
	global_load_u16 v11, v[14:15], off
.LBB132_10:                             ;   in Loop: Header=BB132_4 Depth=1
	s_wait_alu 0xfffe
	s_or_b32 exec_lo, exec_lo, s5
	v_add_co_u32 v14, s4, v6, s20
	s_wait_alu 0xf1ff
	v_add_co_ci_u32_e64 v15, null, s21, v7, s4
	s_delay_alu instid0(VALU_DEP_1)
	v_cmp_gt_u64_e64 s4, s[14:15], v[14:15]
	v_mov_b32_e32 v14, 0
	s_and_saveexec_b32 s25, s4
	s_cbranch_execnz .LBB132_15
; %bb.11:                               ;   in Loop: Header=BB132_4 Depth=1
	s_wait_alu 0xfffe
	s_or_b32 exec_lo, exec_lo, s25
	s_and_saveexec_b32 s25, vcc_lo
	s_cbranch_execnz .LBB132_16
.LBB132_12:                             ;   in Loop: Header=BB132_4 Depth=1
	s_wait_alu 0xfffe
	s_or_b32 exec_lo, exec_lo, s25
	s_and_saveexec_b32 s5, s2
	s_cbranch_execnz .LBB132_17
.LBB132_13:                             ;   in Loop: Header=BB132_4 Depth=1
	s_wait_alu 0xfffe
	s_or_b32 exec_lo, exec_lo, s5
	s_and_saveexec_b32 s5, s3
	s_cbranch_execnz .LBB132_18
.LBB132_14:                             ;   in Loop: Header=BB132_4 Depth=1
	s_wait_alu 0xfffe
	s_or_b32 exec_lo, exec_lo, s5
	s_and_saveexec_b32 s3, s4
	s_cbranch_execz .LBB132_3
	s_branch .LBB132_19
.LBB132_15:                             ;   in Loop: Header=BB132_4 Depth=1
	v_add_co_u32 v14, s5, v1, s18
	s_wait_alu 0xf1ff
	v_add_co_ci_u32_e64 v15, null, s19, v2, s5
	global_load_u16 v14, v[14:15], off
	s_wait_alu 0xfffe
	s_or_b32 exec_lo, exec_lo, s25
	s_and_saveexec_b32 s25, vcc_lo
	s_cbranch_execz .LBB132_12
.LBB132_16:                             ;   in Loop: Header=BB132_4 Depth=1
	s_wait_loadcnt 0x0
	v_cvt_f32_f16_e32 v15, v12
	v_cmp_u_f16_e32 vcc_lo, v12, v12
	s_delay_alu instid0(VALU_DEP_2)
	v_cmp_lt_f32_e64 s5, s22, v15
	s_or_b32 vcc_lo, vcc_lo, s5
	s_wait_alu 0xfffe
	v_cndmask_b32_e32 v12, s23, v12, vcc_lo
	global_store_b16 v[1:2], v12, off
	s_or_b32 exec_lo, exec_lo, s25
	s_and_saveexec_b32 s5, s2
	s_cbranch_execz .LBB132_13
.LBB132_17:                             ;   in Loop: Header=BB132_4 Depth=1
	s_wait_loadcnt 0x0
	v_cvt_f32_f16_e32 v12, v13
	v_cmp_u_f16_e32 vcc_lo, v13, v13
	s_delay_alu instid0(VALU_DEP_2)
	v_cmp_lt_f32_e64 s2, s22, v12
	s_or_b32 vcc_lo, vcc_lo, s2
	s_wait_alu 0xfffe
	v_cndmask_b32_e32 v12, s23, v13, vcc_lo
	global_store_b16 v[3:4], v12, off
	s_or_b32 exec_lo, exec_lo, s5
	s_and_saveexec_b32 s5, s3
	s_cbranch_execz .LBB132_14
.LBB132_18:                             ;   in Loop: Header=BB132_4 Depth=1
	s_wait_loadcnt 0x0
	v_cvt_f32_f16_e32 v12, v11
	v_cmp_u_f16_e32 vcc_lo, v11, v11
	s_delay_alu instid0(VALU_DEP_2)
	v_cmp_lt_f32_e64 s2, s22, v12
	s_or_b32 vcc_lo, vcc_lo, s2
	s_wait_alu 0xfffe
	v_cndmask_b32_e32 v13, s23, v11, vcc_lo
	v_add_co_u32 v11, vcc_lo, v1, s16
	s_wait_alu 0xfffd
	v_add_co_ci_u32_e64 v12, null, 0, v2, vcc_lo
	global_store_b16 v[11:12], v13, off
	s_or_b32 exec_lo, exec_lo, s5
	s_and_saveexec_b32 s3, s4
	s_cbranch_execz .LBB132_3
.LBB132_19:                             ;   in Loop: Header=BB132_4 Depth=1
	s_wait_loadcnt 0x0
	v_cvt_f32_f16_e32 v11, v14
	v_cmp_u_f16_e32 vcc_lo, v14, v14
	s_delay_alu instid0(VALU_DEP_2)
	v_cmp_lt_f32_e64 s2, s22, v11
	s_or_b32 vcc_lo, vcc_lo, s2
	s_wait_alu 0xfffe
	v_cndmask_b32_e32 v13, s23, v14, vcc_lo
	v_add_co_u32 v11, vcc_lo, v1, s18
	s_wait_alu 0xfffd
	v_add_co_ci_u32_e64 v12, null, s19, v2, vcc_lo
	global_store_b16 v[11:12], v13, off
	s_branch .LBB132_3
.LBB132_20:
	s_cbranch_execz .LBB132_22
	s_branch .LBB132_25
.LBB132_21:
.LBB132_22:
	v_cmp_gt_i64_e64 s2, 0x10000, s[10:11]
	v_dual_mov_b32 v2, 0 :: v_dual_lshlrev_b32 v1, 2, v0
	s_mov_b32 s12, 0
	s_and_b32 s2, s2, exec_lo
	s_cselect_b32 s11, s11, 0
	s_cselect_b32 s10, s10, 0x10000
	s_mov_b32 s2, exec_lo
	s_wait_alu 0xfffe
	v_cmpx_gt_i64_e64 s[10:11], v[1:2]
	s_cbranch_execz .LBB132_25
; %bb.23:
	s_load_b32 s2, s[0:1], 0xd3c
	v_lshlrev_b32_e32 v3, 3, v0
	s_add_nc_u64 s[0:1], s[6:7], s[8:9]
	v_mov_b32_e32 v1, v2
	s_cvt_f16_f32 s13, s22
	s_mov_b32 s6, s22
	v_add_co_u32 v2, s0, s0, v3
	s_wait_alu 0xf1ff
	v_add_co_ci_u32_e64 v3, null, s1, 0, s0
	s_wait_alu 0xfffe
	s_pack_ll_b32_b16 s8, s13, s13
	v_add_co_u32 v2, vcc_lo, v2, 6
	s_wait_alu 0xfffd
	v_add_co_ci_u32_e64 v3, null, 0, v3, vcc_lo
	s_lshr_b32 s14, s8, 16
	s_wait_kmcnt 0x0
	s_and_b32 s7, s2, 0xffff
	s_delay_alu instid0(SALU_CYCLE_1)
	s_lshl_b32 s9, s7, 3
.LBB132_24:                             ; =>This Inner Loop Header: Depth=1
	global_load_b64 v[4:5], v[2:3], off offset:-6
	v_add_co_u32 v0, vcc_lo, v0, s7
	s_wait_alu 0xfffd
	v_add_co_ci_u32_e64 v1, null, 0, v1, vcc_lo
	s_wait_loadcnt 0x0
	v_cvt_f32_f16_e32 v6, v4
	v_lshrrev_b32_e32 v7, 16, v5
	v_lshrrev_b32_e32 v8, 16, v4
	v_cmp_u_f16_e32 vcc_lo, v4, v4
	v_cvt_f32_f16_e32 v9, v5
	v_cmp_lt_f32_e64 s1, s22, v6
	v_cvt_f32_f16_e32 v6, v7
	v_cvt_f32_f16_e32 v10, v8
	v_cmp_u_f16_e64 s0, v5, v5
	v_cmp_lt_f32_e64 s4, s6, v9
	s_or_b32 vcc_lo, vcc_lo, s1
	v_cmp_u_f16_e64 s2, v7, v7
	v_cmp_u_f16_e64 s3, v8, v8
	v_cmp_lt_f32_e64 s5, s22, v6
	s_wait_alu 0xfffe
	v_cndmask_b32_e32 v6, s13, v4, vcc_lo
	v_cmp_lt_f32_e32 vcc_lo, s22, v10
	s_or_b32 s0, s0, s4
	s_wait_alu 0xfffe
	v_cndmask_b32_e64 v9, s14, v5, s0
	s_or_b32 s0, s2, s5
	s_or_b32 vcc_lo, s3, vcc_lo
	s_wait_alu 0xfffe
	v_cndmask_b32_e64 v7, s13, v7, s0
	v_cndmask_b32_e32 v8, s8, v8, vcc_lo
	v_lshlrev_b64_e32 v[4:5], 2, v[0:1]
	s_delay_alu instid0(VALU_DEP_3) | instskip(NEXT) | instid1(VALU_DEP_3)
	v_perm_b32 v7, v7, v9, 0x5040100
	v_perm_b32 v6, v8, v6, 0x5040100
	s_delay_alu instid0(VALU_DEP_3)
	v_cmp_le_i64_e32 vcc_lo, s[10:11], v[4:5]
	global_store_b64 v[2:3], v[6:7], off offset:-6
	v_add_co_u32 v2, s0, v2, s9
	s_wait_alu 0xf1ff
	v_add_co_ci_u32_e64 v3, null, 0, v3, s0
	s_or_b32 s12, vcc_lo, s12
	s_wait_alu 0xfffe
	s_and_not1_b32 exec_lo, exec_lo, s12
	s_cbranch_execnz .LBB132_24
.LBB132_25:
	s_endpgm
	.section	.rodata,"a",@progbits
	.p2align	6, 0x0
	.amdhsa_kernel _ZN2at6native12_GLOBAL__N_125multi_tensor_apply_kernelINS1_18TensorListMetadataILi1EEENS1_21BinaryOpScalarFunctorIN3c104HalfELi1ELi1ELi0EEEJNS0_7maximumIfEEfEEEvT_T0_DpT1_
		.amdhsa_group_segment_fixed_size 0
		.amdhsa_private_segment_fixed_size 0
		.amdhsa_kernarg_size 3632
		.amdhsa_user_sgpr_count 2
		.amdhsa_user_sgpr_dispatch_ptr 0
		.amdhsa_user_sgpr_queue_ptr 0
		.amdhsa_user_sgpr_kernarg_segment_ptr 1
		.amdhsa_user_sgpr_dispatch_id 0
		.amdhsa_user_sgpr_private_segment_size 0
		.amdhsa_wavefront_size32 1
		.amdhsa_uses_dynamic_stack 0
		.amdhsa_enable_private_segment 0
		.amdhsa_system_sgpr_workgroup_id_x 1
		.amdhsa_system_sgpr_workgroup_id_y 0
		.amdhsa_system_sgpr_workgroup_id_z 0
		.amdhsa_system_sgpr_workgroup_info 0
		.amdhsa_system_vgpr_workitem_id 0
		.amdhsa_next_free_vgpr 16
		.amdhsa_next_free_sgpr 26
		.amdhsa_reserve_vcc 1
		.amdhsa_float_round_mode_32 0
		.amdhsa_float_round_mode_16_64 0
		.amdhsa_float_denorm_mode_32 3
		.amdhsa_float_denorm_mode_16_64 3
		.amdhsa_fp16_overflow 0
		.amdhsa_workgroup_processor_mode 1
		.amdhsa_memory_ordered 1
		.amdhsa_forward_progress 1
		.amdhsa_inst_pref_size 12
		.amdhsa_round_robin_scheduling 0
		.amdhsa_exception_fp_ieee_invalid_op 0
		.amdhsa_exception_fp_denorm_src 0
		.amdhsa_exception_fp_ieee_div_zero 0
		.amdhsa_exception_fp_ieee_overflow 0
		.amdhsa_exception_fp_ieee_underflow 0
		.amdhsa_exception_fp_ieee_inexact 0
		.amdhsa_exception_int_div_zero 0
	.end_amdhsa_kernel
	.section	.text._ZN2at6native12_GLOBAL__N_125multi_tensor_apply_kernelINS1_18TensorListMetadataILi1EEENS1_21BinaryOpScalarFunctorIN3c104HalfELi1ELi1ELi0EEEJNS0_7maximumIfEEfEEEvT_T0_DpT1_,"axG",@progbits,_ZN2at6native12_GLOBAL__N_125multi_tensor_apply_kernelINS1_18TensorListMetadataILi1EEENS1_21BinaryOpScalarFunctorIN3c104HalfELi1ELi1ELi0EEEJNS0_7maximumIfEEfEEEvT_T0_DpT1_,comdat
.Lfunc_end132:
	.size	_ZN2at6native12_GLOBAL__N_125multi_tensor_apply_kernelINS1_18TensorListMetadataILi1EEENS1_21BinaryOpScalarFunctorIN3c104HalfELi1ELi1ELi0EEEJNS0_7maximumIfEEfEEEvT_T0_DpT1_, .Lfunc_end132-_ZN2at6native12_GLOBAL__N_125multi_tensor_apply_kernelINS1_18TensorListMetadataILi1EEENS1_21BinaryOpScalarFunctorIN3c104HalfELi1ELi1ELi0EEEJNS0_7maximumIfEEfEEEvT_T0_DpT1_
                                        ; -- End function
	.set _ZN2at6native12_GLOBAL__N_125multi_tensor_apply_kernelINS1_18TensorListMetadataILi1EEENS1_21BinaryOpScalarFunctorIN3c104HalfELi1ELi1ELi0EEEJNS0_7maximumIfEEfEEEvT_T0_DpT1_.num_vgpr, 16
	.set _ZN2at6native12_GLOBAL__N_125multi_tensor_apply_kernelINS1_18TensorListMetadataILi1EEENS1_21BinaryOpScalarFunctorIN3c104HalfELi1ELi1ELi0EEEJNS0_7maximumIfEEfEEEvT_T0_DpT1_.num_agpr, 0
	.set _ZN2at6native12_GLOBAL__N_125multi_tensor_apply_kernelINS1_18TensorListMetadataILi1EEENS1_21BinaryOpScalarFunctorIN3c104HalfELi1ELi1ELi0EEEJNS0_7maximumIfEEfEEEvT_T0_DpT1_.numbered_sgpr, 26
	.set _ZN2at6native12_GLOBAL__N_125multi_tensor_apply_kernelINS1_18TensorListMetadataILi1EEENS1_21BinaryOpScalarFunctorIN3c104HalfELi1ELi1ELi0EEEJNS0_7maximumIfEEfEEEvT_T0_DpT1_.num_named_barrier, 0
	.set _ZN2at6native12_GLOBAL__N_125multi_tensor_apply_kernelINS1_18TensorListMetadataILi1EEENS1_21BinaryOpScalarFunctorIN3c104HalfELi1ELi1ELi0EEEJNS0_7maximumIfEEfEEEvT_T0_DpT1_.private_seg_size, 0
	.set _ZN2at6native12_GLOBAL__N_125multi_tensor_apply_kernelINS1_18TensorListMetadataILi1EEENS1_21BinaryOpScalarFunctorIN3c104HalfELi1ELi1ELi0EEEJNS0_7maximumIfEEfEEEvT_T0_DpT1_.uses_vcc, 1
	.set _ZN2at6native12_GLOBAL__N_125multi_tensor_apply_kernelINS1_18TensorListMetadataILi1EEENS1_21BinaryOpScalarFunctorIN3c104HalfELi1ELi1ELi0EEEJNS0_7maximumIfEEfEEEvT_T0_DpT1_.uses_flat_scratch, 0
	.set _ZN2at6native12_GLOBAL__N_125multi_tensor_apply_kernelINS1_18TensorListMetadataILi1EEENS1_21BinaryOpScalarFunctorIN3c104HalfELi1ELi1ELi0EEEJNS0_7maximumIfEEfEEEvT_T0_DpT1_.has_dyn_sized_stack, 0
	.set _ZN2at6native12_GLOBAL__N_125multi_tensor_apply_kernelINS1_18TensorListMetadataILi1EEENS1_21BinaryOpScalarFunctorIN3c104HalfELi1ELi1ELi0EEEJNS0_7maximumIfEEfEEEvT_T0_DpT1_.has_recursion, 0
	.set _ZN2at6native12_GLOBAL__N_125multi_tensor_apply_kernelINS1_18TensorListMetadataILi1EEENS1_21BinaryOpScalarFunctorIN3c104HalfELi1ELi1ELi0EEEJNS0_7maximumIfEEfEEEvT_T0_DpT1_.has_indirect_call, 0
	.section	.AMDGPU.csdata,"",@progbits
; Kernel info:
; codeLenInByte = 1512
; TotalNumSgprs: 28
; NumVgprs: 16
; ScratchSize: 0
; MemoryBound: 0
; FloatMode: 240
; IeeeMode: 1
; LDSByteSize: 0 bytes/workgroup (compile time only)
; SGPRBlocks: 0
; VGPRBlocks: 1
; NumSGPRsForWavesPerEU: 28
; NumVGPRsForWavesPerEU: 16
; Occupancy: 16
; WaveLimiterHint : 0
; COMPUTE_PGM_RSRC2:SCRATCH_EN: 0
; COMPUTE_PGM_RSRC2:USER_SGPR: 2
; COMPUTE_PGM_RSRC2:TRAP_HANDLER: 0
; COMPUTE_PGM_RSRC2:TGID_X_EN: 1
; COMPUTE_PGM_RSRC2:TGID_Y_EN: 0
; COMPUTE_PGM_RSRC2:TGID_Z_EN: 0
; COMPUTE_PGM_RSRC2:TIDIG_COMP_CNT: 0
	.section	.text._ZN2at6native12_GLOBAL__N_125multi_tensor_apply_kernelINS1_18TensorListMetadataILi1EEENS1_21BinaryOpScalarFunctorIN3c108BFloat16ELi1ELi1ELi0EEEJNS0_7maximumIfEEfEEEvT_T0_DpT1_,"axG",@progbits,_ZN2at6native12_GLOBAL__N_125multi_tensor_apply_kernelINS1_18TensorListMetadataILi1EEENS1_21BinaryOpScalarFunctorIN3c108BFloat16ELi1ELi1ELi0EEEJNS0_7maximumIfEEfEEEvT_T0_DpT1_,comdat
	.globl	_ZN2at6native12_GLOBAL__N_125multi_tensor_apply_kernelINS1_18TensorListMetadataILi1EEENS1_21BinaryOpScalarFunctorIN3c108BFloat16ELi1ELi1ELi0EEEJNS0_7maximumIfEEfEEEvT_T0_DpT1_ ; -- Begin function _ZN2at6native12_GLOBAL__N_125multi_tensor_apply_kernelINS1_18TensorListMetadataILi1EEENS1_21BinaryOpScalarFunctorIN3c108BFloat16ELi1ELi1ELi0EEEJNS0_7maximumIfEEfEEEvT_T0_DpT1_
	.p2align	8
	.type	_ZN2at6native12_GLOBAL__N_125multi_tensor_apply_kernelINS1_18TensorListMetadataILi1EEENS1_21BinaryOpScalarFunctorIN3c108BFloat16ELi1ELi1ELi0EEEJNS0_7maximumIfEEfEEEvT_T0_DpT1_,@function
_ZN2at6native12_GLOBAL__N_125multi_tensor_apply_kernelINS1_18TensorListMetadataILi1EEENS1_21BinaryOpScalarFunctorIN3c108BFloat16ELi1ELi1ELi0EEEJNS0_7maximumIfEEfEEEvT_T0_DpT1_: ; @_ZN2at6native12_GLOBAL__N_125multi_tensor_apply_kernelINS1_18TensorListMetadataILi1EEENS1_21BinaryOpScalarFunctorIN3c108BFloat16ELi1ELi1ELi0EEEJNS0_7maximumIfEEfEEEvT_T0_DpT1_
; %bb.0:
	s_load_u8 s8, s[0:1], ttmp9 offset:0x6e0
	s_mov_b32 s2, ttmp9
	s_mov_b32 s3, 0
	s_delay_alu instid0(SALU_CYCLE_1)
	s_mul_u64 s[4:5], s[2:3], 3
	s_add_nc_u64 s[6:7], s[0:1], s[2:3]
	s_mov_b32 s13, s3
	s_add_nc_u64 s[4:5], s[6:7], s[4:5]
	s_load_b32 s4, s[4:5], 0x820
	s_wait_kmcnt 0x0
	s_lshl_b32 s2, s8, 3
	s_clause 0x2
	s_load_b64 s[6:7], s[0:1], s2 offset:0x0
	s_load_b64 s[10:11], s[0:1], s2 offset:0x370
	s_load_b32 s22, s[0:1], 0xd2c
	s_ashr_i32 s5, s4, 31
	s_delay_alu instid0(SALU_CYCLE_1)
	s_lshl_b64 s[8:9], s[4:5], 17
	s_lshl_b64 s[4:5], s[4:5], 16
	s_wait_kmcnt 0x0
	s_and_b32 s2, s6, 7
	s_and_b32 s12, s10, 3
	s_sub_nc_u64 s[10:11], s[10:11], s[4:5]
	s_or_b64 s[2:3], s[2:3], s[12:13]
	s_delay_alu instid0(SALU_CYCLE_1)
	s_cmp_eq_u64 s[2:3], 0
	s_cbranch_scc1 .LBB133_21
; %bb.1:
	v_cmp_lt_i64_e64 s2, s[10:11], 1
	s_and_b32 vcc_lo, exec_lo, s2
	s_cbranch_vccnz .LBB133_20
; %bb.2:
	s_load_b32 s2, s[0:1], 0xd3c
	v_cmp_gt_i64_e64 s12, 0x10000, s[10:11]
	v_lshlrev_b32_e32 v1, 1, v0
	s_add_nc_u64 s[4:5], s[6:7], s[8:9]
	v_cmp_gt_u64_e64 s14, 0x10000, s[10:11]
	s_mov_b32 s3, 0
	v_add_co_u32 v1, s13, s4, v1
	s_and_b32 s12, s12, exec_lo
	v_add_co_ci_u32_e64 v2, null, s5, 0, s13
	s_cselect_b32 s13, s11, 0
	s_cselect_b32 s12, s10, 0x10000
	s_wait_kmcnt 0x0
	s_and_b32 s2, s2, 0xffff
	s_and_b32 s14, s14, exec_lo
	v_add_co_u32 v5, s21, v0, s2
	s_cselect_b32 s15, s11, 0
	s_cselect_b32 s14, s10, 0x10000
	s_lshl_b32 s17, s2, 1
	v_lshlrev_b32_e32 v3, 1, v5
	s_mul_i32 s20, s2, 3
	v_add_co_u32 v9, s17, s17, v0
	v_add_co_u32 v6, s20, s20, v0
	s_delay_alu instid0(VALU_DEP_3)
	v_add_co_u32 v3, s4, s4, v3
	s_wait_alu 0xf1ff
	v_add_co_ci_u32_e64 v7, null, 0, 0, s20
	v_add_co_ci_u32_e64 v8, null, 0, 0, s21
	;; [unrolled: 1-line block ×4, first 2 shown]
	s_lshl_b32 s16, s2, 2
	s_mul_u64 s[18:19], s[2:3], 6
	s_mov_b32 s17, s3
	s_lshl_b32 s23, s2, 3
	s_mov_b64 s[20:21], 0
	s_branch .LBB133_4
.LBB133_3:                              ;   in Loop: Header=BB133_4 Depth=1
	s_wait_alu 0xfffe
	s_or_b32 exec_lo, exec_lo, s3
	s_add_nc_u64 s[20:21], s[20:21], s[16:17]
	v_add_co_u32 v1, vcc_lo, v1, s23
	s_wait_alu 0xfffe
	v_cmp_lt_i64_e64 s2, s[20:21], s[12:13]
	s_wait_alu 0xfffd
	v_add_co_ci_u32_e64 v2, null, 0, v2, vcc_lo
	v_add_co_u32 v3, vcc_lo, v3, s23
	s_wait_alu 0xfffd
	v_add_co_ci_u32_e64 v4, null, 0, v4, vcc_lo
	s_and_b32 vcc_lo, exec_lo, s2
	s_wait_alu 0xfffe
	s_cbranch_vccz .LBB133_20
.LBB133_4:                              ; =>This Inner Loop Header: Depth=1
	s_wait_alu 0xfffe
	v_add_co_u32 v11, s2, v0, s20
	s_wait_alu 0xf1ff
	v_add_co_ci_u32_e64 v12, null, 0, s21, s2
	s_delay_alu instid0(VALU_DEP_1)
	v_cmp_gt_u64_e32 vcc_lo, s[14:15], v[11:12]
	v_mov_b32_e32 v12, 0
	s_and_saveexec_b32 s2, vcc_lo
	s_cbranch_execz .LBB133_6
; %bb.5:                                ;   in Loop: Header=BB133_4 Depth=1
	global_load_u16 v11, v[1:2], off
	s_wait_loadcnt 0x0
	v_lshlrev_b32_e32 v12, 16, v11
.LBB133_6:                              ;   in Loop: Header=BB133_4 Depth=1
	s_wait_alu 0xfffe
	s_or_b32 exec_lo, exec_lo, s2
	v_add_co_u32 v13, s2, v5, s20
	s_wait_alu 0xf1ff
	v_add_co_ci_u32_e64 v14, null, s21, v8, s2
	v_mov_b32_e32 v11, 0
	s_delay_alu instid0(VALU_DEP_2)
	v_cmp_gt_u64_e64 s2, s[14:15], v[13:14]
	v_mov_b32_e32 v13, 0
	s_and_saveexec_b32 s3, s2
	s_cbranch_execz .LBB133_8
; %bb.7:                                ;   in Loop: Header=BB133_4 Depth=1
	global_load_u16 v13, v[3:4], off
	s_wait_loadcnt 0x0
	v_lshlrev_b32_e32 v13, 16, v13
.LBB133_8:                              ;   in Loop: Header=BB133_4 Depth=1
	s_wait_alu 0xfffe
	s_or_b32 exec_lo, exec_lo, s3
	v_add_co_u32 v14, s3, v9, s20
	s_wait_alu 0xf1ff
	v_add_co_ci_u32_e64 v15, null, s21, v10, s3
	s_delay_alu instid0(VALU_DEP_1)
	v_cmp_gt_u64_e64 s3, s[14:15], v[14:15]
	s_and_saveexec_b32 s5, s3
	s_cbranch_execz .LBB133_10
; %bb.9:                                ;   in Loop: Header=BB133_4 Depth=1
	v_add_co_u32 v14, s4, v1, s16
	s_wait_alu 0xf1ff
	v_add_co_ci_u32_e64 v15, null, 0, v2, s4
	global_load_u16 v11, v[14:15], off
	s_wait_loadcnt 0x0
	v_lshlrev_b32_e32 v11, 16, v11
.LBB133_10:                             ;   in Loop: Header=BB133_4 Depth=1
	s_wait_alu 0xfffe
	s_or_b32 exec_lo, exec_lo, s5
	v_add_co_u32 v14, s4, v6, s20
	s_wait_alu 0xf1ff
	v_add_co_ci_u32_e64 v15, null, s21, v7, s4
	s_delay_alu instid0(VALU_DEP_1)
	v_cmp_gt_u64_e64 s4, s[14:15], v[14:15]
	v_mov_b32_e32 v14, 0
	s_and_saveexec_b32 s24, s4
	s_cbranch_execnz .LBB133_15
; %bb.11:                               ;   in Loop: Header=BB133_4 Depth=1
	s_or_b32 exec_lo, exec_lo, s24
	s_and_saveexec_b32 s24, vcc_lo
	s_cbranch_execnz .LBB133_16
.LBB133_12:                             ;   in Loop: Header=BB133_4 Depth=1
	s_or_b32 exec_lo, exec_lo, s24
	s_and_saveexec_b32 s5, s2
	s_cbranch_execnz .LBB133_17
.LBB133_13:                             ;   in Loop: Header=BB133_4 Depth=1
	s_wait_alu 0xfffe
	s_or_b32 exec_lo, exec_lo, s5
	s_and_saveexec_b32 s5, s3
	s_cbranch_execnz .LBB133_18
.LBB133_14:                             ;   in Loop: Header=BB133_4 Depth=1
	s_wait_alu 0xfffe
	s_or_b32 exec_lo, exec_lo, s5
	s_and_saveexec_b32 s3, s4
	s_cbranch_execz .LBB133_3
	s_branch .LBB133_19
.LBB133_15:                             ;   in Loop: Header=BB133_4 Depth=1
	v_add_co_u32 v14, s5, v1, s18
	s_wait_alu 0xf1ff
	v_add_co_ci_u32_e64 v15, null, s19, v2, s5
	global_load_u16 v14, v[14:15], off
	s_wait_loadcnt 0x0
	v_lshlrev_b32_e32 v14, 16, v14
	s_or_b32 exec_lo, exec_lo, s24
	s_and_saveexec_b32 s24, vcc_lo
	s_cbranch_execz .LBB133_12
.LBB133_16:                             ;   in Loop: Header=BB133_4 Depth=1
	v_cmp_u_f32_e32 vcc_lo, v12, v12
	v_cmp_lt_f32_e64 s5, s22, v12
	s_or_b32 vcc_lo, vcc_lo, s5
	s_wait_alu 0xfffe
	v_cndmask_b32_e32 v12, s22, v12, vcc_lo
	s_delay_alu instid0(VALU_DEP_1) | instskip(SKIP_1) | instid1(VALU_DEP_2)
	v_bfe_u32 v15, v12, 16, 1
	v_cmp_o_f32_e32 vcc_lo, v12, v12
	v_add3_u32 v15, v12, v15, 0x7fff
	s_delay_alu instid0(VALU_DEP_1) | instskip(SKIP_1) | instid1(VALU_DEP_1)
	v_lshrrev_b32_e32 v15, 16, v15
	s_wait_alu 0xfffd
	v_cndmask_b32_e32 v12, 0x7fc0, v15, vcc_lo
	global_store_b16 v[1:2], v12, off
	s_or_b32 exec_lo, exec_lo, s24
	s_and_saveexec_b32 s5, s2
	s_cbranch_execz .LBB133_13
.LBB133_17:                             ;   in Loop: Header=BB133_4 Depth=1
	v_cmp_u_f32_e32 vcc_lo, v13, v13
	v_cmp_lt_f32_e64 s2, s22, v13
	s_or_b32 vcc_lo, vcc_lo, s2
	s_wait_alu 0xfffe
	v_cndmask_b32_e32 v12, s22, v13, vcc_lo
	s_delay_alu instid0(VALU_DEP_1) | instskip(SKIP_1) | instid1(VALU_DEP_2)
	v_bfe_u32 v13, v12, 16, 1
	v_cmp_o_f32_e32 vcc_lo, v12, v12
	v_add3_u32 v13, v12, v13, 0x7fff
	s_delay_alu instid0(VALU_DEP_1) | instskip(SKIP_1) | instid1(VALU_DEP_1)
	v_lshrrev_b32_e32 v13, 16, v13
	s_wait_alu 0xfffd
	v_cndmask_b32_e32 v12, 0x7fc0, v13, vcc_lo
	global_store_b16 v[3:4], v12, off
	s_or_b32 exec_lo, exec_lo, s5
	s_and_saveexec_b32 s5, s3
	s_cbranch_execz .LBB133_14
.LBB133_18:                             ;   in Loop: Header=BB133_4 Depth=1
	v_cmp_u_f32_e32 vcc_lo, v11, v11
	v_cmp_lt_f32_e64 s2, s22, v11
	s_or_b32 vcc_lo, vcc_lo, s2
	s_wait_alu 0xfffe
	v_cndmask_b32_e32 v11, s22, v11, vcc_lo
	s_delay_alu instid0(VALU_DEP_1) | instskip(SKIP_1) | instid1(VALU_DEP_2)
	v_bfe_u32 v12, v11, 16, 1
	v_cmp_o_f32_e32 vcc_lo, v11, v11
	v_add3_u32 v12, v11, v12, 0x7fff
	s_delay_alu instid0(VALU_DEP_1) | instskip(SKIP_1) | instid1(VALU_DEP_1)
	v_lshrrev_b32_e32 v12, 16, v12
	s_wait_alu 0xfffd
	v_cndmask_b32_e32 v13, 0x7fc0, v12, vcc_lo
	v_add_co_u32 v11, vcc_lo, v1, s16
	s_wait_alu 0xfffd
	v_add_co_ci_u32_e64 v12, null, 0, v2, vcc_lo
	global_store_b16 v[11:12], v13, off
	s_or_b32 exec_lo, exec_lo, s5
	s_and_saveexec_b32 s3, s4
	s_cbranch_execz .LBB133_3
.LBB133_19:                             ;   in Loop: Header=BB133_4 Depth=1
	v_cmp_u_f32_e32 vcc_lo, v14, v14
	v_cmp_lt_f32_e64 s2, s22, v14
	s_or_b32 vcc_lo, vcc_lo, s2
	s_wait_alu 0xfffe
	v_cndmask_b32_e32 v11, s22, v14, vcc_lo
	s_delay_alu instid0(VALU_DEP_1) | instskip(SKIP_1) | instid1(VALU_DEP_2)
	v_bfe_u32 v12, v11, 16, 1
	v_cmp_o_f32_e32 vcc_lo, v11, v11
	v_add3_u32 v12, v11, v12, 0x7fff
	s_delay_alu instid0(VALU_DEP_1) | instskip(SKIP_1) | instid1(VALU_DEP_1)
	v_lshrrev_b32_e32 v12, 16, v12
	s_wait_alu 0xfffd
	v_cndmask_b32_e32 v13, 0x7fc0, v12, vcc_lo
	v_add_co_u32 v11, vcc_lo, v1, s18
	s_wait_alu 0xfffd
	v_add_co_ci_u32_e64 v12, null, s19, v2, vcc_lo
	global_store_b16 v[11:12], v13, off
	s_branch .LBB133_3
.LBB133_20:
	s_cbranch_execz .LBB133_22
	s_branch .LBB133_25
.LBB133_21:
.LBB133_22:
	v_cmp_gt_i64_e64 s2, 0x10000, s[10:11]
	v_dual_mov_b32 v2, 0 :: v_dual_lshlrev_b32 v1, 2, v0
	s_mov_b32 s5, 0
	s_and_b32 s2, s2, exec_lo
	s_cselect_b32 s11, s11, 0
	s_cselect_b32 s10, s10, 0x10000
	s_mov_b32 s2, exec_lo
	s_wait_alu 0xfffe
	v_cmpx_gt_i64_e64 s[10:11], v[1:2]
	s_cbranch_execz .LBB133_25
; %bb.23:
	s_load_b32 s2, s[0:1], 0xd3c
	v_lshlrev_b32_e32 v3, 3, v0
	s_add_nc_u64 s[0:1], s[6:7], s[8:9]
	v_mov_b32_e32 v1, v2
	s_delay_alu instid0(VALU_DEP_2) | instskip(SKIP_4) | instid1(SALU_CYCLE_1)
	v_add_co_u32 v2, s0, s0, v3
	s_wait_alu 0xf1ff
	v_add_co_ci_u32_e64 v3, null, s1, 0, s0
	s_wait_kmcnt 0x0
	s_and_b32 s6, s2, 0xffff
	s_lshl_b32 s7, s6, 3
.LBB133_24:                             ; =>This Inner Loop Header: Depth=1
	global_load_b64 v[4:5], v[2:3], off
	s_wait_loadcnt 0x0
	v_and_b32_e32 v7, 0xffff0000, v4
	s_delay_alu instid0(VALU_DEP_1) | instskip(SKIP_4) | instid1(VALU_DEP_1)
	v_cmp_u_f32_e64 s1, v7, v7
	v_cmp_lt_f32_e64 s2, s22, v7
	s_or_b32 s1, s1, s2
	s_wait_alu 0xfffe
	v_cndmask_b32_e64 v7, s22, v7, s1
	v_bfe_u32 v9, v7, 16, 1
	s_delay_alu instid0(VALU_DEP_1) | instskip(NEXT) | instid1(VALU_DEP_1)
	v_add3_u32 v9, v7, v9, 0x7fff
	v_and_b32_e32 v9, 0xffff0000, v9
	v_lshlrev_b32_e32 v6, 16, v4
	v_alignbit_b32 v4, v5, v4, 16
	v_and_b32_e32 v5, 0xffff0000, v5
	s_delay_alu instid0(VALU_DEP_3) | instskip(SKIP_1) | instid1(VALU_DEP_4)
	v_cmp_u_f32_e32 vcc_lo, v6, v6
	v_cmp_lt_f32_e64 s0, s22, v6
	v_and_b32_e32 v4, 0xffff0000, v4
	s_delay_alu instid0(VALU_DEP_4)
	v_cmp_u_f32_e64 s3, v5, v5
	v_cmp_lt_f32_e64 s4, s22, v5
	s_or_b32 vcc_lo, vcc_lo, s0
	v_cmp_lt_f32_e64 s0, s22, v4
	s_wait_alu 0xfffe
	v_cndmask_b32_e32 v6, s22, v6, vcc_lo
	v_cmp_u_f32_e32 vcc_lo, v4, v4
	s_or_b32 s1, s3, s4
	s_wait_alu 0xfffe
	v_cndmask_b32_e64 v5, s22, v5, s1
	v_bfe_u32 v8, v6, 16, 1
	s_or_b32 vcc_lo, vcc_lo, s0
	s_wait_alu 0xfffe
	v_cndmask_b32_e32 v4, s22, v4, vcc_lo
	v_add_co_u32 v0, vcc_lo, v0, s6
	v_bfe_u32 v10, v5, 16, 1
	v_add3_u32 v8, v6, v8, 0x7fff
	s_wait_alu 0xfffd
	v_add_co_ci_u32_e64 v1, null, 0, v1, vcc_lo
	v_cmp_o_f32_e32 vcc_lo, v7, v7
	v_bfe_u32 v11, v4, 16, 1
	v_add3_u32 v10, v5, v10, 0x7fff
	v_lshrrev_b32_e32 v8, 16, v8
	s_wait_alu 0xfffd
	v_cndmask_b32_e32 v7, 0x7fc00000, v9, vcc_lo
	v_cmp_o_f32_e32 vcc_lo, v6, v6
	v_add3_u32 v11, v4, v11, 0x7fff
	v_and_b32_e32 v10, 0xffff0000, v10
	s_wait_alu 0xfffd
	v_cndmask_b32_e32 v6, 0x7fc0, v8, vcc_lo
	v_cmp_o_f32_e32 vcc_lo, v5, v5
	v_lshrrev_b32_e32 v11, 16, v11
	s_delay_alu instid0(VALU_DEP_3)
	v_or_b32_e32 v6, v6, v7
	s_wait_alu 0xfffd
	v_cndmask_b32_e32 v8, 0x7fc00000, v10, vcc_lo
	v_cmp_o_f32_e32 vcc_lo, v4, v4
	v_lshlrev_b64_e32 v[4:5], 2, v[0:1]
	v_or3_b32 v6, v6, 0, 0
	s_wait_alu 0xfffd
	v_cndmask_b32_e32 v9, 0x7fc0, v11, vcc_lo
	s_delay_alu instid0(VALU_DEP_3) | instskip(NEXT) | instid1(VALU_DEP_2)
	v_cmp_le_i64_e32 vcc_lo, s[10:11], v[4:5]
	v_or3_b32 v7, 0, v9, v8
	s_or_b32 s5, vcc_lo, s5
	global_store_b64 v[2:3], v[6:7], off
	v_add_co_u32 v2, s0, v2, s7
	s_wait_alu 0xf1ff
	v_add_co_ci_u32_e64 v3, null, 0, v3, s0
	s_wait_alu 0xfffe
	s_and_not1_b32 exec_lo, exec_lo, s5
	s_cbranch_execnz .LBB133_24
.LBB133_25:
	s_endpgm
	.section	.rodata,"a",@progbits
	.p2align	6, 0x0
	.amdhsa_kernel _ZN2at6native12_GLOBAL__N_125multi_tensor_apply_kernelINS1_18TensorListMetadataILi1EEENS1_21BinaryOpScalarFunctorIN3c108BFloat16ELi1ELi1ELi0EEEJNS0_7maximumIfEEfEEEvT_T0_DpT1_
		.amdhsa_group_segment_fixed_size 0
		.amdhsa_private_segment_fixed_size 0
		.amdhsa_kernarg_size 3632
		.amdhsa_user_sgpr_count 2
		.amdhsa_user_sgpr_dispatch_ptr 0
		.amdhsa_user_sgpr_queue_ptr 0
		.amdhsa_user_sgpr_kernarg_segment_ptr 1
		.amdhsa_user_sgpr_dispatch_id 0
		.amdhsa_user_sgpr_private_segment_size 0
		.amdhsa_wavefront_size32 1
		.amdhsa_uses_dynamic_stack 0
		.amdhsa_enable_private_segment 0
		.amdhsa_system_sgpr_workgroup_id_x 1
		.amdhsa_system_sgpr_workgroup_id_y 0
		.amdhsa_system_sgpr_workgroup_id_z 0
		.amdhsa_system_sgpr_workgroup_info 0
		.amdhsa_system_vgpr_workitem_id 0
		.amdhsa_next_free_vgpr 16
		.amdhsa_next_free_sgpr 25
		.amdhsa_reserve_vcc 1
		.amdhsa_float_round_mode_32 0
		.amdhsa_float_round_mode_16_64 0
		.amdhsa_float_denorm_mode_32 3
		.amdhsa_float_denorm_mode_16_64 3
		.amdhsa_fp16_overflow 0
		.amdhsa_workgroup_processor_mode 1
		.amdhsa_memory_ordered 1
		.amdhsa_forward_progress 1
		.amdhsa_inst_pref_size 15
		.amdhsa_round_robin_scheduling 0
		.amdhsa_exception_fp_ieee_invalid_op 0
		.amdhsa_exception_fp_denorm_src 0
		.amdhsa_exception_fp_ieee_div_zero 0
		.amdhsa_exception_fp_ieee_overflow 0
		.amdhsa_exception_fp_ieee_underflow 0
		.amdhsa_exception_fp_ieee_inexact 0
		.amdhsa_exception_int_div_zero 0
	.end_amdhsa_kernel
	.section	.text._ZN2at6native12_GLOBAL__N_125multi_tensor_apply_kernelINS1_18TensorListMetadataILi1EEENS1_21BinaryOpScalarFunctorIN3c108BFloat16ELi1ELi1ELi0EEEJNS0_7maximumIfEEfEEEvT_T0_DpT1_,"axG",@progbits,_ZN2at6native12_GLOBAL__N_125multi_tensor_apply_kernelINS1_18TensorListMetadataILi1EEENS1_21BinaryOpScalarFunctorIN3c108BFloat16ELi1ELi1ELi0EEEJNS0_7maximumIfEEfEEEvT_T0_DpT1_,comdat
.Lfunc_end133:
	.size	_ZN2at6native12_GLOBAL__N_125multi_tensor_apply_kernelINS1_18TensorListMetadataILi1EEENS1_21BinaryOpScalarFunctorIN3c108BFloat16ELi1ELi1ELi0EEEJNS0_7maximumIfEEfEEEvT_T0_DpT1_, .Lfunc_end133-_ZN2at6native12_GLOBAL__N_125multi_tensor_apply_kernelINS1_18TensorListMetadataILi1EEENS1_21BinaryOpScalarFunctorIN3c108BFloat16ELi1ELi1ELi0EEEJNS0_7maximumIfEEfEEEvT_T0_DpT1_
                                        ; -- End function
	.set _ZN2at6native12_GLOBAL__N_125multi_tensor_apply_kernelINS1_18TensorListMetadataILi1EEENS1_21BinaryOpScalarFunctorIN3c108BFloat16ELi1ELi1ELi0EEEJNS0_7maximumIfEEfEEEvT_T0_DpT1_.num_vgpr, 16
	.set _ZN2at6native12_GLOBAL__N_125multi_tensor_apply_kernelINS1_18TensorListMetadataILi1EEENS1_21BinaryOpScalarFunctorIN3c108BFloat16ELi1ELi1ELi0EEEJNS0_7maximumIfEEfEEEvT_T0_DpT1_.num_agpr, 0
	.set _ZN2at6native12_GLOBAL__N_125multi_tensor_apply_kernelINS1_18TensorListMetadataILi1EEENS1_21BinaryOpScalarFunctorIN3c108BFloat16ELi1ELi1ELi0EEEJNS0_7maximumIfEEfEEEvT_T0_DpT1_.numbered_sgpr, 25
	.set _ZN2at6native12_GLOBAL__N_125multi_tensor_apply_kernelINS1_18TensorListMetadataILi1EEENS1_21BinaryOpScalarFunctorIN3c108BFloat16ELi1ELi1ELi0EEEJNS0_7maximumIfEEfEEEvT_T0_DpT1_.num_named_barrier, 0
	.set _ZN2at6native12_GLOBAL__N_125multi_tensor_apply_kernelINS1_18TensorListMetadataILi1EEENS1_21BinaryOpScalarFunctorIN3c108BFloat16ELi1ELi1ELi0EEEJNS0_7maximumIfEEfEEEvT_T0_DpT1_.private_seg_size, 0
	.set _ZN2at6native12_GLOBAL__N_125multi_tensor_apply_kernelINS1_18TensorListMetadataILi1EEENS1_21BinaryOpScalarFunctorIN3c108BFloat16ELi1ELi1ELi0EEEJNS0_7maximumIfEEfEEEvT_T0_DpT1_.uses_vcc, 1
	.set _ZN2at6native12_GLOBAL__N_125multi_tensor_apply_kernelINS1_18TensorListMetadataILi1EEENS1_21BinaryOpScalarFunctorIN3c108BFloat16ELi1ELi1ELi0EEEJNS0_7maximumIfEEfEEEvT_T0_DpT1_.uses_flat_scratch, 0
	.set _ZN2at6native12_GLOBAL__N_125multi_tensor_apply_kernelINS1_18TensorListMetadataILi1EEENS1_21BinaryOpScalarFunctorIN3c108BFloat16ELi1ELi1ELi0EEEJNS0_7maximumIfEEfEEEvT_T0_DpT1_.has_dyn_sized_stack, 0
	.set _ZN2at6native12_GLOBAL__N_125multi_tensor_apply_kernelINS1_18TensorListMetadataILi1EEENS1_21BinaryOpScalarFunctorIN3c108BFloat16ELi1ELi1ELi0EEEJNS0_7maximumIfEEfEEEvT_T0_DpT1_.has_recursion, 0
	.set _ZN2at6native12_GLOBAL__N_125multi_tensor_apply_kernelINS1_18TensorListMetadataILi1EEENS1_21BinaryOpScalarFunctorIN3c108BFloat16ELi1ELi1ELi0EEEJNS0_7maximumIfEEfEEEvT_T0_DpT1_.has_indirect_call, 0
	.section	.AMDGPU.csdata,"",@progbits
; Kernel info:
; codeLenInByte = 1824
; TotalNumSgprs: 27
; NumVgprs: 16
; ScratchSize: 0
; MemoryBound: 0
; FloatMode: 240
; IeeeMode: 1
; LDSByteSize: 0 bytes/workgroup (compile time only)
; SGPRBlocks: 0
; VGPRBlocks: 1
; NumSGPRsForWavesPerEU: 27
; NumVGPRsForWavesPerEU: 16
; Occupancy: 16
; WaveLimiterHint : 0
; COMPUTE_PGM_RSRC2:SCRATCH_EN: 0
; COMPUTE_PGM_RSRC2:USER_SGPR: 2
; COMPUTE_PGM_RSRC2:TRAP_HANDLER: 0
; COMPUTE_PGM_RSRC2:TGID_X_EN: 1
; COMPUTE_PGM_RSRC2:TGID_Y_EN: 0
; COMPUTE_PGM_RSRC2:TGID_Z_EN: 0
; COMPUTE_PGM_RSRC2:TIDIG_COMP_CNT: 0
	.section	.text._ZN2at6native12_GLOBAL__N_125multi_tensor_apply_kernelINS1_18TensorListMetadataILi2EEENS1_21BinaryOpScalarFunctorIhLi2ELi1ELi1EEEJNS0_7maximumIhEEhEEEvT_T0_DpT1_,"axG",@progbits,_ZN2at6native12_GLOBAL__N_125multi_tensor_apply_kernelINS1_18TensorListMetadataILi2EEENS1_21BinaryOpScalarFunctorIhLi2ELi1ELi1EEEJNS0_7maximumIhEEhEEEvT_T0_DpT1_,comdat
	.globl	_ZN2at6native12_GLOBAL__N_125multi_tensor_apply_kernelINS1_18TensorListMetadataILi2EEENS1_21BinaryOpScalarFunctorIhLi2ELi1ELi1EEEJNS0_7maximumIhEEhEEEvT_T0_DpT1_ ; -- Begin function _ZN2at6native12_GLOBAL__N_125multi_tensor_apply_kernelINS1_18TensorListMetadataILi2EEENS1_21BinaryOpScalarFunctorIhLi2ELi1ELi1EEEJNS0_7maximumIhEEhEEEvT_T0_DpT1_
	.p2align	8
	.type	_ZN2at6native12_GLOBAL__N_125multi_tensor_apply_kernelINS1_18TensorListMetadataILi2EEENS1_21BinaryOpScalarFunctorIhLi2ELi1ELi1EEEJNS0_7maximumIhEEhEEEvT_T0_DpT1_,@function
_ZN2at6native12_GLOBAL__N_125multi_tensor_apply_kernelINS1_18TensorListMetadataILi2EEENS1_21BinaryOpScalarFunctorIhLi2ELi1ELi1EEEJNS0_7maximumIhEEhEEEvT_T0_DpT1_: ; @_ZN2at6native12_GLOBAL__N_125multi_tensor_apply_kernelINS1_18TensorListMetadataILi2EEENS1_21BinaryOpScalarFunctorIhLi2ELi1ELi1EEEJNS0_7maximumIhEEhEEEvT_T0_DpT1_
; %bb.0:
	s_load_u8 s6, s[0:1], ttmp9 offset:0x600
	s_mov_b32 s2, ttmp9
	s_mov_b32 s3, 0
	s_delay_alu instid0(SALU_CYCLE_1) | instskip(SKIP_1) | instid1(SALU_CYCLE_1)
	s_mul_u64 s[4:5], s[2:3], 3
	s_add_nc_u64 s[2:3], s[0:1], s[2:3]
	s_add_nc_u64 s[2:3], s[2:3], s[4:5]
	s_load_b32 s2, s[2:3], 0x740
	s_wait_kmcnt 0x0
	s_lshl_b32 s3, s6, 3
	s_clause 0x3
	s_load_b64 s[4:5], s[0:1], s3 offset:0x400
	s_load_b64 s[6:7], s[0:1], s3 offset:0x0
	;; [unrolled: 1-line block ×3, first 2 shown]
	s_load_b32 s12, s[0:1], 0xc48
	s_ashr_i32 s3, s2, 31
	s_delay_alu instid0(SALU_CYCLE_1)
	s_lshl_b64 s[10:11], s[2:3], 16
	s_wait_kmcnt 0x0
	s_add_nc_u64 s[2:3], s[6:7], s[10:11]
	s_or_b32 s3, s4, s8
	s_lshr_b32 s22, s12, 16
	s_or_b32 s2, s3, s2
	s_sub_nc_u64 s[12:13], s[4:5], s[10:11]
	s_and_b32 s2, s2, 3
	s_delay_alu instid0(SALU_CYCLE_1)
	s_cmp_eq_u32 s2, 0
	s_mov_b32 s2, -1
	s_cbranch_scc1 .LBB134_21
; %bb.1:
	v_cmp_lt_i64_e64 s2, s[12:13], 1
	s_and_b32 vcc_lo, exec_lo, s2
	s_cbranch_vccnz .LBB134_20
; %bb.2:
	s_load_b32 s2, s[0:1], 0xc5c
	v_cmp_gt_i64_e64 s4, 0x10000, s[12:13]
	v_cmp_gt_u64_e64 s16, 0x10000, s[12:13]
	s_mov_b32 s3, 0
	v_add_co_u32 v15, s5, s10, v0
	s_delay_alu instid0(VALU_DEP_1)
	v_add_co_ci_u32_e64 v16, null, s11, 0, s5
	s_and_b32 s4, s4, exec_lo
	s_cselect_b32 s15, s13, 0
	s_cselect_b32 s14, s12, 0x10000
	s_mov_b32 s5, s3
	v_add_co_u32 v1, vcc_lo, s6, v15
	s_delay_alu instid0(VALU_DEP_1)
	v_add_co_ci_u32_e64 v2, null, s7, v16, vcc_lo
	v_add_co_u32 v3, vcc_lo, s8, v15
	s_wait_alu 0xfffd
	v_add_co_ci_u32_e64 v4, null, s9, v16, vcc_lo
	s_wait_kmcnt 0x0
	s_and_b32 s19, s2, 0xffff
	s_and_b32 s2, s16, exec_lo
	s_mul_i32 s4, s19, 3
	s_cselect_b32 s17, s13, 0
	s_wait_alu 0xfffe
	s_add_nc_u64 s[20:21], s[10:11], s[4:5]
	s_cselect_b32 s16, s12, 0x10000
	s_lshl_b32 s2, s19, 1
	v_add_co_u32 v7, s5, s20, v0
	s_wait_alu 0xf1ff
	v_add_co_ci_u32_e64 v8, null, s21, 0, s5
	s_add_nc_u64 s[20:21], s[10:11], s[2:3]
	v_add_co_u32 v5, vcc_lo, s6, v7
	s_wait_alu 0xfffe
	v_add_co_u32 v13, s5, s20, v0
	s_wait_alu 0xf1ff
	v_add_co_ci_u32_e64 v14, null, s21, 0, s5
	s_wait_alu 0xfffd
	v_add_co_ci_u32_e64 v6, null, s7, v8, vcc_lo
	v_add_co_u32 v7, vcc_lo, s8, v7
	s_wait_alu 0xfffd
	v_add_co_ci_u32_e64 v8, null, s9, v8, vcc_lo
	v_add_co_u32 v11, vcc_lo, s6, v13
	;; [unrolled: 3-line block ×4, first 2 shown]
	s_wait_alu 0xfffd
	v_add_co_ci_u32_e64 v20, null, 0, v16, vcc_lo
	v_add_co_u32 v15, s2, s2, v0
	s_delay_alu instid0(VALU_DEP_3)
	v_add_co_u32 v17, vcc_lo, s6, v19
	v_add_co_u32 v9, s4, s4, v0
	s_wait_alu 0xf1ff
	v_add_co_ci_u32_e64 v16, null, 0, 0, s2
	s_wait_alu 0xfffd
	v_add_co_ci_u32_e64 v18, null, s7, v20, vcc_lo
	v_add_co_u32 v19, vcc_lo, s8, v19
	v_add_co_u32 v21, s2, v0, s19
	v_add_co_ci_u32_e64 v10, null, 0, 0, s4
	s_wait_alu 0xfffd
	v_add_co_ci_u32_e64 v20, null, s9, v20, vcc_lo
	s_wait_alu 0xf1ff
	v_add_co_ci_u32_e64 v22, null, 0, 0, s2
	s_lshl_b32 s18, s19, 2
	s_mov_b32 s19, s3
	s_mov_b64 s[20:21], 0
	s_and_b32 s23, s22, 0xff
	s_branch .LBB134_4
.LBB134_3:                              ;   in Loop: Header=BB134_4 Depth=1
	s_wait_alu 0xfffe
	s_or_b32 exec_lo, exec_lo, s2
	s_add_nc_u64 s[20:21], s[20:21], s[18:19]
	s_wait_alu 0xfffe
	v_cmp_lt_i64_e64 s2, s[20:21], s[14:15]
	s_and_b32 vcc_lo, exec_lo, s2
	s_wait_alu 0xfffe
	s_cbranch_vccz .LBB134_20
.LBB134_4:                              ; =>This Inner Loop Header: Depth=1
	s_wait_alu 0xfffe
	v_add_co_u32 v23, s2, v0, s20
	s_wait_alu 0xf1ff
	v_add_co_ci_u32_e64 v24, null, 0, s21, s2
	s_delay_alu instid0(VALU_DEP_1)
	v_cmp_gt_u64_e32 vcc_lo, s[16:17], v[23:24]
	v_mov_b32_e32 v23, s22
	s_and_saveexec_b32 s3, vcc_lo
	s_cbranch_execz .LBB134_6
; %bb.5:                                ;   in Loop: Header=BB134_4 Depth=1
	v_add_co_u32 v23, s2, v1, s20
	s_wait_alu 0xf1ff
	v_add_co_ci_u32_e64 v24, null, s21, v2, s2
	global_load_u8 v23, v[23:24], off
	s_wait_loadcnt 0x0
	v_max_u16 v23, v23, s23
.LBB134_6:                              ;   in Loop: Header=BB134_4 Depth=1
	s_wait_alu 0xfffe
	s_or_b32 exec_lo, exec_lo, s3
	v_add_co_u32 v24, s2, v21, s20
	s_wait_alu 0xf1ff
	v_add_co_ci_u32_e64 v25, null, s21, v22, s2
	s_delay_alu instid0(VALU_DEP_1)
	v_cmp_gt_u64_e64 s2, s[16:17], v[24:25]
	v_mov_b32_e32 v24, s22
	s_and_saveexec_b32 s4, s2
	s_cbranch_execz .LBB134_8
; %bb.7:                                ;   in Loop: Header=BB134_4 Depth=1
	v_add_co_u32 v24, s3, v17, s20
	s_wait_alu 0xf1ff
	v_add_co_ci_u32_e64 v25, null, s21, v18, s3
	global_load_u8 v24, v[24:25], off
	s_wait_loadcnt 0x0
	v_max_u16 v24, v24, s23
.LBB134_8:                              ;   in Loop: Header=BB134_4 Depth=1
	s_wait_alu 0xfffe
	s_or_b32 exec_lo, exec_lo, s4
	v_add_co_u32 v25, s3, v15, s20
	s_wait_alu 0xf1ff
	v_add_co_ci_u32_e64 v26, null, s21, v16, s3
	s_delay_alu instid0(VALU_DEP_1)
	v_cmp_gt_u64_e64 s3, s[16:17], v[25:26]
	v_mov_b32_e32 v25, s22
	s_and_saveexec_b32 s5, s3
	s_cbranch_execz .LBB134_10
; %bb.9:                                ;   in Loop: Header=BB134_4 Depth=1
	v_add_co_u32 v25, s4, v11, s20
	s_wait_alu 0xf1ff
	v_add_co_ci_u32_e64 v26, null, s21, v12, s4
	global_load_u8 v25, v[25:26], off
	s_wait_loadcnt 0x0
	v_max_u16 v25, v25, s23
.LBB134_10:                             ;   in Loop: Header=BB134_4 Depth=1
	s_wait_alu 0xfffe
	s_or_b32 exec_lo, exec_lo, s5
	v_add_co_u32 v26, s4, v9, s20
	s_wait_alu 0xf1ff
	v_add_co_ci_u32_e64 v27, null, s21, v10, s4
	s_delay_alu instid0(VALU_DEP_1)
	v_cmp_gt_u64_e64 s4, s[16:17], v[26:27]
	v_mov_b32_e32 v26, s22
	s_and_saveexec_b32 s24, s4
	s_cbranch_execnz .LBB134_15
; %bb.11:                               ;   in Loop: Header=BB134_4 Depth=1
	s_or_b32 exec_lo, exec_lo, s24
	s_and_saveexec_b32 s5, vcc_lo
	s_cbranch_execnz .LBB134_16
.LBB134_12:                             ;   in Loop: Header=BB134_4 Depth=1
	s_wait_alu 0xfffe
	s_or_b32 exec_lo, exec_lo, s5
	s_and_saveexec_b32 s5, s2
	s_cbranch_execnz .LBB134_17
.LBB134_13:                             ;   in Loop: Header=BB134_4 Depth=1
	s_wait_alu 0xfffe
	s_or_b32 exec_lo, exec_lo, s5
	s_and_saveexec_b32 s2, s3
	s_cbranch_execnz .LBB134_18
.LBB134_14:                             ;   in Loop: Header=BB134_4 Depth=1
	s_wait_alu 0xfffe
	s_or_b32 exec_lo, exec_lo, s2
	s_and_saveexec_b32 s2, s4
	s_cbranch_execz .LBB134_3
	s_branch .LBB134_19
.LBB134_15:                             ;   in Loop: Header=BB134_4 Depth=1
	v_add_co_u32 v26, s5, v5, s20
	s_wait_alu 0xf1ff
	v_add_co_ci_u32_e64 v27, null, s21, v6, s5
	global_load_u8 v26, v[26:27], off
	s_wait_loadcnt 0x0
	v_max_u16 v26, v26, s23
	s_or_b32 exec_lo, exec_lo, s24
	s_and_saveexec_b32 s5, vcc_lo
	s_cbranch_execz .LBB134_12
.LBB134_16:                             ;   in Loop: Header=BB134_4 Depth=1
	v_add_co_u32 v27, vcc_lo, v3, s20
	s_wait_alu 0xfffd
	v_add_co_ci_u32_e64 v28, null, s21, v4, vcc_lo
	global_store_b8 v[27:28], v23, off
	s_wait_alu 0xfffe
	s_or_b32 exec_lo, exec_lo, s5
	s_and_saveexec_b32 s5, s2
	s_cbranch_execz .LBB134_13
.LBB134_17:                             ;   in Loop: Header=BB134_4 Depth=1
	v_add_co_u32 v27, vcc_lo, v19, s20
	s_wait_alu 0xfffd
	v_add_co_ci_u32_e64 v28, null, s21, v20, vcc_lo
	global_store_b8 v[27:28], v24, off
	s_wait_alu 0xfffe
	s_or_b32 exec_lo, exec_lo, s5
	s_and_saveexec_b32 s2, s3
	s_cbranch_execz .LBB134_14
.LBB134_18:                             ;   in Loop: Header=BB134_4 Depth=1
	v_add_co_u32 v23, vcc_lo, v13, s20
	s_wait_alu 0xfffd
	v_add_co_ci_u32_e64 v24, null, s21, v14, vcc_lo
	global_store_b8 v[23:24], v25, off
	s_wait_alu 0xfffe
	s_or_b32 exec_lo, exec_lo, s2
	s_and_saveexec_b32 s2, s4
	s_cbranch_execz .LBB134_3
.LBB134_19:                             ;   in Loop: Header=BB134_4 Depth=1
	v_add_co_u32 v23, vcc_lo, v7, s20
	s_wait_alu 0xfffd
	v_add_co_ci_u32_e64 v24, null, s21, v8, vcc_lo
	global_store_b8 v[23:24], v26, off
	s_branch .LBB134_3
.LBB134_20:
	s_mov_b32 s2, 0
.LBB134_21:
	s_wait_alu 0xfffe
	s_and_not1_b32 vcc_lo, exec_lo, s2
	s_wait_alu 0xfffe
	s_cbranch_vccnz .LBB134_25
; %bb.22:
	v_cmp_gt_i64_e64 s2, 0x10000, s[12:13]
	v_dual_mov_b32 v3, 0 :: v_dual_lshlrev_b32 v2, 2, v0
	s_mov_b32 s4, 0
	s_mov_b32 s5, exec_lo
	s_and_b32 s2, s2, exec_lo
	s_cselect_b32 s3, s13, 0
	s_cselect_b32 s2, s12, 0x10000
	s_wait_alu 0xfffe
	v_cmpx_gt_i64_e64 s[2:3], v[2:3]
	s_cbranch_execz .LBB134_25
; %bb.23:
	s_load_b32 s0, s[0:1], 0xc5c
	v_add_co_u32 v2, s1, s10, v2
	v_mov_b32_e32 v1, v3
	v_add_co_ci_u32_e64 v3, null, s11, 0, s1
	s_and_b32 s10, s22, 0xff
	s_wait_kmcnt 0x0
	s_and_b32 s1, s0, 0xffff
	s_wait_alu 0xfffe
	s_lshl_b32 s5, s1, 2
.LBB134_24:                             ; =>This Inner Loop Header: Depth=1
	v_add_co_u32 v4, vcc_lo, s6, v2
	s_wait_alu 0xfffd
	v_add_co_ci_u32_e64 v5, null, s7, v3, vcc_lo
	v_add_co_u32 v0, vcc_lo, v0, s1
	s_wait_alu 0xfffd
	v_add_co_ci_u32_e64 v1, null, 0, v1, vcc_lo
	global_load_b32 v4, v[4:5], off
	s_wait_loadcnt 0x0
	v_lshrrev_b32_e32 v5, 8, v4
	v_lshrrev_b32_e32 v6, 16, v4
	;; [unrolled: 1-line block ×3, first 2 shown]
	v_and_b32_e32 v4, 0xff, v4
	s_delay_alu instid0(VALU_DEP_4) | instskip(NEXT) | instid1(VALU_DEP_4)
	v_and_b32_e32 v5, 0xff, v5
	v_and_b32_e32 v6, 0xff, v6
	s_delay_alu instid0(VALU_DEP_4) | instskip(NEXT) | instid1(VALU_DEP_4)
	v_max_u16 v7, v7, s10
	v_max_u16 v8, v4, s10
	v_add_co_u32 v4, vcc_lo, s8, v2
	v_max_u16 v5, v5, s10
	v_max_u16 v9, v6, s10
	v_lshlrev_b16 v10, 8, v7
	v_lshlrev_b64_e32 v[6:7], 2, v[0:1]
	s_wait_alu 0xfffe
	v_add_co_u32 v2, s0, v2, s5
	v_lshlrev_b16 v5, 8, v5
	v_or_b32_e32 v9, v9, v10
	s_delay_alu instid0(VALU_DEP_2) | instskip(NEXT) | instid1(VALU_DEP_2)
	v_or_b32_e32 v8, v8, v5
	v_lshlrev_b32_e32 v9, 16, v9
	s_wait_alu 0xfffd
	v_add_co_ci_u32_e64 v5, null, s9, v3, vcc_lo
	v_cmp_le_i64_e32 vcc_lo, s[2:3], v[6:7]
	v_and_b32_e32 v8, 0xffff, v8
	s_wait_alu 0xf1ff
	v_add_co_ci_u32_e64 v3, null, 0, v3, s0
	s_delay_alu instid0(VALU_DEP_2)
	v_or_b32_e32 v6, v8, v9
	s_or_b32 s4, vcc_lo, s4
	global_store_b32 v[4:5], v6, off
	s_wait_alu 0xfffe
	s_and_not1_b32 exec_lo, exec_lo, s4
	s_cbranch_execnz .LBB134_24
.LBB134_25:
	s_endpgm
	.section	.rodata,"a",@progbits
	.p2align	6, 0x0
	.amdhsa_kernel _ZN2at6native12_GLOBAL__N_125multi_tensor_apply_kernelINS1_18TensorListMetadataILi2EEENS1_21BinaryOpScalarFunctorIhLi2ELi1ELi1EEEJNS0_7maximumIhEEhEEEvT_T0_DpT1_
		.amdhsa_group_segment_fixed_size 0
		.amdhsa_private_segment_fixed_size 0
		.amdhsa_kernarg_size 3408
		.amdhsa_user_sgpr_count 2
		.amdhsa_user_sgpr_dispatch_ptr 0
		.amdhsa_user_sgpr_queue_ptr 0
		.amdhsa_user_sgpr_kernarg_segment_ptr 1
		.amdhsa_user_sgpr_dispatch_id 0
		.amdhsa_user_sgpr_private_segment_size 0
		.amdhsa_wavefront_size32 1
		.amdhsa_uses_dynamic_stack 0
		.amdhsa_enable_private_segment 0
		.amdhsa_system_sgpr_workgroup_id_x 1
		.amdhsa_system_sgpr_workgroup_id_y 0
		.amdhsa_system_sgpr_workgroup_id_z 0
		.amdhsa_system_sgpr_workgroup_info 0
		.amdhsa_system_vgpr_workitem_id 0
		.amdhsa_next_free_vgpr 29
		.amdhsa_next_free_sgpr 25
		.amdhsa_reserve_vcc 1
		.amdhsa_float_round_mode_32 0
		.amdhsa_float_round_mode_16_64 0
		.amdhsa_float_denorm_mode_32 3
		.amdhsa_float_denorm_mode_16_64 3
		.amdhsa_fp16_overflow 0
		.amdhsa_workgroup_processor_mode 1
		.amdhsa_memory_ordered 1
		.amdhsa_forward_progress 1
		.amdhsa_inst_pref_size 13
		.amdhsa_round_robin_scheduling 0
		.amdhsa_exception_fp_ieee_invalid_op 0
		.amdhsa_exception_fp_denorm_src 0
		.amdhsa_exception_fp_ieee_div_zero 0
		.amdhsa_exception_fp_ieee_overflow 0
		.amdhsa_exception_fp_ieee_underflow 0
		.amdhsa_exception_fp_ieee_inexact 0
		.amdhsa_exception_int_div_zero 0
	.end_amdhsa_kernel
	.section	.text._ZN2at6native12_GLOBAL__N_125multi_tensor_apply_kernelINS1_18TensorListMetadataILi2EEENS1_21BinaryOpScalarFunctorIhLi2ELi1ELi1EEEJNS0_7maximumIhEEhEEEvT_T0_DpT1_,"axG",@progbits,_ZN2at6native12_GLOBAL__N_125multi_tensor_apply_kernelINS1_18TensorListMetadataILi2EEENS1_21BinaryOpScalarFunctorIhLi2ELi1ELi1EEEJNS0_7maximumIhEEhEEEvT_T0_DpT1_,comdat
.Lfunc_end134:
	.size	_ZN2at6native12_GLOBAL__N_125multi_tensor_apply_kernelINS1_18TensorListMetadataILi2EEENS1_21BinaryOpScalarFunctorIhLi2ELi1ELi1EEEJNS0_7maximumIhEEhEEEvT_T0_DpT1_, .Lfunc_end134-_ZN2at6native12_GLOBAL__N_125multi_tensor_apply_kernelINS1_18TensorListMetadataILi2EEENS1_21BinaryOpScalarFunctorIhLi2ELi1ELi1EEEJNS0_7maximumIhEEhEEEvT_T0_DpT1_
                                        ; -- End function
	.set _ZN2at6native12_GLOBAL__N_125multi_tensor_apply_kernelINS1_18TensorListMetadataILi2EEENS1_21BinaryOpScalarFunctorIhLi2ELi1ELi1EEEJNS0_7maximumIhEEhEEEvT_T0_DpT1_.num_vgpr, 29
	.set _ZN2at6native12_GLOBAL__N_125multi_tensor_apply_kernelINS1_18TensorListMetadataILi2EEENS1_21BinaryOpScalarFunctorIhLi2ELi1ELi1EEEJNS0_7maximumIhEEhEEEvT_T0_DpT1_.num_agpr, 0
	.set _ZN2at6native12_GLOBAL__N_125multi_tensor_apply_kernelINS1_18TensorListMetadataILi2EEENS1_21BinaryOpScalarFunctorIhLi2ELi1ELi1EEEJNS0_7maximumIhEEhEEEvT_T0_DpT1_.numbered_sgpr, 25
	.set _ZN2at6native12_GLOBAL__N_125multi_tensor_apply_kernelINS1_18TensorListMetadataILi2EEENS1_21BinaryOpScalarFunctorIhLi2ELi1ELi1EEEJNS0_7maximumIhEEhEEEvT_T0_DpT1_.num_named_barrier, 0
	.set _ZN2at6native12_GLOBAL__N_125multi_tensor_apply_kernelINS1_18TensorListMetadataILi2EEENS1_21BinaryOpScalarFunctorIhLi2ELi1ELi1EEEJNS0_7maximumIhEEhEEEvT_T0_DpT1_.private_seg_size, 0
	.set _ZN2at6native12_GLOBAL__N_125multi_tensor_apply_kernelINS1_18TensorListMetadataILi2EEENS1_21BinaryOpScalarFunctorIhLi2ELi1ELi1EEEJNS0_7maximumIhEEhEEEvT_T0_DpT1_.uses_vcc, 1
	.set _ZN2at6native12_GLOBAL__N_125multi_tensor_apply_kernelINS1_18TensorListMetadataILi2EEENS1_21BinaryOpScalarFunctorIhLi2ELi1ELi1EEEJNS0_7maximumIhEEhEEEvT_T0_DpT1_.uses_flat_scratch, 0
	.set _ZN2at6native12_GLOBAL__N_125multi_tensor_apply_kernelINS1_18TensorListMetadataILi2EEENS1_21BinaryOpScalarFunctorIhLi2ELi1ELi1EEEJNS0_7maximumIhEEhEEEvT_T0_DpT1_.has_dyn_sized_stack, 0
	.set _ZN2at6native12_GLOBAL__N_125multi_tensor_apply_kernelINS1_18TensorListMetadataILi2EEENS1_21BinaryOpScalarFunctorIhLi2ELi1ELi1EEEJNS0_7maximumIhEEhEEEvT_T0_DpT1_.has_recursion, 0
	.set _ZN2at6native12_GLOBAL__N_125multi_tensor_apply_kernelINS1_18TensorListMetadataILi2EEENS1_21BinaryOpScalarFunctorIhLi2ELi1ELi1EEEJNS0_7maximumIhEEhEEEvT_T0_DpT1_.has_indirect_call, 0
	.section	.AMDGPU.csdata,"",@progbits
; Kernel info:
; codeLenInByte = 1656
; TotalNumSgprs: 27
; NumVgprs: 29
; ScratchSize: 0
; MemoryBound: 0
; FloatMode: 240
; IeeeMode: 1
; LDSByteSize: 0 bytes/workgroup (compile time only)
; SGPRBlocks: 0
; VGPRBlocks: 3
; NumSGPRsForWavesPerEU: 27
; NumVGPRsForWavesPerEU: 29
; Occupancy: 16
; WaveLimiterHint : 0
; COMPUTE_PGM_RSRC2:SCRATCH_EN: 0
; COMPUTE_PGM_RSRC2:USER_SGPR: 2
; COMPUTE_PGM_RSRC2:TRAP_HANDLER: 0
; COMPUTE_PGM_RSRC2:TGID_X_EN: 1
; COMPUTE_PGM_RSRC2:TGID_Y_EN: 0
; COMPUTE_PGM_RSRC2:TGID_Z_EN: 0
; COMPUTE_PGM_RSRC2:TIDIG_COMP_CNT: 0
	.section	.text._ZN2at6native12_GLOBAL__N_125multi_tensor_apply_kernelINS1_18TensorListMetadataILi2EEENS1_21BinaryOpScalarFunctorIaLi2ELi1ELi1EEEJNS0_7maximumIaEEaEEEvT_T0_DpT1_,"axG",@progbits,_ZN2at6native12_GLOBAL__N_125multi_tensor_apply_kernelINS1_18TensorListMetadataILi2EEENS1_21BinaryOpScalarFunctorIaLi2ELi1ELi1EEEJNS0_7maximumIaEEaEEEvT_T0_DpT1_,comdat
	.globl	_ZN2at6native12_GLOBAL__N_125multi_tensor_apply_kernelINS1_18TensorListMetadataILi2EEENS1_21BinaryOpScalarFunctorIaLi2ELi1ELi1EEEJNS0_7maximumIaEEaEEEvT_T0_DpT1_ ; -- Begin function _ZN2at6native12_GLOBAL__N_125multi_tensor_apply_kernelINS1_18TensorListMetadataILi2EEENS1_21BinaryOpScalarFunctorIaLi2ELi1ELi1EEEJNS0_7maximumIaEEaEEEvT_T0_DpT1_
	.p2align	8
	.type	_ZN2at6native12_GLOBAL__N_125multi_tensor_apply_kernelINS1_18TensorListMetadataILi2EEENS1_21BinaryOpScalarFunctorIaLi2ELi1ELi1EEEJNS0_7maximumIaEEaEEEvT_T0_DpT1_,@function
_ZN2at6native12_GLOBAL__N_125multi_tensor_apply_kernelINS1_18TensorListMetadataILi2EEENS1_21BinaryOpScalarFunctorIaLi2ELi1ELi1EEEJNS0_7maximumIaEEaEEEvT_T0_DpT1_: ; @_ZN2at6native12_GLOBAL__N_125multi_tensor_apply_kernelINS1_18TensorListMetadataILi2EEENS1_21BinaryOpScalarFunctorIaLi2ELi1ELi1EEEJNS0_7maximumIaEEaEEEvT_T0_DpT1_
; %bb.0:
	s_load_u8 s6, s[0:1], ttmp9 offset:0x600
	s_mov_b32 s2, ttmp9
	s_mov_b32 s3, 0
	s_delay_alu instid0(SALU_CYCLE_1) | instskip(SKIP_1) | instid1(SALU_CYCLE_1)
	s_mul_u64 s[4:5], s[2:3], 3
	s_add_nc_u64 s[2:3], s[0:1], s[2:3]
	s_add_nc_u64 s[2:3], s[2:3], s[4:5]
	s_load_b32 s2, s[2:3], 0x740
	s_wait_kmcnt 0x0
	s_lshl_b32 s3, s6, 3
	s_clause 0x3
	s_load_b64 s[4:5], s[0:1], s3 offset:0x400
	s_load_b64 s[6:7], s[0:1], s3 offset:0x0
	;; [unrolled: 1-line block ×3, first 2 shown]
	s_load_b32 s12, s[0:1], 0xc48
	s_ashr_i32 s3, s2, 31
	s_delay_alu instid0(SALU_CYCLE_1)
	s_lshl_b64 s[10:11], s[2:3], 16
	s_wait_kmcnt 0x0
	s_add_nc_u64 s[2:3], s[6:7], s[10:11]
	s_or_b32 s3, s4, s8
	s_lshr_b32 s22, s12, 16
	s_or_b32 s2, s3, s2
	s_sub_nc_u64 s[12:13], s[4:5], s[10:11]
	s_and_b32 s2, s2, 3
	s_delay_alu instid0(SALU_CYCLE_1)
	s_cmp_eq_u32 s2, 0
	s_mov_b32 s2, -1
	s_cbranch_scc1 .LBB135_21
; %bb.1:
	v_cmp_lt_i64_e64 s2, s[12:13], 1
	s_and_b32 vcc_lo, exec_lo, s2
	s_cbranch_vccnz .LBB135_20
; %bb.2:
	s_load_b32 s2, s[0:1], 0xc5c
	v_cmp_gt_i64_e64 s4, 0x10000, s[12:13]
	v_cmp_gt_u64_e64 s16, 0x10000, s[12:13]
	s_mov_b32 s3, 0
	v_add_co_u32 v15, s5, s10, v0
	s_delay_alu instid0(VALU_DEP_1)
	v_add_co_ci_u32_e64 v16, null, s11, 0, s5
	s_and_b32 s4, s4, exec_lo
	s_cselect_b32 s15, s13, 0
	s_cselect_b32 s14, s12, 0x10000
	s_mov_b32 s5, s3
	v_add_co_u32 v1, vcc_lo, s6, v15
	s_delay_alu instid0(VALU_DEP_1)
	v_add_co_ci_u32_e64 v2, null, s7, v16, vcc_lo
	v_add_co_u32 v3, vcc_lo, s8, v15
	s_wait_alu 0xfffd
	v_add_co_ci_u32_e64 v4, null, s9, v16, vcc_lo
	s_wait_kmcnt 0x0
	s_and_b32 s19, s2, 0xffff
	s_and_b32 s2, s16, exec_lo
	s_mul_i32 s4, s19, 3
	s_cselect_b32 s17, s13, 0
	s_wait_alu 0xfffe
	s_add_nc_u64 s[20:21], s[10:11], s[4:5]
	s_cselect_b32 s16, s12, 0x10000
	s_lshl_b32 s2, s19, 1
	v_add_co_u32 v7, s5, s20, v0
	s_wait_alu 0xf1ff
	v_add_co_ci_u32_e64 v8, null, s21, 0, s5
	s_add_nc_u64 s[20:21], s[10:11], s[2:3]
	v_add_co_u32 v5, vcc_lo, s6, v7
	s_wait_alu 0xfffe
	v_add_co_u32 v13, s5, s20, v0
	s_wait_alu 0xf1ff
	v_add_co_ci_u32_e64 v14, null, s21, 0, s5
	s_wait_alu 0xfffd
	v_add_co_ci_u32_e64 v6, null, s7, v8, vcc_lo
	v_add_co_u32 v7, vcc_lo, s8, v7
	s_wait_alu 0xfffd
	v_add_co_ci_u32_e64 v8, null, s9, v8, vcc_lo
	v_add_co_u32 v11, vcc_lo, s6, v13
	;; [unrolled: 3-line block ×4, first 2 shown]
	s_wait_alu 0xfffd
	v_add_co_ci_u32_e64 v20, null, 0, v16, vcc_lo
	v_add_co_u32 v15, s2, s2, v0
	s_delay_alu instid0(VALU_DEP_3)
	v_add_co_u32 v17, vcc_lo, s6, v19
	v_add_co_u32 v9, s4, s4, v0
	s_wait_alu 0xf1ff
	v_add_co_ci_u32_e64 v16, null, 0, 0, s2
	s_wait_alu 0xfffd
	v_add_co_ci_u32_e64 v18, null, s7, v20, vcc_lo
	v_add_co_u32 v19, vcc_lo, s8, v19
	v_add_co_u32 v21, s2, v0, s19
	v_add_co_ci_u32_e64 v10, null, 0, 0, s4
	s_wait_alu 0xfffd
	v_add_co_ci_u32_e64 v20, null, s9, v20, vcc_lo
	s_wait_alu 0xf1ff
	v_add_co_ci_u32_e64 v22, null, 0, 0, s2
	s_lshl_b32 s18, s19, 2
	s_mov_b32 s19, s3
	s_mov_b64 s[20:21], 0
	s_bfe_i32 s23, s22, 0x80000
	s_branch .LBB135_4
.LBB135_3:                              ;   in Loop: Header=BB135_4 Depth=1
	s_wait_alu 0xfffe
	s_or_b32 exec_lo, exec_lo, s2
	s_add_nc_u64 s[20:21], s[20:21], s[18:19]
	s_wait_alu 0xfffe
	v_cmp_lt_i64_e64 s2, s[20:21], s[14:15]
	s_and_b32 vcc_lo, exec_lo, s2
	s_wait_alu 0xfffe
	s_cbranch_vccz .LBB135_20
.LBB135_4:                              ; =>This Inner Loop Header: Depth=1
	s_wait_loadcnt 0x0
	s_wait_alu 0xfffe
	v_add_co_u32 v23, s2, v0, s20
	s_wait_alu 0xf1ff
	v_add_co_ci_u32_e64 v24, null, 0, s21, s2
	s_delay_alu instid0(VALU_DEP_1)
	v_cmp_gt_u64_e32 vcc_lo, s[16:17], v[23:24]
	v_mov_b32_e32 v24, 0
	s_and_saveexec_b32 s3, vcc_lo
	s_cbranch_execz .LBB135_6
; %bb.5:                                ;   in Loop: Header=BB135_4 Depth=1
	v_add_co_u32 v23, s2, v1, s20
	s_wait_alu 0xf1ff
	v_add_co_ci_u32_e64 v24, null, s21, v2, s2
	global_load_u8 v24, v[23:24], off
.LBB135_6:                              ;   in Loop: Header=BB135_4 Depth=1
	s_wait_alu 0xfffe
	s_or_b32 exec_lo, exec_lo, s3
	v_add_co_u32 v25, s2, v21, s20
	s_wait_alu 0xf1ff
	v_add_co_ci_u32_e64 v26, null, s21, v22, s2
	v_mov_b32_e32 v23, 0
	s_delay_alu instid0(VALU_DEP_2)
	v_cmp_gt_u64_e64 s2, s[16:17], v[25:26]
	v_mov_b32_e32 v25, 0
	s_and_saveexec_b32 s4, s2
	s_cbranch_execz .LBB135_8
; %bb.7:                                ;   in Loop: Header=BB135_4 Depth=1
	v_add_co_u32 v25, s3, v17, s20
	s_wait_alu 0xf1ff
	v_add_co_ci_u32_e64 v26, null, s21, v18, s3
	global_load_u8 v25, v[25:26], off
.LBB135_8:                              ;   in Loop: Header=BB135_4 Depth=1
	s_wait_alu 0xfffe
	s_or_b32 exec_lo, exec_lo, s4
	v_add_co_u32 v26, s3, v15, s20
	s_wait_alu 0xf1ff
	v_add_co_ci_u32_e64 v27, null, s21, v16, s3
	s_delay_alu instid0(VALU_DEP_1)
	v_cmp_gt_u64_e64 s3, s[16:17], v[26:27]
	s_and_saveexec_b32 s5, s3
	s_cbranch_execz .LBB135_10
; %bb.9:                                ;   in Loop: Header=BB135_4 Depth=1
	v_add_co_u32 v26, s4, v11, s20
	s_wait_alu 0xf1ff
	v_add_co_ci_u32_e64 v27, null, s21, v12, s4
	global_load_u8 v23, v[26:27], off
.LBB135_10:                             ;   in Loop: Header=BB135_4 Depth=1
	s_wait_alu 0xfffe
	s_or_b32 exec_lo, exec_lo, s5
	v_add_co_u32 v26, s4, v9, s20
	s_wait_alu 0xf1ff
	v_add_co_ci_u32_e64 v27, null, s21, v10, s4
	s_delay_alu instid0(VALU_DEP_1)
	v_cmp_gt_u64_e64 s4, s[16:17], v[26:27]
	v_mov_b32_e32 v26, 0
	s_and_saveexec_b32 s24, s4
	s_cbranch_execnz .LBB135_15
; %bb.11:                               ;   in Loop: Header=BB135_4 Depth=1
	s_or_b32 exec_lo, exec_lo, s24
	s_and_saveexec_b32 s5, vcc_lo
	s_cbranch_execnz .LBB135_16
.LBB135_12:                             ;   in Loop: Header=BB135_4 Depth=1
	s_wait_alu 0xfffe
	s_or_b32 exec_lo, exec_lo, s5
	s_and_saveexec_b32 s5, s2
	s_cbranch_execnz .LBB135_17
.LBB135_13:                             ;   in Loop: Header=BB135_4 Depth=1
	s_wait_alu 0xfffe
	s_or_b32 exec_lo, exec_lo, s5
	s_and_saveexec_b32 s2, s3
	s_cbranch_execnz .LBB135_18
.LBB135_14:                             ;   in Loop: Header=BB135_4 Depth=1
	s_wait_alu 0xfffe
	s_or_b32 exec_lo, exec_lo, s2
	s_and_saveexec_b32 s2, s4
	s_cbranch_execz .LBB135_3
	s_branch .LBB135_19
.LBB135_15:                             ;   in Loop: Header=BB135_4 Depth=1
	v_add_co_u32 v26, s5, v5, s20
	s_wait_alu 0xf1ff
	v_add_co_ci_u32_e64 v27, null, s21, v6, s5
	global_load_u8 v26, v[26:27], off
	s_or_b32 exec_lo, exec_lo, s24
	s_and_saveexec_b32 s5, vcc_lo
	s_cbranch_execz .LBB135_12
.LBB135_16:                             ;   in Loop: Header=BB135_4 Depth=1
	s_wait_loadcnt 0x0
	v_bfe_i32 v24, v24, 0, 8
	v_add_co_u32 v27, vcc_lo, v3, s20
	s_wait_alu 0xfffd
	v_add_co_ci_u32_e64 v28, null, s21, v4, vcc_lo
	s_delay_alu instid0(VALU_DEP_3)
	v_max_i16 v24, v24, s23
	global_store_b8 v[27:28], v24, off
	s_wait_alu 0xfffe
	s_or_b32 exec_lo, exec_lo, s5
	s_and_saveexec_b32 s5, s2
	s_cbranch_execz .LBB135_13
.LBB135_17:                             ;   in Loop: Header=BB135_4 Depth=1
	s_wait_loadcnt 0x0
	v_bfe_i32 v24, v25, 0, 8
	s_delay_alu instid0(VALU_DEP_1)
	v_max_i16 v27, v24, s23
	v_add_co_u32 v24, vcc_lo, v19, s20
	s_wait_alu 0xfffd
	v_add_co_ci_u32_e64 v25, null, s21, v20, vcc_lo
	global_store_b8 v[24:25], v27, off
	s_wait_alu 0xfffe
	s_or_b32 exec_lo, exec_lo, s5
	s_and_saveexec_b32 s2, s3
	s_cbranch_execz .LBB135_14
.LBB135_18:                             ;   in Loop: Header=BB135_4 Depth=1
	s_wait_loadcnt 0x0
	v_bfe_i32 v23, v23, 0, 8
	s_delay_alu instid0(VALU_DEP_1)
	v_max_i16 v25, v23, s23
	v_add_co_u32 v23, vcc_lo, v13, s20
	s_wait_alu 0xfffd
	v_add_co_ci_u32_e64 v24, null, s21, v14, vcc_lo
	global_store_b8 v[23:24], v25, off
	s_wait_alu 0xfffe
	s_or_b32 exec_lo, exec_lo, s2
	s_and_saveexec_b32 s2, s4
	s_cbranch_execz .LBB135_3
.LBB135_19:                             ;   in Loop: Header=BB135_4 Depth=1
	s_wait_loadcnt 0x0
	v_bfe_i32 v23, v26, 0, 8
	s_delay_alu instid0(VALU_DEP_1)
	v_max_i16 v25, v23, s23
	v_add_co_u32 v23, vcc_lo, v7, s20
	s_wait_alu 0xfffd
	v_add_co_ci_u32_e64 v24, null, s21, v8, vcc_lo
	global_store_b8 v[23:24], v25, off
	s_branch .LBB135_3
.LBB135_20:
	s_mov_b32 s2, 0
.LBB135_21:
	s_wait_alu 0xfffe
	s_and_not1_b32 vcc_lo, exec_lo, s2
	s_wait_alu 0xfffe
	s_cbranch_vccnz .LBB135_25
; %bb.22:
	v_cmp_gt_i64_e64 s2, 0x10000, s[12:13]
	v_dual_mov_b32 v3, 0 :: v_dual_lshlrev_b32 v2, 2, v0
	s_mov_b32 s4, 0
	s_mov_b32 s5, exec_lo
	s_and_b32 s2, s2, exec_lo
	s_cselect_b32 s3, s13, 0
	s_cselect_b32 s2, s12, 0x10000
	s_wait_alu 0xfffe
	v_cmpx_gt_i64_e64 s[2:3], v[2:3]
	s_cbranch_execz .LBB135_25
; %bb.23:
	s_load_b32 s0, s[0:1], 0xc5c
	v_add_co_u32 v2, s1, s10, v2
	v_mov_b32_e32 v1, v3
	v_add_co_ci_u32_e64 v3, null, s11, 0, s1
	s_bfe_i32 s10, s22, 0x80000
	s_wait_kmcnt 0x0
	s_and_b32 s1, s0, 0xffff
	s_wait_alu 0xfffe
	s_lshl_b32 s5, s1, 2
.LBB135_24:                             ; =>This Inner Loop Header: Depth=1
	v_add_co_u32 v4, vcc_lo, s6, v2
	s_wait_alu 0xfffd
	v_add_co_ci_u32_e64 v5, null, s7, v3, vcc_lo
	v_add_co_u32 v0, vcc_lo, v0, s1
	s_wait_alu 0xfffd
	v_add_co_ci_u32_e64 v1, null, 0, v1, vcc_lo
	global_load_b32 v4, v[4:5], off
	s_wait_loadcnt 0x0
	v_lshrrev_b32_e32 v5, 8, v4
	v_lshrrev_b32_e32 v6, 24, v4
	v_lshrrev_b32_e32 v7, 16, v4
	v_bfe_i32 v4, v4, 0, 8
	s_delay_alu instid0(VALU_DEP_4) | instskip(NEXT) | instid1(VALU_DEP_4)
	v_bfe_i32 v5, v5, 0, 8
	v_bfe_i32 v6, v6, 0, 8
	s_delay_alu instid0(VALU_DEP_4) | instskip(NEXT) | instid1(VALU_DEP_4)
	v_bfe_i32 v7, v7, 0, 8
	v_max_i16 v4, v4, s10
	s_delay_alu instid0(VALU_DEP_4) | instskip(NEXT) | instid1(VALU_DEP_4)
	v_max_i16 v5, v5, s10
	v_max_i16 v6, v6, s10
	s_delay_alu instid0(VALU_DEP_4) | instskip(NEXT) | instid1(VALU_DEP_4)
	v_max_i16 v7, v7, s10
	v_and_b32_e32 v8, 0xff, v4
	v_add_co_u32 v4, vcc_lo, s8, v2
	v_lshlrev_b16 v5, 8, v5
	v_lshlrev_b16 v9, 8, v6
	v_and_b32_e32 v10, 0xff, v7
	v_lshlrev_b64_e32 v[6:7], 2, v[0:1]
	s_wait_alu 0xfffe
	v_add_co_u32 v2, s0, v2, s5
	v_or_b32_e32 v8, v8, v5
	v_or_b32_e32 v9, v10, v9
	s_wait_alu 0xfffd
	v_add_co_ci_u32_e64 v5, null, s9, v3, vcc_lo
	v_cmp_le_i64_e32 vcc_lo, s[2:3], v[6:7]
	v_and_b32_e32 v8, 0xffff, v8
	v_lshlrev_b32_e32 v9, 16, v9
	s_wait_alu 0xf1ff
	v_add_co_ci_u32_e64 v3, null, 0, v3, s0
	s_or_b32 s4, vcc_lo, s4
	v_or_b32_e32 v6, v8, v9
	global_store_b32 v[4:5], v6, off
	s_wait_alu 0xfffe
	s_and_not1_b32 exec_lo, exec_lo, s4
	s_cbranch_execnz .LBB135_24
.LBB135_25:
	s_endpgm
	.section	.rodata,"a",@progbits
	.p2align	6, 0x0
	.amdhsa_kernel _ZN2at6native12_GLOBAL__N_125multi_tensor_apply_kernelINS1_18TensorListMetadataILi2EEENS1_21BinaryOpScalarFunctorIaLi2ELi1ELi1EEEJNS0_7maximumIaEEaEEEvT_T0_DpT1_
		.amdhsa_group_segment_fixed_size 0
		.amdhsa_private_segment_fixed_size 0
		.amdhsa_kernarg_size 3408
		.amdhsa_user_sgpr_count 2
		.amdhsa_user_sgpr_dispatch_ptr 0
		.amdhsa_user_sgpr_queue_ptr 0
		.amdhsa_user_sgpr_kernarg_segment_ptr 1
		.amdhsa_user_sgpr_dispatch_id 0
		.amdhsa_user_sgpr_private_segment_size 0
		.amdhsa_wavefront_size32 1
		.amdhsa_uses_dynamic_stack 0
		.amdhsa_enable_private_segment 0
		.amdhsa_system_sgpr_workgroup_id_x 1
		.amdhsa_system_sgpr_workgroup_id_y 0
		.amdhsa_system_sgpr_workgroup_id_z 0
		.amdhsa_system_sgpr_workgroup_info 0
		.amdhsa_system_vgpr_workitem_id 0
		.amdhsa_next_free_vgpr 29
		.amdhsa_next_free_sgpr 25
		.amdhsa_reserve_vcc 1
		.amdhsa_float_round_mode_32 0
		.amdhsa_float_round_mode_16_64 0
		.amdhsa_float_denorm_mode_32 3
		.amdhsa_float_denorm_mode_16_64 3
		.amdhsa_fp16_overflow 0
		.amdhsa_workgroup_processor_mode 1
		.amdhsa_memory_ordered 1
		.amdhsa_forward_progress 1
		.amdhsa_inst_pref_size 14
		.amdhsa_round_robin_scheduling 0
		.amdhsa_exception_fp_ieee_invalid_op 0
		.amdhsa_exception_fp_denorm_src 0
		.amdhsa_exception_fp_ieee_div_zero 0
		.amdhsa_exception_fp_ieee_overflow 0
		.amdhsa_exception_fp_ieee_underflow 0
		.amdhsa_exception_fp_ieee_inexact 0
		.amdhsa_exception_int_div_zero 0
	.end_amdhsa_kernel
	.section	.text._ZN2at6native12_GLOBAL__N_125multi_tensor_apply_kernelINS1_18TensorListMetadataILi2EEENS1_21BinaryOpScalarFunctorIaLi2ELi1ELi1EEEJNS0_7maximumIaEEaEEEvT_T0_DpT1_,"axG",@progbits,_ZN2at6native12_GLOBAL__N_125multi_tensor_apply_kernelINS1_18TensorListMetadataILi2EEENS1_21BinaryOpScalarFunctorIaLi2ELi1ELi1EEEJNS0_7maximumIaEEaEEEvT_T0_DpT1_,comdat
.Lfunc_end135:
	.size	_ZN2at6native12_GLOBAL__N_125multi_tensor_apply_kernelINS1_18TensorListMetadataILi2EEENS1_21BinaryOpScalarFunctorIaLi2ELi1ELi1EEEJNS0_7maximumIaEEaEEEvT_T0_DpT1_, .Lfunc_end135-_ZN2at6native12_GLOBAL__N_125multi_tensor_apply_kernelINS1_18TensorListMetadataILi2EEENS1_21BinaryOpScalarFunctorIaLi2ELi1ELi1EEEJNS0_7maximumIaEEaEEEvT_T0_DpT1_
                                        ; -- End function
	.set _ZN2at6native12_GLOBAL__N_125multi_tensor_apply_kernelINS1_18TensorListMetadataILi2EEENS1_21BinaryOpScalarFunctorIaLi2ELi1ELi1EEEJNS0_7maximumIaEEaEEEvT_T0_DpT1_.num_vgpr, 29
	.set _ZN2at6native12_GLOBAL__N_125multi_tensor_apply_kernelINS1_18TensorListMetadataILi2EEENS1_21BinaryOpScalarFunctorIaLi2ELi1ELi1EEEJNS0_7maximumIaEEaEEEvT_T0_DpT1_.num_agpr, 0
	.set _ZN2at6native12_GLOBAL__N_125multi_tensor_apply_kernelINS1_18TensorListMetadataILi2EEENS1_21BinaryOpScalarFunctorIaLi2ELi1ELi1EEEJNS0_7maximumIaEEaEEEvT_T0_DpT1_.numbered_sgpr, 25
	.set _ZN2at6native12_GLOBAL__N_125multi_tensor_apply_kernelINS1_18TensorListMetadataILi2EEENS1_21BinaryOpScalarFunctorIaLi2ELi1ELi1EEEJNS0_7maximumIaEEaEEEvT_T0_DpT1_.num_named_barrier, 0
	.set _ZN2at6native12_GLOBAL__N_125multi_tensor_apply_kernelINS1_18TensorListMetadataILi2EEENS1_21BinaryOpScalarFunctorIaLi2ELi1ELi1EEEJNS0_7maximumIaEEaEEEvT_T0_DpT1_.private_seg_size, 0
	.set _ZN2at6native12_GLOBAL__N_125multi_tensor_apply_kernelINS1_18TensorListMetadataILi2EEENS1_21BinaryOpScalarFunctorIaLi2ELi1ELi1EEEJNS0_7maximumIaEEaEEEvT_T0_DpT1_.uses_vcc, 1
	.set _ZN2at6native12_GLOBAL__N_125multi_tensor_apply_kernelINS1_18TensorListMetadataILi2EEENS1_21BinaryOpScalarFunctorIaLi2ELi1ELi1EEEJNS0_7maximumIaEEaEEEvT_T0_DpT1_.uses_flat_scratch, 0
	.set _ZN2at6native12_GLOBAL__N_125multi_tensor_apply_kernelINS1_18TensorListMetadataILi2EEENS1_21BinaryOpScalarFunctorIaLi2ELi1ELi1EEEJNS0_7maximumIaEEaEEEvT_T0_DpT1_.has_dyn_sized_stack, 0
	.set _ZN2at6native12_GLOBAL__N_125multi_tensor_apply_kernelINS1_18TensorListMetadataILi2EEENS1_21BinaryOpScalarFunctorIaLi2ELi1ELi1EEEJNS0_7maximumIaEEaEEEvT_T0_DpT1_.has_recursion, 0
	.set _ZN2at6native12_GLOBAL__N_125multi_tensor_apply_kernelINS1_18TensorListMetadataILi2EEENS1_21BinaryOpScalarFunctorIaLi2ELi1ELi1EEEJNS0_7maximumIaEEaEEEvT_T0_DpT1_.has_indirect_call, 0
	.section	.AMDGPU.csdata,"",@progbits
; Kernel info:
; codeLenInByte = 1732
; TotalNumSgprs: 27
; NumVgprs: 29
; ScratchSize: 0
; MemoryBound: 0
; FloatMode: 240
; IeeeMode: 1
; LDSByteSize: 0 bytes/workgroup (compile time only)
; SGPRBlocks: 0
; VGPRBlocks: 3
; NumSGPRsForWavesPerEU: 27
; NumVGPRsForWavesPerEU: 29
; Occupancy: 16
; WaveLimiterHint : 0
; COMPUTE_PGM_RSRC2:SCRATCH_EN: 0
; COMPUTE_PGM_RSRC2:USER_SGPR: 2
; COMPUTE_PGM_RSRC2:TRAP_HANDLER: 0
; COMPUTE_PGM_RSRC2:TGID_X_EN: 1
; COMPUTE_PGM_RSRC2:TGID_Y_EN: 0
; COMPUTE_PGM_RSRC2:TGID_Z_EN: 0
; COMPUTE_PGM_RSRC2:TIDIG_COMP_CNT: 0
	.section	.text._ZN2at6native12_GLOBAL__N_125multi_tensor_apply_kernelINS1_18TensorListMetadataILi2EEENS1_21BinaryOpScalarFunctorIiLi2ELi1ELi1EEEJNS0_7maximumIiEEiEEEvT_T0_DpT1_,"axG",@progbits,_ZN2at6native12_GLOBAL__N_125multi_tensor_apply_kernelINS1_18TensorListMetadataILi2EEENS1_21BinaryOpScalarFunctorIiLi2ELi1ELi1EEEJNS0_7maximumIiEEiEEEvT_T0_DpT1_,comdat
	.globl	_ZN2at6native12_GLOBAL__N_125multi_tensor_apply_kernelINS1_18TensorListMetadataILi2EEENS1_21BinaryOpScalarFunctorIiLi2ELi1ELi1EEEJNS0_7maximumIiEEiEEEvT_T0_DpT1_ ; -- Begin function _ZN2at6native12_GLOBAL__N_125multi_tensor_apply_kernelINS1_18TensorListMetadataILi2EEENS1_21BinaryOpScalarFunctorIiLi2ELi1ELi1EEEJNS0_7maximumIiEEiEEEvT_T0_DpT1_
	.p2align	8
	.type	_ZN2at6native12_GLOBAL__N_125multi_tensor_apply_kernelINS1_18TensorListMetadataILi2EEENS1_21BinaryOpScalarFunctorIiLi2ELi1ELi1EEEJNS0_7maximumIiEEiEEEvT_T0_DpT1_,@function
_ZN2at6native12_GLOBAL__N_125multi_tensor_apply_kernelINS1_18TensorListMetadataILi2EEENS1_21BinaryOpScalarFunctorIiLi2ELi1ELi1EEEJNS0_7maximumIiEEiEEEvT_T0_DpT1_: ; @_ZN2at6native12_GLOBAL__N_125multi_tensor_apply_kernelINS1_18TensorListMetadataILi2EEENS1_21BinaryOpScalarFunctorIiLi2ELi1ELi1EEEJNS0_7maximumIiEEiEEEvT_T0_DpT1_
; %bb.0:
	s_load_u8 s8, s[0:1], ttmp9 offset:0x600
	s_mov_b32 s2, ttmp9
	s_mov_b32 s3, 0
	s_delay_alu instid0(SALU_CYCLE_1)
	s_mul_u64 s[4:5], s[2:3], 3
	s_add_nc_u64 s[6:7], s[0:1], s[2:3]
	s_mov_b32 s15, s3
	s_add_nc_u64 s[4:5], s[6:7], s[4:5]
	s_mov_b32 s17, s3
	s_load_b32 s4, s[4:5], 0x740
	s_wait_kmcnt 0x0
	s_lshl_b32 s2, s8, 3
	s_clause 0x3
	s_load_b64 s[6:7], s[0:1], s2 offset:0x0
	s_load_b64 s[8:9], s[0:1], s2 offset:0x200
	;; [unrolled: 1-line block ×3, first 2 shown]
	s_load_b32 s22, s[0:1], 0xc4c
	s_ashr_i32 s5, s4, 31
	s_delay_alu instid0(SALU_CYCLE_1)
	s_lshl_b64 s[10:11], s[4:5], 18
	s_lshl_b64 s[4:5], s[4:5], 16
	s_wait_kmcnt 0x0
	s_add_nc_u64 s[18:19], s[6:7], s[10:11]
	s_and_b32 s14, s8, 15
	s_and_b32 s16, s12, 3
	;; [unrolled: 1-line block ×3, first 2 shown]
	s_or_b64 s[14:15], s[14:15], s[16:17]
	s_sub_nc_u64 s[12:13], s[12:13], s[4:5]
	s_or_b64 s[2:3], s[14:15], s[2:3]
	s_delay_alu instid0(SALU_CYCLE_1)
	s_cmp_eq_u64 s[2:3], 0
	s_mov_b32 s2, -1
	s_cbranch_scc1 .LBB136_21
; %bb.1:
	v_cmp_lt_i64_e64 s2, s[12:13], 1
	s_and_b32 vcc_lo, exec_lo, s2
	s_cbranch_vccnz .LBB136_20
; %bb.2:
	s_load_b32 s2, s[0:1], 0xc5c
	v_cmp_gt_i64_e64 s3, 0x10000, s[12:13]
	v_dual_mov_b32 v10, 0 :: v_dual_lshlrev_b32 v9, 2, v0
	v_cmp_gt_u64_e64 s4, 0x10000, s[12:13]
	s_mov_b32 s15, 0
	s_mov_b64 s[20:21], 0
	s_and_b32 s3, s3, exec_lo
	v_add_co_u32 v3, s3, s8, v9
	v_add_co_u32 v1, s5, s6, v9
	s_cselect_b32 s17, s13, 0
	s_cselect_b32 s16, s12, 0x10000
	v_add_co_ci_u32_e64 v4, null, s9, 0, s3
	v_add_co_ci_u32_e64 v2, null, s7, 0, s5
	s_wait_kmcnt 0x0
	s_and_b32 s2, s2, 0xffff
	s_and_b32 s3, s4, exec_lo
	s_cselect_b32 s19, s13, 0
	s_cselect_b32 s18, s12, 0x10000
	s_wait_alu 0xfffe
	s_mul_i32 s4, s2, 3
	s_lshl_b32 s5, s2, 3
	v_mad_co_u64_u32 v[7:8], null, s2, 12, v[9:10]
	s_wait_alu 0xfffe
	v_add_co_u32 v14, s5, s5, v9
	v_add_co_u32 v9, s4, s4, v0
	s_wait_alu 0xf1ff
	v_add_co_ci_u32_e64 v10, null, 0, 0, s4
	v_add_co_u32 v13, s4, v0, s2
	s_lshl_b32 s3, s2, 1
	v_add_co_u32 v5, vcc_lo, s6, v7
	v_lshlrev_b32_e32 v21, 2, v13
	v_add_co_ci_u32_e64 v15, null, 0, 0, s5
	v_add_co_ci_u32_e64 v6, null, s7, v8, vcc_lo
	v_add_co_u32 v7, vcc_lo, s8, v7
	s_wait_alu 0xfffe
	v_add_co_u32 v17, s3, s3, v0
	s_wait_alu 0xfffd
	v_add_co_ci_u32_e64 v8, null, s9, v8, vcc_lo
	v_add_co_u32 v11, vcc_lo, s6, v14
	s_wait_alu 0xf1ff
	v_add_co_ci_u32_e64 v18, null, 0, 0, s3
	v_add_co_u32 v19, s3, s6, v21
	s_wait_alu 0xfffd
	v_add_co_ci_u32_e64 v12, null, s7, v15, vcc_lo
	v_add_co_u32 v14, vcc_lo, s8, v14
	s_wait_alu 0xf1ff
	v_add_co_ci_u32_e64 v20, null, s7, 0, s3
	v_add_co_u32 v21, s3, s8, v21
	s_wait_alu 0xfffd
	v_add_co_ci_u32_e64 v15, null, s9, v15, vcc_lo
	v_add_co_ci_u32_e64 v16, null, 0, 0, s4
	s_wait_alu 0xf1ff
	v_add_co_ci_u32_e64 v22, null, s9, 0, s3
	s_lshl_b32 s14, s2, 2
	s_lshl_b32 s23, s2, 4
	s_branch .LBB136_4
.LBB136_3:                              ;   in Loop: Header=BB136_4 Depth=1
	s_wait_alu 0xfffe
	s_or_b32 exec_lo, exec_lo, s2
	v_add_co_u32 v1, vcc_lo, v1, s23
	s_wait_alu 0xfffd
	v_add_co_ci_u32_e64 v2, null, 0, v2, vcc_lo
	v_add_co_u32 v3, vcc_lo, v3, s23
	s_wait_alu 0xfffd
	v_add_co_ci_u32_e64 v4, null, 0, v4, vcc_lo
	;; [unrolled: 3-line block ×5, first 2 shown]
	v_add_co_u32 v14, vcc_lo, v14, s23
	s_add_nc_u64 s[20:21], s[20:21], s[14:15]
	s_wait_alu 0xfffd
	v_add_co_ci_u32_e64 v15, null, 0, v15, vcc_lo
	v_add_co_u32 v19, vcc_lo, v19, s23
	s_wait_alu 0xfffe
	v_cmp_lt_i64_e64 s2, s[20:21], s[16:17]
	s_wait_alu 0xfffd
	v_add_co_ci_u32_e64 v20, null, 0, v20, vcc_lo
	v_add_co_u32 v21, vcc_lo, v21, s23
	s_wait_alu 0xfffd
	v_add_co_ci_u32_e64 v22, null, 0, v22, vcc_lo
	s_and_b32 vcc_lo, exec_lo, s2
	s_wait_alu 0xfffe
	s_cbranch_vccz .LBB136_20
.LBB136_4:                              ; =>This Inner Loop Header: Depth=1
	s_wait_loadcnt 0x0
	v_add_co_u32 v23, s2, v0, s20
	s_wait_alu 0xf1ff
	v_add_co_ci_u32_e64 v24, null, 0, s21, s2
	s_delay_alu instid0(VALU_DEP_1)
	v_cmp_gt_u64_e32 vcc_lo, s[18:19], v[23:24]
	v_mov_b32_e32 v24, 0
	s_and_saveexec_b32 s3, vcc_lo
	s_cbranch_execz .LBB136_6
; %bb.5:                                ;   in Loop: Header=BB136_4 Depth=1
	v_add_co_u32 v23, s2, v1, s10
	s_wait_alu 0xf1ff
	v_add_co_ci_u32_e64 v24, null, s11, v2, s2
	global_load_b32 v24, v[23:24], off
.LBB136_6:                              ;   in Loop: Header=BB136_4 Depth=1
	s_wait_alu 0xfffe
	s_or_b32 exec_lo, exec_lo, s3
	v_add_co_u32 v25, s2, v13, s20
	s_wait_alu 0xf1ff
	v_add_co_ci_u32_e64 v26, null, s21, v16, s2
	v_mov_b32_e32 v23, 0
	s_delay_alu instid0(VALU_DEP_2)
	v_cmp_gt_u64_e64 s2, s[18:19], v[25:26]
	v_mov_b32_e32 v25, 0
	s_and_saveexec_b32 s4, s2
	s_cbranch_execz .LBB136_8
; %bb.7:                                ;   in Loop: Header=BB136_4 Depth=1
	v_add_co_u32 v25, s3, v19, s10
	s_wait_alu 0xf1ff
	v_add_co_ci_u32_e64 v26, null, s11, v20, s3
	global_load_b32 v25, v[25:26], off
.LBB136_8:                              ;   in Loop: Header=BB136_4 Depth=1
	s_wait_alu 0xfffe
	s_or_b32 exec_lo, exec_lo, s4
	v_add_co_u32 v26, s3, v17, s20
	s_wait_alu 0xf1ff
	v_add_co_ci_u32_e64 v27, null, s21, v18, s3
	s_delay_alu instid0(VALU_DEP_1)
	v_cmp_gt_u64_e64 s3, s[18:19], v[26:27]
	s_and_saveexec_b32 s5, s3
	s_cbranch_execz .LBB136_10
; %bb.9:                                ;   in Loop: Header=BB136_4 Depth=1
	v_add_co_u32 v26, s4, v11, s10
	s_wait_alu 0xf1ff
	v_add_co_ci_u32_e64 v27, null, s11, v12, s4
	global_load_b32 v23, v[26:27], off
.LBB136_10:                             ;   in Loop: Header=BB136_4 Depth=1
	s_wait_alu 0xfffe
	s_or_b32 exec_lo, exec_lo, s5
	v_add_co_u32 v26, s4, v9, s20
	s_wait_alu 0xf1ff
	v_add_co_ci_u32_e64 v27, null, s21, v10, s4
	s_delay_alu instid0(VALU_DEP_1)
	v_cmp_gt_u64_e64 s4, s[18:19], v[26:27]
	v_mov_b32_e32 v26, 0
	s_and_saveexec_b32 s24, s4
	s_cbranch_execnz .LBB136_15
; %bb.11:                               ;   in Loop: Header=BB136_4 Depth=1
	s_or_b32 exec_lo, exec_lo, s24
	s_and_saveexec_b32 s5, vcc_lo
	s_cbranch_execnz .LBB136_16
.LBB136_12:                             ;   in Loop: Header=BB136_4 Depth=1
	s_wait_alu 0xfffe
	s_or_b32 exec_lo, exec_lo, s5
	s_and_saveexec_b32 s5, s2
	s_cbranch_execnz .LBB136_17
.LBB136_13:                             ;   in Loop: Header=BB136_4 Depth=1
	s_wait_alu 0xfffe
	s_or_b32 exec_lo, exec_lo, s5
	s_and_saveexec_b32 s2, s3
	s_cbranch_execnz .LBB136_18
.LBB136_14:                             ;   in Loop: Header=BB136_4 Depth=1
	s_wait_alu 0xfffe
	s_or_b32 exec_lo, exec_lo, s2
	s_and_saveexec_b32 s2, s4
	s_cbranch_execz .LBB136_3
	s_branch .LBB136_19
.LBB136_15:                             ;   in Loop: Header=BB136_4 Depth=1
	v_add_co_u32 v26, s5, v5, s10
	s_wait_alu 0xf1ff
	v_add_co_ci_u32_e64 v27, null, s11, v6, s5
	global_load_b32 v26, v[26:27], off
	s_or_b32 exec_lo, exec_lo, s24
	s_and_saveexec_b32 s5, vcc_lo
	s_cbranch_execz .LBB136_12
.LBB136_16:                             ;   in Loop: Header=BB136_4 Depth=1
	v_add_co_u32 v27, vcc_lo, v3, s10
	s_wait_loadcnt 0x0
	v_max_i32_e32 v24, s22, v24
	s_wait_alu 0xfffd
	v_add_co_ci_u32_e64 v28, null, s11, v4, vcc_lo
	global_store_b32 v[27:28], v24, off
	s_wait_alu 0xfffe
	s_or_b32 exec_lo, exec_lo, s5
	s_and_saveexec_b32 s5, s2
	s_cbranch_execz .LBB136_13
.LBB136_17:                             ;   in Loop: Header=BB136_4 Depth=1
	s_wait_loadcnt 0x0
	v_add_co_u32 v24, vcc_lo, v21, s10
	v_max_i32_e32 v27, s22, v25
	s_wait_alu 0xfffd
	v_add_co_ci_u32_e64 v25, null, s11, v22, vcc_lo
	global_store_b32 v[24:25], v27, off
	s_wait_alu 0xfffe
	s_or_b32 exec_lo, exec_lo, s5
	s_and_saveexec_b32 s2, s3
	s_cbranch_execz .LBB136_14
.LBB136_18:                             ;   in Loop: Header=BB136_4 Depth=1
	s_wait_loadcnt 0x0
	v_max_i32_e32 v25, s22, v23
	v_add_co_u32 v23, vcc_lo, v14, s10
	s_wait_alu 0xfffd
	v_add_co_ci_u32_e64 v24, null, s11, v15, vcc_lo
	global_store_b32 v[23:24], v25, off
	s_wait_alu 0xfffe
	s_or_b32 exec_lo, exec_lo, s2
	s_and_saveexec_b32 s2, s4
	s_cbranch_execz .LBB136_3
.LBB136_19:                             ;   in Loop: Header=BB136_4 Depth=1
	s_wait_loadcnt 0x0
	v_add_co_u32 v23, vcc_lo, v7, s10
	v_max_i32_e32 v25, s22, v26
	s_wait_alu 0xfffd
	v_add_co_ci_u32_e64 v24, null, s11, v8, vcc_lo
	global_store_b32 v[23:24], v25, off
	s_branch .LBB136_3
.LBB136_20:
	s_mov_b32 s2, 0
.LBB136_21:
	s_wait_alu 0xfffe
	s_and_not1_b32 vcc_lo, exec_lo, s2
	s_wait_alu 0xfffe
	s_cbranch_vccnz .LBB136_25
; %bb.22:
	v_cmp_gt_i64_e64 s2, 0x10000, s[12:13]
	v_dual_mov_b32 v2, 0 :: v_dual_lshlrev_b32 v1, 2, v0
	s_mov_b32 s4, 0
	s_mov_b32 s5, exec_lo
	s_and_b32 s2, s2, exec_lo
	s_cselect_b32 s3, s13, 0
	s_cselect_b32 s2, s12, 0x10000
	s_wait_alu 0xfffe
	v_cmpx_gt_i64_e64 s[2:3], v[1:2]
	s_cbranch_execz .LBB136_25
; %bb.23:
	s_load_b32 s0, s[0:1], 0xc5c
	v_lshlrev_b32_e32 v3, 4, v0
	v_mov_b32_e32 v1, v2
	s_delay_alu instid0(VALU_DEP_2) | instskip(NEXT) | instid1(VALU_DEP_1)
	v_add_co_u32 v2, s1, s10, v3
	v_add_co_ci_u32_e64 v3, null, s11, 0, s1
	s_wait_kmcnt 0x0
	s_and_b32 s1, s0, 0xffff
	s_wait_alu 0xfffe
	s_lshl_b32 s5, s1, 4
.LBB136_24:                             ; =>This Inner Loop Header: Depth=1
	v_add_co_u32 v4, vcc_lo, s6, v2
	s_wait_alu 0xfffd
	v_add_co_ci_u32_e64 v5, null, s7, v3, vcc_lo
	v_add_co_u32 v0, vcc_lo, v0, s1
	s_wait_alu 0xfffd
	v_add_co_ci_u32_e64 v1, null, 0, v1, vcc_lo
	global_load_b128 v[4:7], v[4:5], off
	v_add_co_u32 v8, vcc_lo, s8, v2
	v_lshlrev_b64_e32 v[10:11], 2, v[0:1]
	s_wait_alu 0xfffd
	v_add_co_ci_u32_e64 v9, null, s9, v3, vcc_lo
	s_wait_alu 0xfffe
	v_add_co_u32 v2, vcc_lo, v2, s5
	s_wait_alu 0xfffd
	v_add_co_ci_u32_e64 v3, null, 0, v3, vcc_lo
	v_cmp_le_i64_e64 s0, s[2:3], v[10:11]
	s_or_b32 s4, s0, s4
	s_wait_loadcnt 0x0
	v_max_i32_e32 v4, s22, v4
	v_max_i32_e32 v5, s22, v5
	;; [unrolled: 1-line block ×4, first 2 shown]
	global_store_b128 v[8:9], v[4:7], off
	s_wait_alu 0xfffe
	s_and_not1_b32 exec_lo, exec_lo, s4
	s_cbranch_execnz .LBB136_24
.LBB136_25:
	s_endpgm
	.section	.rodata,"a",@progbits
	.p2align	6, 0x0
	.amdhsa_kernel _ZN2at6native12_GLOBAL__N_125multi_tensor_apply_kernelINS1_18TensorListMetadataILi2EEENS1_21BinaryOpScalarFunctorIiLi2ELi1ELi1EEEJNS0_7maximumIiEEiEEEvT_T0_DpT1_
		.amdhsa_group_segment_fixed_size 0
		.amdhsa_private_segment_fixed_size 0
		.amdhsa_kernarg_size 3408
		.amdhsa_user_sgpr_count 2
		.amdhsa_user_sgpr_dispatch_ptr 0
		.amdhsa_user_sgpr_queue_ptr 0
		.amdhsa_user_sgpr_kernarg_segment_ptr 1
		.amdhsa_user_sgpr_dispatch_id 0
		.amdhsa_user_sgpr_private_segment_size 0
		.amdhsa_wavefront_size32 1
		.amdhsa_uses_dynamic_stack 0
		.amdhsa_enable_private_segment 0
		.amdhsa_system_sgpr_workgroup_id_x 1
		.amdhsa_system_sgpr_workgroup_id_y 0
		.amdhsa_system_sgpr_workgroup_id_z 0
		.amdhsa_system_sgpr_workgroup_info 0
		.amdhsa_system_vgpr_workitem_id 0
		.amdhsa_next_free_vgpr 29
		.amdhsa_next_free_sgpr 25
		.amdhsa_reserve_vcc 1
		.amdhsa_float_round_mode_32 0
		.amdhsa_float_round_mode_16_64 0
		.amdhsa_float_denorm_mode_32 3
		.amdhsa_float_denorm_mode_16_64 3
		.amdhsa_fp16_overflow 0
		.amdhsa_workgroup_processor_mode 1
		.amdhsa_memory_ordered 1
		.amdhsa_forward_progress 1
		.amdhsa_inst_pref_size 13
		.amdhsa_round_robin_scheduling 0
		.amdhsa_exception_fp_ieee_invalid_op 0
		.amdhsa_exception_fp_denorm_src 0
		.amdhsa_exception_fp_ieee_div_zero 0
		.amdhsa_exception_fp_ieee_overflow 0
		.amdhsa_exception_fp_ieee_underflow 0
		.amdhsa_exception_fp_ieee_inexact 0
		.amdhsa_exception_int_div_zero 0
	.end_amdhsa_kernel
	.section	.text._ZN2at6native12_GLOBAL__N_125multi_tensor_apply_kernelINS1_18TensorListMetadataILi2EEENS1_21BinaryOpScalarFunctorIiLi2ELi1ELi1EEEJNS0_7maximumIiEEiEEEvT_T0_DpT1_,"axG",@progbits,_ZN2at6native12_GLOBAL__N_125multi_tensor_apply_kernelINS1_18TensorListMetadataILi2EEENS1_21BinaryOpScalarFunctorIiLi2ELi1ELi1EEEJNS0_7maximumIiEEiEEEvT_T0_DpT1_,comdat
.Lfunc_end136:
	.size	_ZN2at6native12_GLOBAL__N_125multi_tensor_apply_kernelINS1_18TensorListMetadataILi2EEENS1_21BinaryOpScalarFunctorIiLi2ELi1ELi1EEEJNS0_7maximumIiEEiEEEvT_T0_DpT1_, .Lfunc_end136-_ZN2at6native12_GLOBAL__N_125multi_tensor_apply_kernelINS1_18TensorListMetadataILi2EEENS1_21BinaryOpScalarFunctorIiLi2ELi1ELi1EEEJNS0_7maximumIiEEiEEEvT_T0_DpT1_
                                        ; -- End function
	.set _ZN2at6native12_GLOBAL__N_125multi_tensor_apply_kernelINS1_18TensorListMetadataILi2EEENS1_21BinaryOpScalarFunctorIiLi2ELi1ELi1EEEJNS0_7maximumIiEEiEEEvT_T0_DpT1_.num_vgpr, 29
	.set _ZN2at6native12_GLOBAL__N_125multi_tensor_apply_kernelINS1_18TensorListMetadataILi2EEENS1_21BinaryOpScalarFunctorIiLi2ELi1ELi1EEEJNS0_7maximumIiEEiEEEvT_T0_DpT1_.num_agpr, 0
	.set _ZN2at6native12_GLOBAL__N_125multi_tensor_apply_kernelINS1_18TensorListMetadataILi2EEENS1_21BinaryOpScalarFunctorIiLi2ELi1ELi1EEEJNS0_7maximumIiEEiEEEvT_T0_DpT1_.numbered_sgpr, 25
	.set _ZN2at6native12_GLOBAL__N_125multi_tensor_apply_kernelINS1_18TensorListMetadataILi2EEENS1_21BinaryOpScalarFunctorIiLi2ELi1ELi1EEEJNS0_7maximumIiEEiEEEvT_T0_DpT1_.num_named_barrier, 0
	.set _ZN2at6native12_GLOBAL__N_125multi_tensor_apply_kernelINS1_18TensorListMetadataILi2EEENS1_21BinaryOpScalarFunctorIiLi2ELi1ELi1EEEJNS0_7maximumIiEEiEEEvT_T0_DpT1_.private_seg_size, 0
	.set _ZN2at6native12_GLOBAL__N_125multi_tensor_apply_kernelINS1_18TensorListMetadataILi2EEENS1_21BinaryOpScalarFunctorIiLi2ELi1ELi1EEEJNS0_7maximumIiEEiEEEvT_T0_DpT1_.uses_vcc, 1
	.set _ZN2at6native12_GLOBAL__N_125multi_tensor_apply_kernelINS1_18TensorListMetadataILi2EEENS1_21BinaryOpScalarFunctorIiLi2ELi1ELi1EEEJNS0_7maximumIiEEiEEEvT_T0_DpT1_.uses_flat_scratch, 0
	.set _ZN2at6native12_GLOBAL__N_125multi_tensor_apply_kernelINS1_18TensorListMetadataILi2EEENS1_21BinaryOpScalarFunctorIiLi2ELi1ELi1EEEJNS0_7maximumIiEEiEEEvT_T0_DpT1_.has_dyn_sized_stack, 0
	.set _ZN2at6native12_GLOBAL__N_125multi_tensor_apply_kernelINS1_18TensorListMetadataILi2EEENS1_21BinaryOpScalarFunctorIiLi2ELi1ELi1EEEJNS0_7maximumIiEEiEEEvT_T0_DpT1_.has_recursion, 0
	.set _ZN2at6native12_GLOBAL__N_125multi_tensor_apply_kernelINS1_18TensorListMetadataILi2EEENS1_21BinaryOpScalarFunctorIiLi2ELi1ELi1EEEJNS0_7maximumIiEEiEEEvT_T0_DpT1_.has_indirect_call, 0
	.section	.AMDGPU.csdata,"",@progbits
; Kernel info:
; codeLenInByte = 1640
; TotalNumSgprs: 27
; NumVgprs: 29
; ScratchSize: 0
; MemoryBound: 0
; FloatMode: 240
; IeeeMode: 1
; LDSByteSize: 0 bytes/workgroup (compile time only)
; SGPRBlocks: 0
; VGPRBlocks: 3
; NumSGPRsForWavesPerEU: 27
; NumVGPRsForWavesPerEU: 29
; Occupancy: 16
; WaveLimiterHint : 0
; COMPUTE_PGM_RSRC2:SCRATCH_EN: 0
; COMPUTE_PGM_RSRC2:USER_SGPR: 2
; COMPUTE_PGM_RSRC2:TRAP_HANDLER: 0
; COMPUTE_PGM_RSRC2:TGID_X_EN: 1
; COMPUTE_PGM_RSRC2:TGID_Y_EN: 0
; COMPUTE_PGM_RSRC2:TGID_Z_EN: 0
; COMPUTE_PGM_RSRC2:TIDIG_COMP_CNT: 0
	.section	.text._ZN2at6native12_GLOBAL__N_125multi_tensor_apply_kernelINS1_18TensorListMetadataILi2EEENS1_21BinaryOpScalarFunctorIlLi2ELi1ELi1EEEJNS0_7maximumIlEElEEEvT_T0_DpT1_,"axG",@progbits,_ZN2at6native12_GLOBAL__N_125multi_tensor_apply_kernelINS1_18TensorListMetadataILi2EEENS1_21BinaryOpScalarFunctorIlLi2ELi1ELi1EEEJNS0_7maximumIlEElEEEvT_T0_DpT1_,comdat
	.globl	_ZN2at6native12_GLOBAL__N_125multi_tensor_apply_kernelINS1_18TensorListMetadataILi2EEENS1_21BinaryOpScalarFunctorIlLi2ELi1ELi1EEEJNS0_7maximumIlEElEEEvT_T0_DpT1_ ; -- Begin function _ZN2at6native12_GLOBAL__N_125multi_tensor_apply_kernelINS1_18TensorListMetadataILi2EEENS1_21BinaryOpScalarFunctorIlLi2ELi1ELi1EEEJNS0_7maximumIlEElEEEvT_T0_DpT1_
	.p2align	8
	.type	_ZN2at6native12_GLOBAL__N_125multi_tensor_apply_kernelINS1_18TensorListMetadataILi2EEENS1_21BinaryOpScalarFunctorIlLi2ELi1ELi1EEEJNS0_7maximumIlEElEEEvT_T0_DpT1_,@function
_ZN2at6native12_GLOBAL__N_125multi_tensor_apply_kernelINS1_18TensorListMetadataILi2EEENS1_21BinaryOpScalarFunctorIlLi2ELi1ELi1EEEJNS0_7maximumIlEElEEEvT_T0_DpT1_: ; @_ZN2at6native12_GLOBAL__N_125multi_tensor_apply_kernelINS1_18TensorListMetadataILi2EEENS1_21BinaryOpScalarFunctorIlLi2ELi1ELi1EEEJNS0_7maximumIlEElEEEvT_T0_DpT1_
; %bb.0:
	s_load_u8 s8, s[0:1], ttmp9 offset:0x600
	s_mov_b32 s2, ttmp9
	s_mov_b32 s3, 0
	s_delay_alu instid0(SALU_CYCLE_1)
	s_mul_u64 s[4:5], s[2:3], 3
	s_add_nc_u64 s[6:7], s[0:1], s[2:3]
	s_mov_b32 s17, s3
	s_add_nc_u64 s[4:5], s[6:7], s[4:5]
	s_mov_b32 s19, s3
	s_load_b32 s4, s[4:5], 0x740
	s_wait_kmcnt 0x0
	s_lshl_b32 s2, s8, 3
	s_clause 0x3
	s_load_b64 s[6:7], s[0:1], s2 offset:0x0
	s_load_b64 s[8:9], s[0:1], s2 offset:0x200
	;; [unrolled: 1-line block ×3, first 2 shown]
	s_load_b64 s[10:11], s[0:1], 0xc50
	s_ashr_i32 s5, s4, 31
	s_delay_alu instid0(SALU_CYCLE_1)
	s_lshl_b64 s[12:13], s[4:5], 19
	s_lshl_b64 s[4:5], s[4:5], 16
	s_wait_kmcnt 0x0
	s_add_nc_u64 s[20:21], s[6:7], s[12:13]
	s_and_b32 s16, s8, 31
	s_and_b32 s18, s14, 3
	;; [unrolled: 1-line block ×3, first 2 shown]
	s_or_b64 s[16:17], s[16:17], s[18:19]
	s_sub_nc_u64 s[14:15], s[14:15], s[4:5]
	s_or_b64 s[2:3], s[16:17], s[2:3]
	s_delay_alu instid0(SALU_CYCLE_1)
	s_cmp_eq_u64 s[2:3], 0
	s_mov_b32 s2, -1
	s_cbranch_scc1 .LBB137_21
; %bb.1:
	v_cmp_lt_i64_e64 s2, s[14:15], 1
	s_and_b32 vcc_lo, exec_lo, s2
	s_cbranch_vccnz .LBB137_20
; %bb.2:
	s_load_b32 s2, s[0:1], 0xc64
	v_cmp_gt_i64_e64 s3, 0x10000, s[14:15]
	v_dual_mov_b32 v2, 0 :: v_dual_lshlrev_b32 v1, 3, v0
	v_cmp_gt_u64_e64 s4, 0x10000, s[14:15]
	s_mov_b32 s17, 0
	s_mov_b64 s[22:23], 0
	s_and_b32 s3, s3, exec_lo
	s_cselect_b32 s19, s15, 0
	s_cselect_b32 s18, s14, 0x10000
	v_add_co_u32 v11, s3, s8, v1
	v_add_co_u32 v9, s5, s6, v1
	v_add_co_ci_u32_e64 v12, null, s9, 0, s3
	v_add_co_ci_u32_e64 v10, null, s7, 0, s5
	s_wait_kmcnt 0x0
	s_and_b32 s2, s2, 0xffff
	s_and_b32 s3, s4, exec_lo
	s_wait_alu 0xfffe
	v_mad_co_u64_u32 v[2:3], null, s2, 24, v[1:2]
	s_cselect_b32 s21, s15, 0
	s_cselect_b32 s20, s14, 0x10000
	s_mul_i32 s4, s2, 3
	s_lshl_b32 s5, s2, 4
	s_wait_alu 0xfffe
	v_add_co_u32 v17, s4, s4, v0
	v_add_co_u32 v13, vcc_lo, s6, v2
	v_add_co_u32 v1, s5, s5, v1
	v_add_co_ci_u32_e64 v14, null, s7, v3, vcc_lo
	v_add_co_u32 v15, vcc_lo, s8, v2
	s_wait_alu 0xf1ff
	v_add_co_ci_u32_e64 v2, null, 0, 0, s5
	v_add_co_ci_u32_e64 v18, null, 0, 0, s4
	v_add_co_u32 v21, s4, v0, s2
	s_wait_alu 0xfffd
	v_add_co_ci_u32_e64 v16, null, s9, v3, vcc_lo
	v_add_co_u32 v19, vcc_lo, s6, v1
	s_wait_alu 0xfffd
	v_add_co_ci_u32_e64 v20, null, s7, v2, vcc_lo
	v_add_co_u32 v22, vcc_lo, s8, v1
	v_lshlrev_b32_e32 v1, 3, v21
	s_lshl_b32 s3, s2, 1
	s_wait_alu 0xfffd
	v_add_co_ci_u32_e64 v23, null, s9, v2, vcc_lo
	s_wait_alu 0xfffe
	v_add_co_u32 v25, s3, s3, v0
	s_wait_alu 0xf1ff
	v_add_co_ci_u32_e64 v26, null, 0, 0, s3
	v_add_co_u32 v27, s3, s6, v1
	s_wait_alu 0xf1ff
	v_add_co_ci_u32_e64 v28, null, s7, 0, s3
	v_add_co_u32 v29, s3, s8, v1
	v_add_co_ci_u32_e64 v24, null, 0, 0, s4
	s_wait_alu 0xf1ff
	v_add_co_ci_u32_e64 v30, null, s9, 0, s3
	s_lshl_b32 s16, s2, 2
	s_lshl_b32 s24, s2, 5
	s_branch .LBB137_4
.LBB137_3:                              ;   in Loop: Header=BB137_4 Depth=1
	s_wait_alu 0xfffe
	s_or_b32 exec_lo, exec_lo, s2
	v_add_co_u32 v9, vcc_lo, v9, s24
	s_wait_alu 0xfffd
	v_add_co_ci_u32_e64 v10, null, 0, v10, vcc_lo
	v_add_co_u32 v11, vcc_lo, v11, s24
	s_wait_alu 0xfffd
	v_add_co_ci_u32_e64 v12, null, 0, v12, vcc_lo
	;; [unrolled: 3-line block ×5, first 2 shown]
	v_add_co_u32 v22, vcc_lo, v22, s24
	s_add_nc_u64 s[22:23], s[22:23], s[16:17]
	s_wait_alu 0xfffd
	v_add_co_ci_u32_e64 v23, null, 0, v23, vcc_lo
	v_add_co_u32 v27, vcc_lo, v27, s24
	s_wait_alu 0xfffe
	v_cmp_lt_i64_e64 s2, s[22:23], s[18:19]
	s_wait_alu 0xfffd
	v_add_co_ci_u32_e64 v28, null, 0, v28, vcc_lo
	v_add_co_u32 v29, vcc_lo, v29, s24
	s_wait_alu 0xfffd
	v_add_co_ci_u32_e64 v30, null, 0, v30, vcc_lo
	s_and_b32 vcc_lo, exec_lo, s2
	s_wait_alu 0xfffe
	s_cbranch_vccz .LBB137_20
.LBB137_4:                              ; =>This Inner Loop Header: Depth=1
	s_wait_loadcnt 0x0
	v_add_co_u32 v3, s2, v0, s22
	s_wait_alu 0xf1ff
	v_add_co_ci_u32_e64 v4, null, 0, s23, s2
	v_mov_b32_e32 v1, 0
	v_dual_mov_b32 v2, 0 :: v_dual_mov_b32 v5, 0
	s_delay_alu instid0(VALU_DEP_3)
	v_cmp_gt_u64_e32 vcc_lo, s[20:21], v[3:4]
	v_mov_b32_e32 v6, 0
	s_and_saveexec_b32 s3, vcc_lo
	s_cbranch_execz .LBB137_6
; %bb.5:                                ;   in Loop: Header=BB137_4 Depth=1
	v_add_co_u32 v3, s2, v9, s12
	s_wait_alu 0xf1ff
	v_add_co_ci_u32_e64 v4, null, s13, v10, s2
	global_load_b64 v[5:6], v[3:4], off
.LBB137_6:                              ;   in Loop: Header=BB137_4 Depth=1
	s_wait_alu 0xfffe
	s_or_b32 exec_lo, exec_lo, s3
	v_add_co_u32 v3, s2, v21, s22
	s_wait_alu 0xf1ff
	v_add_co_ci_u32_e64 v4, null, s23, v24, s2
	s_delay_alu instid0(VALU_DEP_1)
	v_cmp_gt_u64_e64 s2, s[20:21], v[3:4]
	s_and_saveexec_b32 s4, s2
	s_cbranch_execz .LBB137_8
; %bb.7:                                ;   in Loop: Header=BB137_4 Depth=1
	v_add_co_u32 v1, s3, v27, s12
	s_wait_alu 0xf1ff
	v_add_co_ci_u32_e64 v2, null, s13, v28, s3
	global_load_b64 v[1:2], v[1:2], off
.LBB137_8:                              ;   in Loop: Header=BB137_4 Depth=1
	s_wait_alu 0xfffe
	s_or_b32 exec_lo, exec_lo, s4
	v_add_co_u32 v7, s3, v25, s22
	s_wait_alu 0xf1ff
	v_add_co_ci_u32_e64 v8, null, s23, v26, s3
	v_mov_b32_e32 v3, 0
	v_mov_b32_e32 v4, 0
	s_delay_alu instid0(VALU_DEP_3)
	v_cmp_gt_u64_e64 s3, s[20:21], v[7:8]
	v_mov_b32_e32 v7, 0
	v_mov_b32_e32 v8, 0
	s_and_saveexec_b32 s5, s3
	s_cbranch_execz .LBB137_10
; %bb.9:                                ;   in Loop: Header=BB137_4 Depth=1
	v_add_co_u32 v7, s4, v19, s12
	s_wait_alu 0xf1ff
	v_add_co_ci_u32_e64 v8, null, s13, v20, s4
	global_load_b64 v[7:8], v[7:8], off
.LBB137_10:                             ;   in Loop: Header=BB137_4 Depth=1
	s_wait_alu 0xfffe
	s_or_b32 exec_lo, exec_lo, s5
	v_add_co_u32 v31, s4, v17, s22
	s_wait_alu 0xf1ff
	v_add_co_ci_u32_e64 v32, null, s23, v18, s4
	s_delay_alu instid0(VALU_DEP_1)
	v_cmp_gt_u64_e64 s4, s[20:21], v[31:32]
	s_and_saveexec_b32 s25, s4
	s_cbranch_execnz .LBB137_15
; %bb.11:                               ;   in Loop: Header=BB137_4 Depth=1
	s_wait_alu 0xfffe
	s_or_b32 exec_lo, exec_lo, s25
	s_and_saveexec_b32 s5, vcc_lo
	s_cbranch_execnz .LBB137_16
.LBB137_12:                             ;   in Loop: Header=BB137_4 Depth=1
	s_wait_alu 0xfffe
	s_or_b32 exec_lo, exec_lo, s5
	s_and_saveexec_b32 s5, s2
	s_cbranch_execnz .LBB137_17
.LBB137_13:                             ;   in Loop: Header=BB137_4 Depth=1
	s_wait_alu 0xfffe
	s_or_b32 exec_lo, exec_lo, s5
	s_and_saveexec_b32 s2, s3
	s_cbranch_execnz .LBB137_18
.LBB137_14:                             ;   in Loop: Header=BB137_4 Depth=1
	s_wait_alu 0xfffe
	s_or_b32 exec_lo, exec_lo, s2
	s_and_saveexec_b32 s2, s4
	s_cbranch_execz .LBB137_3
	s_branch .LBB137_19
.LBB137_15:                             ;   in Loop: Header=BB137_4 Depth=1
	v_add_co_u32 v3, s5, v13, s12
	s_wait_alu 0xf1ff
	v_add_co_ci_u32_e64 v4, null, s13, v14, s5
	global_load_b64 v[3:4], v[3:4], off
	s_wait_alu 0xfffe
	s_or_b32 exec_lo, exec_lo, s25
	s_and_saveexec_b32 s5, vcc_lo
	s_cbranch_execz .LBB137_12
.LBB137_16:                             ;   in Loop: Header=BB137_4 Depth=1
	s_wait_loadcnt 0x0
	v_cmp_lt_i64_e32 vcc_lo, s[10:11], v[5:6]
	s_wait_alu 0xfffd
	v_cndmask_b32_e32 v6, s11, v6, vcc_lo
	v_cndmask_b32_e32 v5, s10, v5, vcc_lo
	v_add_co_u32 v31, vcc_lo, v11, s12
	s_wait_alu 0xfffd
	v_add_co_ci_u32_e64 v32, null, s13, v12, vcc_lo
	global_store_b64 v[31:32], v[5:6], off
	s_wait_alu 0xfffe
	s_or_b32 exec_lo, exec_lo, s5
	s_and_saveexec_b32 s5, s2
	s_cbranch_execz .LBB137_13
.LBB137_17:                             ;   in Loop: Header=BB137_4 Depth=1
	s_wait_loadcnt 0x0
	v_cmp_lt_i64_e32 vcc_lo, s[10:11], v[1:2]
	s_wait_alu 0xfffd
	v_cndmask_b32_e32 v2, s11, v2, vcc_lo
	v_cndmask_b32_e32 v1, s10, v1, vcc_lo
	v_add_co_u32 v5, vcc_lo, v29, s12
	s_wait_alu 0xfffd
	v_add_co_ci_u32_e64 v6, null, s13, v30, vcc_lo
	global_store_b64 v[5:6], v[1:2], off
	s_wait_alu 0xfffe
	s_or_b32 exec_lo, exec_lo, s5
	s_and_saveexec_b32 s2, s3
	s_cbranch_execz .LBB137_14
.LBB137_18:                             ;   in Loop: Header=BB137_4 Depth=1
	s_wait_loadcnt 0x0
	v_cmp_lt_i64_e32 vcc_lo, s[10:11], v[7:8]
	s_wait_alu 0xfffd
	v_cndmask_b32_e32 v2, s11, v8, vcc_lo
	v_cndmask_b32_e32 v1, s10, v7, vcc_lo
	v_add_co_u32 v5, vcc_lo, v22, s12
	s_wait_alu 0xfffd
	v_add_co_ci_u32_e64 v6, null, s13, v23, vcc_lo
	global_store_b64 v[5:6], v[1:2], off
	s_wait_alu 0xfffe
	s_or_b32 exec_lo, exec_lo, s2
	s_and_saveexec_b32 s2, s4
	s_cbranch_execz .LBB137_3
.LBB137_19:                             ;   in Loop: Header=BB137_4 Depth=1
	s_wait_loadcnt 0x0
	v_cmp_lt_i64_e32 vcc_lo, s[10:11], v[3:4]
	s_wait_alu 0xfffd
	v_cndmask_b32_e32 v2, s11, v4, vcc_lo
	v_cndmask_b32_e32 v1, s10, v3, vcc_lo
	v_add_co_u32 v3, vcc_lo, v15, s12
	s_wait_alu 0xfffd
	v_add_co_ci_u32_e64 v4, null, s13, v16, vcc_lo
	global_store_b64 v[3:4], v[1:2], off
	s_branch .LBB137_3
.LBB137_20:
	s_mov_b32 s2, 0
.LBB137_21:
	s_wait_alu 0xfffe
	s_and_not1_b32 vcc_lo, exec_lo, s2
	s_wait_alu 0xfffe
	s_cbranch_vccnz .LBB137_25
; %bb.22:
	v_cmp_gt_i64_e64 s2, 0x10000, s[14:15]
	s_wait_loadcnt 0x0
	v_dual_mov_b32 v2, 0 :: v_dual_lshlrev_b32 v1, 2, v0
	s_mov_b32 s5, 0
	s_and_b32 s2, s2, exec_lo
	s_cselect_b32 s15, s15, 0
	s_cselect_b32 s14, s14, 0x10000
	s_mov_b32 s2, exec_lo
	s_wait_alu 0xfffe
	v_cmpx_gt_i64_e64 s[14:15], v[1:2]
	s_cbranch_execz .LBB137_25
; %bb.23:
	s_load_b32 s0, s[0:1], 0xc64
	v_lshlrev_b32_e32 v3, 5, v0
	v_mov_b32_e32 v1, v2
	s_delay_alu instid0(VALU_DEP_2) | instskip(NEXT) | instid1(VALU_DEP_1)
	v_add_co_u32 v2, s1, s12, v3
	v_add_co_ci_u32_e64 v3, null, s13, 0, s1
	s_wait_kmcnt 0x0
	s_and_b32 s12, s0, 0xffff
	s_wait_alu 0xfffe
	s_lshl_b32 s13, s12, 5
.LBB137_24:                             ; =>This Inner Loop Header: Depth=1
	v_add_co_u32 v8, vcc_lo, s6, v2
	s_wait_alu 0xfffd
	v_add_co_ci_u32_e64 v9, null, s7, v3, vcc_lo
	v_add_co_u32 v0, vcc_lo, v0, s12
	s_wait_alu 0xfffd
	v_add_co_ci_u32_e64 v1, null, 0, v1, vcc_lo
	s_clause 0x1
	global_load_b128 v[4:7], v[8:9], off
	global_load_b128 v[8:11], v[8:9], off offset:16
	v_add_co_u32 v12, vcc_lo, s8, v2
	v_lshlrev_b64_e32 v[14:15], 2, v[0:1]
	s_wait_alu 0xfffd
	v_add_co_ci_u32_e64 v13, null, s9, v3, vcc_lo
	s_wait_alu 0xfffe
	v_add_co_u32 v2, vcc_lo, v2, s13
	s_wait_alu 0xfffd
	v_add_co_ci_u32_e64 v3, null, 0, v3, vcc_lo
	v_cmp_le_i64_e64 s0, s[14:15], v[14:15]
	s_or_b32 s5, s0, s5
	s_wait_loadcnt 0x1
	v_cmp_lt_i64_e64 s1, s[10:11], v[4:5]
	v_cmp_lt_i64_e64 s2, s[10:11], v[6:7]
	s_wait_loadcnt 0x0
	v_cmp_lt_i64_e64 s3, s[10:11], v[8:9]
	v_cmp_lt_i64_e64 s4, s[10:11], v[10:11]
	s_wait_alu 0xf1ff
	v_cndmask_b32_e64 v5, s11, v5, s1
	v_cndmask_b32_e64 v7, s11, v7, s2
	;; [unrolled: 1-line block ×8, first 2 shown]
	s_clause 0x1
	global_store_b128 v[12:13], v[4:7], off
	global_store_b128 v[12:13], v[8:11], off offset:16
	s_wait_alu 0xfffe
	s_and_not1_b32 exec_lo, exec_lo, s5
	s_cbranch_execnz .LBB137_24
.LBB137_25:
	s_endpgm
	.section	.rodata,"a",@progbits
	.p2align	6, 0x0
	.amdhsa_kernel _ZN2at6native12_GLOBAL__N_125multi_tensor_apply_kernelINS1_18TensorListMetadataILi2EEENS1_21BinaryOpScalarFunctorIlLi2ELi1ELi1EEEJNS0_7maximumIlEElEEEvT_T0_DpT1_
		.amdhsa_group_segment_fixed_size 0
		.amdhsa_private_segment_fixed_size 0
		.amdhsa_kernarg_size 3416
		.amdhsa_user_sgpr_count 2
		.amdhsa_user_sgpr_dispatch_ptr 0
		.amdhsa_user_sgpr_queue_ptr 0
		.amdhsa_user_sgpr_kernarg_segment_ptr 1
		.amdhsa_user_sgpr_dispatch_id 0
		.amdhsa_user_sgpr_private_segment_size 0
		.amdhsa_wavefront_size32 1
		.amdhsa_uses_dynamic_stack 0
		.amdhsa_enable_private_segment 0
		.amdhsa_system_sgpr_workgroup_id_x 1
		.amdhsa_system_sgpr_workgroup_id_y 0
		.amdhsa_system_sgpr_workgroup_id_z 0
		.amdhsa_system_sgpr_workgroup_info 0
		.amdhsa_system_vgpr_workitem_id 0
		.amdhsa_next_free_vgpr 33
		.amdhsa_next_free_sgpr 26
		.amdhsa_reserve_vcc 1
		.amdhsa_float_round_mode_32 0
		.amdhsa_float_round_mode_16_64 0
		.amdhsa_float_denorm_mode_32 3
		.amdhsa_float_denorm_mode_16_64 3
		.amdhsa_fp16_overflow 0
		.amdhsa_workgroup_processor_mode 1
		.amdhsa_memory_ordered 1
		.amdhsa_forward_progress 1
		.amdhsa_inst_pref_size 15
		.amdhsa_round_robin_scheduling 0
		.amdhsa_exception_fp_ieee_invalid_op 0
		.amdhsa_exception_fp_denorm_src 0
		.amdhsa_exception_fp_ieee_div_zero 0
		.amdhsa_exception_fp_ieee_overflow 0
		.amdhsa_exception_fp_ieee_underflow 0
		.amdhsa_exception_fp_ieee_inexact 0
		.amdhsa_exception_int_div_zero 0
	.end_amdhsa_kernel
	.section	.text._ZN2at6native12_GLOBAL__N_125multi_tensor_apply_kernelINS1_18TensorListMetadataILi2EEENS1_21BinaryOpScalarFunctorIlLi2ELi1ELi1EEEJNS0_7maximumIlEElEEEvT_T0_DpT1_,"axG",@progbits,_ZN2at6native12_GLOBAL__N_125multi_tensor_apply_kernelINS1_18TensorListMetadataILi2EEENS1_21BinaryOpScalarFunctorIlLi2ELi1ELi1EEEJNS0_7maximumIlEElEEEvT_T0_DpT1_,comdat
.Lfunc_end137:
	.size	_ZN2at6native12_GLOBAL__N_125multi_tensor_apply_kernelINS1_18TensorListMetadataILi2EEENS1_21BinaryOpScalarFunctorIlLi2ELi1ELi1EEEJNS0_7maximumIlEElEEEvT_T0_DpT1_, .Lfunc_end137-_ZN2at6native12_GLOBAL__N_125multi_tensor_apply_kernelINS1_18TensorListMetadataILi2EEENS1_21BinaryOpScalarFunctorIlLi2ELi1ELi1EEEJNS0_7maximumIlEElEEEvT_T0_DpT1_
                                        ; -- End function
	.set _ZN2at6native12_GLOBAL__N_125multi_tensor_apply_kernelINS1_18TensorListMetadataILi2EEENS1_21BinaryOpScalarFunctorIlLi2ELi1ELi1EEEJNS0_7maximumIlEElEEEvT_T0_DpT1_.num_vgpr, 33
	.set _ZN2at6native12_GLOBAL__N_125multi_tensor_apply_kernelINS1_18TensorListMetadataILi2EEENS1_21BinaryOpScalarFunctorIlLi2ELi1ELi1EEEJNS0_7maximumIlEElEEEvT_T0_DpT1_.num_agpr, 0
	.set _ZN2at6native12_GLOBAL__N_125multi_tensor_apply_kernelINS1_18TensorListMetadataILi2EEENS1_21BinaryOpScalarFunctorIlLi2ELi1ELi1EEEJNS0_7maximumIlEElEEEvT_T0_DpT1_.numbered_sgpr, 26
	.set _ZN2at6native12_GLOBAL__N_125multi_tensor_apply_kernelINS1_18TensorListMetadataILi2EEENS1_21BinaryOpScalarFunctorIlLi2ELi1ELi1EEEJNS0_7maximumIlEElEEEvT_T0_DpT1_.num_named_barrier, 0
	.set _ZN2at6native12_GLOBAL__N_125multi_tensor_apply_kernelINS1_18TensorListMetadataILi2EEENS1_21BinaryOpScalarFunctorIlLi2ELi1ELi1EEEJNS0_7maximumIlEElEEEvT_T0_DpT1_.private_seg_size, 0
	.set _ZN2at6native12_GLOBAL__N_125multi_tensor_apply_kernelINS1_18TensorListMetadataILi2EEENS1_21BinaryOpScalarFunctorIlLi2ELi1ELi1EEEJNS0_7maximumIlEElEEEvT_T0_DpT1_.uses_vcc, 1
	.set _ZN2at6native12_GLOBAL__N_125multi_tensor_apply_kernelINS1_18TensorListMetadataILi2EEENS1_21BinaryOpScalarFunctorIlLi2ELi1ELi1EEEJNS0_7maximumIlEElEEEvT_T0_DpT1_.uses_flat_scratch, 0
	.set _ZN2at6native12_GLOBAL__N_125multi_tensor_apply_kernelINS1_18TensorListMetadataILi2EEENS1_21BinaryOpScalarFunctorIlLi2ELi1ELi1EEEJNS0_7maximumIlEElEEEvT_T0_DpT1_.has_dyn_sized_stack, 0
	.set _ZN2at6native12_GLOBAL__N_125multi_tensor_apply_kernelINS1_18TensorListMetadataILi2EEENS1_21BinaryOpScalarFunctorIlLi2ELi1ELi1EEEJNS0_7maximumIlEElEEEvT_T0_DpT1_.has_recursion, 0
	.set _ZN2at6native12_GLOBAL__N_125multi_tensor_apply_kernelINS1_18TensorListMetadataILi2EEENS1_21BinaryOpScalarFunctorIlLi2ELi1ELi1EEEJNS0_7maximumIlEElEEEvT_T0_DpT1_.has_indirect_call, 0
	.section	.AMDGPU.csdata,"",@progbits
; Kernel info:
; codeLenInByte = 1836
; TotalNumSgprs: 28
; NumVgprs: 33
; ScratchSize: 0
; MemoryBound: 0
; FloatMode: 240
; IeeeMode: 1
; LDSByteSize: 0 bytes/workgroup (compile time only)
; SGPRBlocks: 0
; VGPRBlocks: 4
; NumSGPRsForWavesPerEU: 28
; NumVGPRsForWavesPerEU: 33
; Occupancy: 16
; WaveLimiterHint : 0
; COMPUTE_PGM_RSRC2:SCRATCH_EN: 0
; COMPUTE_PGM_RSRC2:USER_SGPR: 2
; COMPUTE_PGM_RSRC2:TRAP_HANDLER: 0
; COMPUTE_PGM_RSRC2:TGID_X_EN: 1
; COMPUTE_PGM_RSRC2:TGID_Y_EN: 0
; COMPUTE_PGM_RSRC2:TGID_Z_EN: 0
; COMPUTE_PGM_RSRC2:TIDIG_COMP_CNT: 0
	.section	.text._ZN2at6native12_GLOBAL__N_125multi_tensor_apply_kernelINS1_18TensorListMetadataILi2EEENS1_21BinaryOpScalarFunctorIsLi2ELi1ELi1EEEJNS0_7maximumIsEEsEEEvT_T0_DpT1_,"axG",@progbits,_ZN2at6native12_GLOBAL__N_125multi_tensor_apply_kernelINS1_18TensorListMetadataILi2EEENS1_21BinaryOpScalarFunctorIsLi2ELi1ELi1EEEJNS0_7maximumIsEEsEEEvT_T0_DpT1_,comdat
	.globl	_ZN2at6native12_GLOBAL__N_125multi_tensor_apply_kernelINS1_18TensorListMetadataILi2EEENS1_21BinaryOpScalarFunctorIsLi2ELi1ELi1EEEJNS0_7maximumIsEEsEEEvT_T0_DpT1_ ; -- Begin function _ZN2at6native12_GLOBAL__N_125multi_tensor_apply_kernelINS1_18TensorListMetadataILi2EEENS1_21BinaryOpScalarFunctorIsLi2ELi1ELi1EEEJNS0_7maximumIsEEsEEEvT_T0_DpT1_
	.p2align	8
	.type	_ZN2at6native12_GLOBAL__N_125multi_tensor_apply_kernelINS1_18TensorListMetadataILi2EEENS1_21BinaryOpScalarFunctorIsLi2ELi1ELi1EEEJNS0_7maximumIsEEsEEEvT_T0_DpT1_,@function
_ZN2at6native12_GLOBAL__N_125multi_tensor_apply_kernelINS1_18TensorListMetadataILi2EEENS1_21BinaryOpScalarFunctorIsLi2ELi1ELi1EEEJNS0_7maximumIsEEsEEEvT_T0_DpT1_: ; @_ZN2at6native12_GLOBAL__N_125multi_tensor_apply_kernelINS1_18TensorListMetadataILi2EEENS1_21BinaryOpScalarFunctorIsLi2ELi1ELi1EEEJNS0_7maximumIsEEsEEEvT_T0_DpT1_
; %bb.0:
	s_load_u8 s8, s[0:1], ttmp9 offset:0x600
	s_mov_b32 s2, ttmp9
	s_mov_b32 s3, 0
	s_delay_alu instid0(SALU_CYCLE_1)
	s_mul_u64 s[4:5], s[2:3], 3
	s_add_nc_u64 s[6:7], s[0:1], s[2:3]
	s_mov_b32 s15, s3
	s_add_nc_u64 s[4:5], s[6:7], s[4:5]
	s_mov_b32 s17, s3
	s_load_b32 s4, s[4:5], 0x740
	s_wait_kmcnt 0x0
	s_lshl_b32 s2, s8, 3
	s_clause 0x3
	s_load_b32 s14, s[0:1], 0xc48
	s_load_b64 s[6:7], s[0:1], s2 offset:0x0
	s_load_b64 s[8:9], s[0:1], s2 offset:0x200
	;; [unrolled: 1-line block ×3, first 2 shown]
	s_ashr_i32 s5, s4, 31
	s_delay_alu instid0(SALU_CYCLE_1)
	s_lshl_b64 s[10:11], s[4:5], 17
	s_lshl_b64 s[4:5], s[4:5], 16
	s_wait_kmcnt 0x0
	s_lshr_b32 s22, s14, 16
	s_add_nc_u64 s[18:19], s[6:7], s[10:11]
	s_and_b32 s14, s8, 7
	s_and_b32 s16, s12, 3
	;; [unrolled: 1-line block ×3, first 2 shown]
	s_or_b64 s[14:15], s[14:15], s[16:17]
	s_sub_nc_u64 s[12:13], s[12:13], s[4:5]
	s_or_b64 s[2:3], s[14:15], s[2:3]
	s_delay_alu instid0(SALU_CYCLE_1)
	s_cmp_eq_u64 s[2:3], 0
	s_mov_b32 s2, -1
	s_cbranch_scc1 .LBB138_21
; %bb.1:
	v_cmp_lt_i64_e64 s2, s[12:13], 1
	s_and_b32 vcc_lo, exec_lo, s2
	s_cbranch_vccnz .LBB138_20
; %bb.2:
	s_load_b32 s2, s[0:1], 0xc5c
	v_cmp_gt_i64_e64 s3, 0x10000, s[12:13]
	v_dual_mov_b32 v10, 0 :: v_dual_lshlrev_b32 v9, 1, v0
	v_cmp_gt_u64_e64 s4, 0x10000, s[12:13]
	s_mov_b32 s19, 0
	s_mov_b64 s[20:21], 0
	s_and_b32 s3, s3, exec_lo
	v_add_co_u32 v1, s5, s6, v9
	s_cselect_b32 s15, s13, 0
	s_cselect_b32 s14, s12, 0x10000
	v_add_co_ci_u32_e64 v2, null, s7, 0, s5
	v_add_co_u32 v3, s5, s8, v9
	s_wait_alu 0xf1ff
	v_add_co_ci_u32_e64 v4, null, s9, 0, s5
	s_wait_kmcnt 0x0
	s_and_b32 s2, s2, 0xffff
	s_and_b32 s3, s4, exec_lo
	s_cselect_b32 s17, s13, 0
	s_cselect_b32 s16, s12, 0x10000
	s_mul_i32 s4, s2, 3
	s_lshl_b32 s18, s2, 2
	v_mad_co_u64_u32 v[7:8], null, s2, 6, v[9:10]
	v_add_co_u32 v14, s5, s18, v9
	s_wait_alu 0xfffe
	v_add_co_u32 v9, s4, s4, v0
	s_wait_alu 0xf1ff
	v_add_co_ci_u32_e64 v10, null, 0, 0, s4
	v_add_co_u32 v13, s4, v0, s2
	s_lshl_b32 s3, s2, 1
	v_add_co_u32 v5, vcc_lo, s6, v7
	v_lshlrev_b32_e32 v21, 1, v13
	v_add_co_ci_u32_e64 v15, null, 0, 0, s5
	v_add_co_ci_u32_e64 v6, null, s7, v8, vcc_lo
	v_add_co_u32 v7, vcc_lo, s8, v7
	s_wait_alu 0xfffe
	v_add_co_u32 v17, s3, s3, v0
	s_wait_alu 0xfffd
	v_add_co_ci_u32_e64 v8, null, s9, v8, vcc_lo
	v_add_co_u32 v11, vcc_lo, s6, v14
	s_wait_alu 0xf1ff
	v_add_co_ci_u32_e64 v18, null, 0, 0, s3
	v_add_co_u32 v19, s3, s6, v21
	s_wait_alu 0xfffd
	v_add_co_ci_u32_e64 v12, null, s7, v15, vcc_lo
	v_add_co_u32 v14, vcc_lo, s8, v14
	s_wait_alu 0xf1ff
	v_add_co_ci_u32_e64 v20, null, s7, 0, s3
	v_add_co_u32 v21, s3, s8, v21
	s_wait_alu 0xfffd
	v_add_co_ci_u32_e64 v15, null, s9, v15, vcc_lo
	v_add_co_ci_u32_e64 v16, null, 0, 0, s4
	s_wait_alu 0xf1ff
	v_add_co_ci_u32_e64 v22, null, s9, 0, s3
	s_lshl_b32 s23, s2, 3
	s_branch .LBB138_4
.LBB138_3:                              ;   in Loop: Header=BB138_4 Depth=1
	s_wait_alu 0xfffe
	s_or_b32 exec_lo, exec_lo, s2
	v_add_co_u32 v1, vcc_lo, v1, s23
	s_wait_alu 0xfffd
	v_add_co_ci_u32_e64 v2, null, 0, v2, vcc_lo
	v_add_co_u32 v3, vcc_lo, v3, s23
	s_wait_alu 0xfffd
	v_add_co_ci_u32_e64 v4, null, 0, v4, vcc_lo
	;; [unrolled: 3-line block ×5, first 2 shown]
	v_add_co_u32 v14, vcc_lo, v14, s23
	s_add_nc_u64 s[20:21], s[20:21], s[18:19]
	s_wait_alu 0xfffd
	v_add_co_ci_u32_e64 v15, null, 0, v15, vcc_lo
	v_add_co_u32 v19, vcc_lo, v19, s23
	s_wait_alu 0xfffe
	v_cmp_lt_i64_e64 s2, s[20:21], s[14:15]
	s_wait_alu 0xfffd
	v_add_co_ci_u32_e64 v20, null, 0, v20, vcc_lo
	v_add_co_u32 v21, vcc_lo, v21, s23
	s_wait_alu 0xfffd
	v_add_co_ci_u32_e64 v22, null, 0, v22, vcc_lo
	s_and_b32 vcc_lo, exec_lo, s2
	s_wait_alu 0xfffe
	s_cbranch_vccz .LBB138_20
.LBB138_4:                              ; =>This Inner Loop Header: Depth=1
	s_wait_loadcnt 0x0
	v_add_co_u32 v23, s2, v0, s20
	s_wait_alu 0xf1ff
	v_add_co_ci_u32_e64 v24, null, 0, s21, s2
	s_delay_alu instid0(VALU_DEP_1)
	v_cmp_gt_u64_e32 vcc_lo, s[16:17], v[23:24]
	v_mov_b32_e32 v24, 0
	s_and_saveexec_b32 s3, vcc_lo
	s_cbranch_execz .LBB138_6
; %bb.5:                                ;   in Loop: Header=BB138_4 Depth=1
	v_add_co_u32 v23, s2, v1, s10
	s_wait_alu 0xf1ff
	v_add_co_ci_u32_e64 v24, null, s11, v2, s2
	global_load_u16 v24, v[23:24], off
.LBB138_6:                              ;   in Loop: Header=BB138_4 Depth=1
	s_wait_alu 0xfffe
	s_or_b32 exec_lo, exec_lo, s3
	v_add_co_u32 v25, s2, v13, s20
	s_wait_alu 0xf1ff
	v_add_co_ci_u32_e64 v26, null, s21, v16, s2
	v_mov_b32_e32 v23, 0
	s_delay_alu instid0(VALU_DEP_2)
	v_cmp_gt_u64_e64 s2, s[16:17], v[25:26]
	v_mov_b32_e32 v25, 0
	s_and_saveexec_b32 s4, s2
	s_cbranch_execz .LBB138_8
; %bb.7:                                ;   in Loop: Header=BB138_4 Depth=1
	v_add_co_u32 v25, s3, v19, s10
	s_wait_alu 0xf1ff
	v_add_co_ci_u32_e64 v26, null, s11, v20, s3
	global_load_u16 v25, v[25:26], off
.LBB138_8:                              ;   in Loop: Header=BB138_4 Depth=1
	s_wait_alu 0xfffe
	s_or_b32 exec_lo, exec_lo, s4
	v_add_co_u32 v26, s3, v17, s20
	s_wait_alu 0xf1ff
	v_add_co_ci_u32_e64 v27, null, s21, v18, s3
	s_delay_alu instid0(VALU_DEP_1)
	v_cmp_gt_u64_e64 s3, s[16:17], v[26:27]
	s_and_saveexec_b32 s5, s3
	s_cbranch_execz .LBB138_10
; %bb.9:                                ;   in Loop: Header=BB138_4 Depth=1
	v_add_co_u32 v26, s4, v11, s10
	s_wait_alu 0xf1ff
	v_add_co_ci_u32_e64 v27, null, s11, v12, s4
	global_load_u16 v23, v[26:27], off
.LBB138_10:                             ;   in Loop: Header=BB138_4 Depth=1
	s_wait_alu 0xfffe
	s_or_b32 exec_lo, exec_lo, s5
	v_add_co_u32 v26, s4, v9, s20
	s_wait_alu 0xf1ff
	v_add_co_ci_u32_e64 v27, null, s21, v10, s4
	s_delay_alu instid0(VALU_DEP_1)
	v_cmp_gt_u64_e64 s4, s[16:17], v[26:27]
	v_mov_b32_e32 v26, 0
	s_and_saveexec_b32 s24, s4
	s_cbranch_execnz .LBB138_15
; %bb.11:                               ;   in Loop: Header=BB138_4 Depth=1
	s_or_b32 exec_lo, exec_lo, s24
	s_and_saveexec_b32 s5, vcc_lo
	s_cbranch_execnz .LBB138_16
.LBB138_12:                             ;   in Loop: Header=BB138_4 Depth=1
	s_wait_alu 0xfffe
	s_or_b32 exec_lo, exec_lo, s5
	s_and_saveexec_b32 s5, s2
	s_cbranch_execnz .LBB138_17
.LBB138_13:                             ;   in Loop: Header=BB138_4 Depth=1
	s_wait_alu 0xfffe
	s_or_b32 exec_lo, exec_lo, s5
	s_and_saveexec_b32 s2, s3
	s_cbranch_execnz .LBB138_18
.LBB138_14:                             ;   in Loop: Header=BB138_4 Depth=1
	s_wait_alu 0xfffe
	s_or_b32 exec_lo, exec_lo, s2
	s_and_saveexec_b32 s2, s4
	s_cbranch_execz .LBB138_3
	s_branch .LBB138_19
.LBB138_15:                             ;   in Loop: Header=BB138_4 Depth=1
	v_add_co_u32 v26, s5, v5, s10
	s_wait_alu 0xf1ff
	v_add_co_ci_u32_e64 v27, null, s11, v6, s5
	global_load_u16 v26, v[26:27], off
	s_or_b32 exec_lo, exec_lo, s24
	s_and_saveexec_b32 s5, vcc_lo
	s_cbranch_execz .LBB138_12
.LBB138_16:                             ;   in Loop: Header=BB138_4 Depth=1
	v_add_co_u32 v27, vcc_lo, v3, s10
	s_wait_loadcnt 0x0
	v_max_i16 v24, v24, s22
	s_wait_alu 0xfffd
	v_add_co_ci_u32_e64 v28, null, s11, v4, vcc_lo
	global_store_b16 v[27:28], v24, off
	s_wait_alu 0xfffe
	s_or_b32 exec_lo, exec_lo, s5
	s_and_saveexec_b32 s5, s2
	s_cbranch_execz .LBB138_13
.LBB138_17:                             ;   in Loop: Header=BB138_4 Depth=1
	s_wait_loadcnt 0x0
	v_add_co_u32 v24, vcc_lo, v21, s10
	v_max_i16 v27, v25, s22
	s_wait_alu 0xfffd
	v_add_co_ci_u32_e64 v25, null, s11, v22, vcc_lo
	global_store_b16 v[24:25], v27, off
	s_wait_alu 0xfffe
	s_or_b32 exec_lo, exec_lo, s5
	s_and_saveexec_b32 s2, s3
	s_cbranch_execz .LBB138_14
.LBB138_18:                             ;   in Loop: Header=BB138_4 Depth=1
	s_wait_loadcnt 0x0
	v_max_i16 v25, v23, s22
	v_add_co_u32 v23, vcc_lo, v14, s10
	s_wait_alu 0xfffd
	v_add_co_ci_u32_e64 v24, null, s11, v15, vcc_lo
	global_store_b16 v[23:24], v25, off
	s_wait_alu 0xfffe
	s_or_b32 exec_lo, exec_lo, s2
	s_and_saveexec_b32 s2, s4
	s_cbranch_execz .LBB138_3
.LBB138_19:                             ;   in Loop: Header=BB138_4 Depth=1
	s_wait_loadcnt 0x0
	v_add_co_u32 v23, vcc_lo, v7, s10
	v_max_i16 v25, v26, s22
	s_wait_alu 0xfffd
	v_add_co_ci_u32_e64 v24, null, s11, v8, vcc_lo
	global_store_b16 v[23:24], v25, off
	s_branch .LBB138_3
.LBB138_20:
	s_mov_b32 s2, 0
.LBB138_21:
	s_wait_alu 0xfffe
	s_and_not1_b32 vcc_lo, exec_lo, s2
	s_wait_alu 0xfffe
	s_cbranch_vccnz .LBB138_25
; %bb.22:
	v_cmp_gt_i64_e64 s2, 0x10000, s[12:13]
	v_dual_mov_b32 v2, 0 :: v_dual_lshlrev_b32 v1, 2, v0
	s_mov_b32 s4, 0
	s_mov_b32 s5, exec_lo
	s_and_b32 s2, s2, exec_lo
	s_cselect_b32 s3, s13, 0
	s_cselect_b32 s2, s12, 0x10000
	s_wait_alu 0xfffe
	v_cmpx_gt_i64_e64 s[2:3], v[1:2]
	s_cbranch_execz .LBB138_25
; %bb.23:
	s_load_b32 s0, s[0:1], 0xc5c
	v_lshlrev_b32_e32 v3, 3, v0
	v_mov_b32_e32 v1, v2
	s_pack_ll_b32_b16 s5, s22, s22
	s_delay_alu instid0(VALU_DEP_2) | instskip(NEXT) | instid1(VALU_DEP_1)
	v_add_co_u32 v2, s1, s10, v3
	v_add_co_ci_u32_e64 v3, null, s11, 0, s1
	s_wait_kmcnt 0x0
	s_and_b32 s1, s0, 0xffff
	s_wait_alu 0xfffe
	s_lshl_b32 s10, s1, 3
.LBB138_24:                             ; =>This Inner Loop Header: Depth=1
	v_add_co_u32 v4, vcc_lo, s6, v2
	s_wait_alu 0xfffd
	v_add_co_ci_u32_e64 v5, null, s7, v3, vcc_lo
	v_add_co_u32 v0, vcc_lo, v0, s1
	s_wait_alu 0xfffd
	v_add_co_ci_u32_e64 v1, null, 0, v1, vcc_lo
	global_load_b64 v[4:5], v[4:5], off
	v_add_co_u32 v6, vcc_lo, s8, v2
	v_lshlrev_b64_e32 v[8:9], 2, v[0:1]
	s_wait_alu 0xfffd
	v_add_co_ci_u32_e64 v7, null, s9, v3, vcc_lo
	s_wait_alu 0xfffe
	v_add_co_u32 v2, vcc_lo, v2, s10
	s_wait_alu 0xfffd
	v_add_co_ci_u32_e64 v3, null, 0, v3, vcc_lo
	v_cmp_le_i64_e64 s0, s[2:3], v[8:9]
	s_or_b32 s4, s0, s4
	s_wait_loadcnt 0x0
	v_bfi_b32 v4, 0xffff, v4, v4
	v_pk_max_i16 v5, v5, s5
	s_delay_alu instid0(VALU_DEP_2)
	v_pk_max_i16 v4, v4, s5
	global_store_b64 v[6:7], v[4:5], off
	s_wait_alu 0xfffe
	s_and_not1_b32 exec_lo, exec_lo, s4
	s_cbranch_execnz .LBB138_24
.LBB138_25:
	s_endpgm
	.section	.rodata,"a",@progbits
	.p2align	6, 0x0
	.amdhsa_kernel _ZN2at6native12_GLOBAL__N_125multi_tensor_apply_kernelINS1_18TensorListMetadataILi2EEENS1_21BinaryOpScalarFunctorIsLi2ELi1ELi1EEEJNS0_7maximumIsEEsEEEvT_T0_DpT1_
		.amdhsa_group_segment_fixed_size 0
		.amdhsa_private_segment_fixed_size 0
		.amdhsa_kernarg_size 3408
		.amdhsa_user_sgpr_count 2
		.amdhsa_user_sgpr_dispatch_ptr 0
		.amdhsa_user_sgpr_queue_ptr 0
		.amdhsa_user_sgpr_kernarg_segment_ptr 1
		.amdhsa_user_sgpr_dispatch_id 0
		.amdhsa_user_sgpr_private_segment_size 0
		.amdhsa_wavefront_size32 1
		.amdhsa_uses_dynamic_stack 0
		.amdhsa_enable_private_segment 0
		.amdhsa_system_sgpr_workgroup_id_x 1
		.amdhsa_system_sgpr_workgroup_id_y 0
		.amdhsa_system_sgpr_workgroup_id_z 0
		.amdhsa_system_sgpr_workgroup_info 0
		.amdhsa_system_vgpr_workitem_id 0
		.amdhsa_next_free_vgpr 29
		.amdhsa_next_free_sgpr 25
		.amdhsa_reserve_vcc 1
		.amdhsa_float_round_mode_32 0
		.amdhsa_float_round_mode_16_64 0
		.amdhsa_float_denorm_mode_32 3
		.amdhsa_float_denorm_mode_16_64 3
		.amdhsa_fp16_overflow 0
		.amdhsa_workgroup_processor_mode 1
		.amdhsa_memory_ordered 1
		.amdhsa_forward_progress 1
		.amdhsa_inst_pref_size 14
		.amdhsa_round_robin_scheduling 0
		.amdhsa_exception_fp_ieee_invalid_op 0
		.amdhsa_exception_fp_denorm_src 0
		.amdhsa_exception_fp_ieee_div_zero 0
		.amdhsa_exception_fp_ieee_overflow 0
		.amdhsa_exception_fp_ieee_underflow 0
		.amdhsa_exception_fp_ieee_inexact 0
		.amdhsa_exception_int_div_zero 0
	.end_amdhsa_kernel
	.section	.text._ZN2at6native12_GLOBAL__N_125multi_tensor_apply_kernelINS1_18TensorListMetadataILi2EEENS1_21BinaryOpScalarFunctorIsLi2ELi1ELi1EEEJNS0_7maximumIsEEsEEEvT_T0_DpT1_,"axG",@progbits,_ZN2at6native12_GLOBAL__N_125multi_tensor_apply_kernelINS1_18TensorListMetadataILi2EEENS1_21BinaryOpScalarFunctorIsLi2ELi1ELi1EEEJNS0_7maximumIsEEsEEEvT_T0_DpT1_,comdat
.Lfunc_end138:
	.size	_ZN2at6native12_GLOBAL__N_125multi_tensor_apply_kernelINS1_18TensorListMetadataILi2EEENS1_21BinaryOpScalarFunctorIsLi2ELi1ELi1EEEJNS0_7maximumIsEEsEEEvT_T0_DpT1_, .Lfunc_end138-_ZN2at6native12_GLOBAL__N_125multi_tensor_apply_kernelINS1_18TensorListMetadataILi2EEENS1_21BinaryOpScalarFunctorIsLi2ELi1ELi1EEEJNS0_7maximumIsEEsEEEvT_T0_DpT1_
                                        ; -- End function
	.set _ZN2at6native12_GLOBAL__N_125multi_tensor_apply_kernelINS1_18TensorListMetadataILi2EEENS1_21BinaryOpScalarFunctorIsLi2ELi1ELi1EEEJNS0_7maximumIsEEsEEEvT_T0_DpT1_.num_vgpr, 29
	.set _ZN2at6native12_GLOBAL__N_125multi_tensor_apply_kernelINS1_18TensorListMetadataILi2EEENS1_21BinaryOpScalarFunctorIsLi2ELi1ELi1EEEJNS0_7maximumIsEEsEEEvT_T0_DpT1_.num_agpr, 0
	.set _ZN2at6native12_GLOBAL__N_125multi_tensor_apply_kernelINS1_18TensorListMetadataILi2EEENS1_21BinaryOpScalarFunctorIsLi2ELi1ELi1EEEJNS0_7maximumIsEEsEEEvT_T0_DpT1_.numbered_sgpr, 25
	.set _ZN2at6native12_GLOBAL__N_125multi_tensor_apply_kernelINS1_18TensorListMetadataILi2EEENS1_21BinaryOpScalarFunctorIsLi2ELi1ELi1EEEJNS0_7maximumIsEEsEEEvT_T0_DpT1_.num_named_barrier, 0
	.set _ZN2at6native12_GLOBAL__N_125multi_tensor_apply_kernelINS1_18TensorListMetadataILi2EEENS1_21BinaryOpScalarFunctorIsLi2ELi1ELi1EEEJNS0_7maximumIsEEsEEEvT_T0_DpT1_.private_seg_size, 0
	.set _ZN2at6native12_GLOBAL__N_125multi_tensor_apply_kernelINS1_18TensorListMetadataILi2EEENS1_21BinaryOpScalarFunctorIsLi2ELi1ELi1EEEJNS0_7maximumIsEEsEEEvT_T0_DpT1_.uses_vcc, 1
	.set _ZN2at6native12_GLOBAL__N_125multi_tensor_apply_kernelINS1_18TensorListMetadataILi2EEENS1_21BinaryOpScalarFunctorIsLi2ELi1ELi1EEEJNS0_7maximumIsEEsEEEvT_T0_DpT1_.uses_flat_scratch, 0
	.set _ZN2at6native12_GLOBAL__N_125multi_tensor_apply_kernelINS1_18TensorListMetadataILi2EEENS1_21BinaryOpScalarFunctorIsLi2ELi1ELi1EEEJNS0_7maximumIsEEsEEEvT_T0_DpT1_.has_dyn_sized_stack, 0
	.set _ZN2at6native12_GLOBAL__N_125multi_tensor_apply_kernelINS1_18TensorListMetadataILi2EEENS1_21BinaryOpScalarFunctorIsLi2ELi1ELi1EEEJNS0_7maximumIsEEsEEEvT_T0_DpT1_.has_recursion, 0
	.set _ZN2at6native12_GLOBAL__N_125multi_tensor_apply_kernelINS1_18TensorListMetadataILi2EEENS1_21BinaryOpScalarFunctorIsLi2ELi1ELi1EEEJNS0_7maximumIsEEsEEEvT_T0_DpT1_.has_indirect_call, 0
	.section	.AMDGPU.csdata,"",@progbits
; Kernel info:
; codeLenInByte = 1676
; TotalNumSgprs: 27
; NumVgprs: 29
; ScratchSize: 0
; MemoryBound: 0
; FloatMode: 240
; IeeeMode: 1
; LDSByteSize: 0 bytes/workgroup (compile time only)
; SGPRBlocks: 0
; VGPRBlocks: 3
; NumSGPRsForWavesPerEU: 27
; NumVGPRsForWavesPerEU: 29
; Occupancy: 16
; WaveLimiterHint : 0
; COMPUTE_PGM_RSRC2:SCRATCH_EN: 0
; COMPUTE_PGM_RSRC2:USER_SGPR: 2
; COMPUTE_PGM_RSRC2:TRAP_HANDLER: 0
; COMPUTE_PGM_RSRC2:TGID_X_EN: 1
; COMPUTE_PGM_RSRC2:TGID_Y_EN: 0
; COMPUTE_PGM_RSRC2:TGID_Z_EN: 0
; COMPUTE_PGM_RSRC2:TIDIG_COMP_CNT: 0
	.section	.text._ZN2at6native12_GLOBAL__N_125multi_tensor_apply_kernelINS1_18TensorListMetadataILi2EEENS1_21BinaryOpScalarFunctorIdLi2ELi1ELi1EEEJNS0_7maximumIdEEdEEEvT_T0_DpT1_,"axG",@progbits,_ZN2at6native12_GLOBAL__N_125multi_tensor_apply_kernelINS1_18TensorListMetadataILi2EEENS1_21BinaryOpScalarFunctorIdLi2ELi1ELi1EEEJNS0_7maximumIdEEdEEEvT_T0_DpT1_,comdat
	.globl	_ZN2at6native12_GLOBAL__N_125multi_tensor_apply_kernelINS1_18TensorListMetadataILi2EEENS1_21BinaryOpScalarFunctorIdLi2ELi1ELi1EEEJNS0_7maximumIdEEdEEEvT_T0_DpT1_ ; -- Begin function _ZN2at6native12_GLOBAL__N_125multi_tensor_apply_kernelINS1_18TensorListMetadataILi2EEENS1_21BinaryOpScalarFunctorIdLi2ELi1ELi1EEEJNS0_7maximumIdEEdEEEvT_T0_DpT1_
	.p2align	8
	.type	_ZN2at6native12_GLOBAL__N_125multi_tensor_apply_kernelINS1_18TensorListMetadataILi2EEENS1_21BinaryOpScalarFunctorIdLi2ELi1ELi1EEEJNS0_7maximumIdEEdEEEvT_T0_DpT1_,@function
_ZN2at6native12_GLOBAL__N_125multi_tensor_apply_kernelINS1_18TensorListMetadataILi2EEENS1_21BinaryOpScalarFunctorIdLi2ELi1ELi1EEEJNS0_7maximumIdEEdEEEvT_T0_DpT1_: ; @_ZN2at6native12_GLOBAL__N_125multi_tensor_apply_kernelINS1_18TensorListMetadataILi2EEENS1_21BinaryOpScalarFunctorIdLi2ELi1ELi1EEEJNS0_7maximumIdEEdEEEvT_T0_DpT1_
; %bb.0:
	s_load_u8 s8, s[0:1], ttmp9 offset:0x600
	s_mov_b32 s2, ttmp9
	s_mov_b32 s3, 0
	s_delay_alu instid0(SALU_CYCLE_1)
	s_mul_u64 s[4:5], s[2:3], 3
	s_add_nc_u64 s[6:7], s[0:1], s[2:3]
	s_mov_b32 s17, s3
	s_add_nc_u64 s[4:5], s[6:7], s[4:5]
	s_mov_b32 s19, s3
	s_load_b32 s4, s[4:5], 0x740
	s_wait_kmcnt 0x0
	s_lshl_b32 s2, s8, 3
	s_clause 0x3
	s_load_b64 s[10:11], s[0:1], s2 offset:0x0
	s_load_b64 s[12:13], s[0:1], s2 offset:0x200
	;; [unrolled: 1-line block ×3, first 2 shown]
	s_load_b64 s[14:15], s[0:1], 0xc50
	s_ashr_i32 s5, s4, 31
	s_delay_alu instid0(SALU_CYCLE_1)
	s_lshl_b64 s[6:7], s[4:5], 19
	s_lshl_b64 s[4:5], s[4:5], 16
	s_wait_kmcnt 0x0
	s_add_nc_u64 s[20:21], s[10:11], s[6:7]
	s_and_b32 s16, s12, 31
	s_and_b32 s18, s8, 3
	;; [unrolled: 1-line block ×3, first 2 shown]
	s_or_b64 s[16:17], s[16:17], s[18:19]
	s_sub_nc_u64 s[8:9], s[8:9], s[4:5]
	s_or_b64 s[2:3], s[16:17], s[2:3]
	s_delay_alu instid0(SALU_CYCLE_1)
	s_cmp_eq_u64 s[2:3], 0
	s_mov_b32 s2, -1
	s_cbranch_scc1 .LBB139_21
; %bb.1:
	v_cmp_lt_i64_e64 s2, s[8:9], 1
	s_and_b32 vcc_lo, exec_lo, s2
	s_cbranch_vccnz .LBB139_20
; %bb.2:
	s_load_b32 s2, s[0:1], 0xc64
	v_cmp_gt_i64_e64 s3, 0x10000, s[8:9]
	v_dual_mov_b32 v2, 0 :: v_dual_lshlrev_b32 v1, 3, v0
	v_cmp_gt_u64_e64 s4, 0x10000, s[8:9]
	s_mov_b32 s17, 0
	s_mov_b64 s[22:23], 0
	s_and_b32 s3, s3, exec_lo
	s_cselect_b32 s19, s9, 0
	s_cselect_b32 s18, s8, 0x10000
	v_add_co_u32 v11, s3, s12, v1
	v_add_co_u32 v9, s5, s10, v1
	v_add_co_ci_u32_e64 v12, null, s13, 0, s3
	v_add_co_ci_u32_e64 v10, null, s11, 0, s5
	s_wait_kmcnt 0x0
	s_and_b32 s2, s2, 0xffff
	s_and_b32 s3, s4, exec_lo
	s_wait_alu 0xfffe
	v_mad_co_u64_u32 v[2:3], null, s2, 24, v[1:2]
	s_cselect_b32 s21, s9, 0
	s_cselect_b32 s20, s8, 0x10000
	s_mul_i32 s4, s2, 3
	s_lshl_b32 s5, s2, 4
	s_wait_alu 0xfffe
	v_add_co_u32 v17, s4, s4, v0
	v_add_co_u32 v13, vcc_lo, s10, v2
	v_add_co_u32 v1, s5, s5, v1
	v_add_co_ci_u32_e64 v14, null, s11, v3, vcc_lo
	v_add_co_u32 v15, vcc_lo, s12, v2
	s_wait_alu 0xf1ff
	v_add_co_ci_u32_e64 v2, null, 0, 0, s5
	v_add_co_ci_u32_e64 v18, null, 0, 0, s4
	v_add_co_u32 v21, s4, v0, s2
	s_wait_alu 0xfffd
	v_add_co_ci_u32_e64 v16, null, s13, v3, vcc_lo
	v_add_co_u32 v19, vcc_lo, s10, v1
	s_wait_alu 0xfffd
	v_add_co_ci_u32_e64 v20, null, s11, v2, vcc_lo
	v_add_co_u32 v22, vcc_lo, s12, v1
	v_lshlrev_b32_e32 v1, 3, v21
	s_lshl_b32 s3, s2, 1
	s_wait_alu 0xfffd
	v_add_co_ci_u32_e64 v23, null, s13, v2, vcc_lo
	s_wait_alu 0xfffe
	v_add_co_u32 v25, s3, s3, v0
	s_wait_alu 0xf1ff
	v_add_co_ci_u32_e64 v26, null, 0, 0, s3
	v_add_co_u32 v27, s3, s10, v1
	s_wait_alu 0xf1ff
	v_add_co_ci_u32_e64 v28, null, s11, 0, s3
	v_add_co_u32 v29, s3, s12, v1
	v_add_co_ci_u32_e64 v24, null, 0, 0, s4
	s_wait_alu 0xf1ff
	v_add_co_ci_u32_e64 v30, null, s13, 0, s3
	s_lshl_b32 s16, s2, 2
	s_lshl_b32 s24, s2, 5
	s_branch .LBB139_4
.LBB139_3:                              ;   in Loop: Header=BB139_4 Depth=1
	s_wait_alu 0xfffe
	s_or_b32 exec_lo, exec_lo, s3
	v_add_co_u32 v9, vcc_lo, v9, s24
	s_wait_alu 0xfffd
	v_add_co_ci_u32_e64 v10, null, 0, v10, vcc_lo
	v_add_co_u32 v11, vcc_lo, v11, s24
	s_wait_alu 0xfffd
	v_add_co_ci_u32_e64 v12, null, 0, v12, vcc_lo
	;; [unrolled: 3-line block ×5, first 2 shown]
	v_add_co_u32 v22, vcc_lo, v22, s24
	s_add_nc_u64 s[22:23], s[22:23], s[16:17]
	s_wait_alu 0xfffd
	v_add_co_ci_u32_e64 v23, null, 0, v23, vcc_lo
	v_add_co_u32 v27, vcc_lo, v27, s24
	s_wait_alu 0xfffe
	v_cmp_lt_i64_e64 s2, s[22:23], s[18:19]
	s_wait_alu 0xfffd
	v_add_co_ci_u32_e64 v28, null, 0, v28, vcc_lo
	v_add_co_u32 v29, vcc_lo, v29, s24
	s_wait_alu 0xfffd
	v_add_co_ci_u32_e64 v30, null, 0, v30, vcc_lo
	s_and_b32 vcc_lo, exec_lo, s2
	s_wait_alu 0xfffe
	s_cbranch_vccz .LBB139_20
.LBB139_4:                              ; =>This Inner Loop Header: Depth=1
	s_wait_loadcnt 0x0
	v_add_co_u32 v3, s2, v0, s22
	s_wait_alu 0xf1ff
	v_add_co_ci_u32_e64 v4, null, 0, s23, s2
	v_mov_b32_e32 v1, 0
	v_dual_mov_b32 v2, 0 :: v_dual_mov_b32 v5, 0
	s_delay_alu instid0(VALU_DEP_3)
	v_cmp_gt_u64_e32 vcc_lo, s[20:21], v[3:4]
	v_mov_b32_e32 v6, 0
	s_and_saveexec_b32 s3, vcc_lo
	s_cbranch_execz .LBB139_6
; %bb.5:                                ;   in Loop: Header=BB139_4 Depth=1
	v_add_co_u32 v3, s2, v9, s6
	s_wait_alu 0xf1ff
	v_add_co_ci_u32_e64 v4, null, s7, v10, s2
	global_load_b64 v[5:6], v[3:4], off
.LBB139_6:                              ;   in Loop: Header=BB139_4 Depth=1
	s_wait_alu 0xfffe
	s_or_b32 exec_lo, exec_lo, s3
	v_add_co_u32 v3, s2, v21, s22
	s_wait_alu 0xf1ff
	v_add_co_ci_u32_e64 v4, null, s23, v24, s2
	s_delay_alu instid0(VALU_DEP_1)
	v_cmp_gt_u64_e64 s2, s[20:21], v[3:4]
	s_and_saveexec_b32 s4, s2
	s_cbranch_execz .LBB139_8
; %bb.7:                                ;   in Loop: Header=BB139_4 Depth=1
	v_add_co_u32 v1, s3, v27, s6
	s_wait_alu 0xf1ff
	v_add_co_ci_u32_e64 v2, null, s7, v28, s3
	global_load_b64 v[1:2], v[1:2], off
.LBB139_8:                              ;   in Loop: Header=BB139_4 Depth=1
	s_wait_alu 0xfffe
	s_or_b32 exec_lo, exec_lo, s4
	v_add_co_u32 v7, s3, v25, s22
	s_wait_alu 0xf1ff
	v_add_co_ci_u32_e64 v8, null, s23, v26, s3
	v_mov_b32_e32 v3, 0
	v_mov_b32_e32 v4, 0
	s_delay_alu instid0(VALU_DEP_3)
	v_cmp_gt_u64_e64 s3, s[20:21], v[7:8]
	v_mov_b32_e32 v7, 0
	v_mov_b32_e32 v8, 0
	s_and_saveexec_b32 s5, s3
	s_cbranch_execz .LBB139_10
; %bb.9:                                ;   in Loop: Header=BB139_4 Depth=1
	v_add_co_u32 v7, s4, v19, s6
	s_wait_alu 0xf1ff
	v_add_co_ci_u32_e64 v8, null, s7, v20, s4
	global_load_b64 v[7:8], v[7:8], off
.LBB139_10:                             ;   in Loop: Header=BB139_4 Depth=1
	s_wait_alu 0xfffe
	s_or_b32 exec_lo, exec_lo, s5
	v_add_co_u32 v31, s4, v17, s22
	s_wait_alu 0xf1ff
	v_add_co_ci_u32_e64 v32, null, s23, v18, s4
	s_delay_alu instid0(VALU_DEP_1)
	v_cmp_gt_u64_e64 s4, s[20:21], v[31:32]
	s_and_saveexec_b32 s25, s4
	s_cbranch_execnz .LBB139_15
; %bb.11:                               ;   in Loop: Header=BB139_4 Depth=1
	s_wait_alu 0xfffe
	s_or_b32 exec_lo, exec_lo, s25
	s_and_saveexec_b32 s25, vcc_lo
	s_cbranch_execnz .LBB139_16
.LBB139_12:                             ;   in Loop: Header=BB139_4 Depth=1
	s_wait_alu 0xfffe
	s_or_b32 exec_lo, exec_lo, s25
	s_and_saveexec_b32 s5, s2
	s_cbranch_execnz .LBB139_17
.LBB139_13:                             ;   in Loop: Header=BB139_4 Depth=1
	s_wait_alu 0xfffe
	s_or_b32 exec_lo, exec_lo, s5
	s_and_saveexec_b32 s5, s3
	s_cbranch_execnz .LBB139_18
.LBB139_14:                             ;   in Loop: Header=BB139_4 Depth=1
	s_wait_alu 0xfffe
	s_or_b32 exec_lo, exec_lo, s5
	s_and_saveexec_b32 s3, s4
	s_cbranch_execz .LBB139_3
	s_branch .LBB139_19
.LBB139_15:                             ;   in Loop: Header=BB139_4 Depth=1
	v_add_co_u32 v3, s5, v13, s6
	s_wait_alu 0xf1ff
	v_add_co_ci_u32_e64 v4, null, s7, v14, s5
	global_load_b64 v[3:4], v[3:4], off
	s_wait_alu 0xfffe
	s_or_b32 exec_lo, exec_lo, s25
	s_and_saveexec_b32 s25, vcc_lo
	s_cbranch_execz .LBB139_12
.LBB139_16:                             ;   in Loop: Header=BB139_4 Depth=1
	s_wait_loadcnt 0x0
	v_cmp_u_f64_e32 vcc_lo, v[5:6], v[5:6]
	v_cmp_lt_f64_e64 s5, s[14:15], v[5:6]
	s_or_b32 vcc_lo, vcc_lo, s5
	s_wait_alu 0xfffe
	v_cndmask_b32_e32 v6, s15, v6, vcc_lo
	v_cndmask_b32_e32 v5, s14, v5, vcc_lo
	v_add_co_u32 v31, vcc_lo, v11, s6
	s_wait_alu 0xfffd
	v_add_co_ci_u32_e64 v32, null, s7, v12, vcc_lo
	global_store_b64 v[31:32], v[5:6], off
	s_or_b32 exec_lo, exec_lo, s25
	s_and_saveexec_b32 s5, s2
	s_cbranch_execz .LBB139_13
.LBB139_17:                             ;   in Loop: Header=BB139_4 Depth=1
	s_wait_loadcnt 0x0
	v_cmp_u_f64_e32 vcc_lo, v[1:2], v[1:2]
	v_cmp_lt_f64_e64 s2, s[14:15], v[1:2]
	s_or_b32 vcc_lo, vcc_lo, s2
	s_wait_alu 0xfffe
	v_cndmask_b32_e32 v2, s15, v2, vcc_lo
	v_cndmask_b32_e32 v1, s14, v1, vcc_lo
	v_add_co_u32 v5, vcc_lo, v29, s6
	s_wait_alu 0xfffd
	v_add_co_ci_u32_e64 v6, null, s7, v30, vcc_lo
	global_store_b64 v[5:6], v[1:2], off
	s_or_b32 exec_lo, exec_lo, s5
	s_and_saveexec_b32 s5, s3
	s_cbranch_execz .LBB139_14
.LBB139_18:                             ;   in Loop: Header=BB139_4 Depth=1
	s_wait_loadcnt 0x0
	v_cmp_u_f64_e32 vcc_lo, v[7:8], v[7:8]
	v_cmp_lt_f64_e64 s2, s[14:15], v[7:8]
	s_or_b32 vcc_lo, vcc_lo, s2
	s_wait_alu 0xfffe
	v_cndmask_b32_e32 v2, s15, v8, vcc_lo
	v_cndmask_b32_e32 v1, s14, v7, vcc_lo
	v_add_co_u32 v5, vcc_lo, v22, s6
	s_wait_alu 0xfffd
	v_add_co_ci_u32_e64 v6, null, s7, v23, vcc_lo
	global_store_b64 v[5:6], v[1:2], off
	s_or_b32 exec_lo, exec_lo, s5
	s_and_saveexec_b32 s3, s4
	s_cbranch_execz .LBB139_3
.LBB139_19:                             ;   in Loop: Header=BB139_4 Depth=1
	s_wait_loadcnt 0x0
	v_cmp_u_f64_e32 vcc_lo, v[3:4], v[3:4]
	v_cmp_lt_f64_e64 s2, s[14:15], v[3:4]
	s_or_b32 vcc_lo, vcc_lo, s2
	s_wait_alu 0xfffe
	v_cndmask_b32_e32 v2, s15, v4, vcc_lo
	v_cndmask_b32_e32 v1, s14, v3, vcc_lo
	v_add_co_u32 v3, vcc_lo, v15, s6
	s_wait_alu 0xfffd
	v_add_co_ci_u32_e64 v4, null, s7, v16, vcc_lo
	global_store_b64 v[3:4], v[1:2], off
	s_branch .LBB139_3
.LBB139_20:
	s_mov_b32 s2, 0
.LBB139_21:
	s_wait_alu 0xfffe
	s_and_not1_b32 vcc_lo, exec_lo, s2
	s_wait_alu 0xfffe
	s_cbranch_vccnz .LBB139_25
; %bb.22:
	v_cmp_gt_i64_e64 s2, 0x10000, s[8:9]
	s_wait_loadcnt 0x0
	v_dual_mov_b32 v2, 0 :: v_dual_lshlrev_b32 v1, 2, v0
	s_and_b32 s2, s2, exec_lo
	s_cselect_b32 s17, s9, 0
	s_cselect_b32 s16, s8, 0x10000
	s_mov_b32 s9, 0
	s_mov_b32 s2, exec_lo
	v_cmpx_gt_i64_e64 s[16:17], v[1:2]
	s_cbranch_execz .LBB139_25
; %bb.23:
	s_load_b32 s0, s[0:1], 0xc64
	v_lshlrev_b32_e32 v3, 5, v0
	v_mov_b32_e32 v1, v2
	s_delay_alu instid0(VALU_DEP_2) | instskip(NEXT) | instid1(VALU_DEP_1)
	v_add_co_u32 v2, s1, s6, v3
	v_add_co_ci_u32_e64 v3, null, s7, 0, s1
	s_wait_kmcnt 0x0
	s_and_b32 s18, s0, 0xffff
	s_wait_alu 0xfffe
	s_lshl_b32 s19, s18, 5
.LBB139_24:                             ; =>This Inner Loop Header: Depth=1
	v_add_co_u32 v8, vcc_lo, s10, v2
	s_wait_alu 0xfffd
	v_add_co_ci_u32_e64 v9, null, s11, v3, vcc_lo
	v_add_co_u32 v0, s7, v0, s18
	s_wait_alu 0xf1ff
	v_add_co_ci_u32_e64 v1, null, 0, v1, s7
	s_clause 0x1
	global_load_b128 v[4:7], v[8:9], off
	global_load_b128 v[8:11], v[8:9], off offset:16
	v_add_co_u32 v12, s7, s12, v2
	v_lshlrev_b64_e32 v[14:15], 2, v[0:1]
	s_wait_alu 0xf1ff
	v_add_co_ci_u32_e64 v13, null, s13, v3, s7
	s_wait_alu 0xfffe
	v_add_co_u32 v2, s7, v2, s19
	s_wait_alu 0xf1ff
	v_add_co_ci_u32_e64 v3, null, 0, v3, s7
	v_cmp_le_i64_e64 s8, s[16:17], v[14:15]
	s_wait_loadcnt 0x1
	v_cmp_u_f64_e32 vcc_lo, v[4:5], v[4:5]
	v_cmp_lt_f64_e64 s0, s[14:15], v[4:5]
	v_cmp_u_f64_e64 s1, v[6:7], v[6:7]
	v_cmp_lt_f64_e64 s2, s[14:15], v[6:7]
	s_wait_loadcnt 0x0
	v_cmp_u_f64_e64 s3, v[8:9], v[8:9]
	v_cmp_lt_f64_e64 s4, s[14:15], v[8:9]
	v_cmp_u_f64_e64 s5, v[10:11], v[10:11]
	v_cmp_lt_f64_e64 s6, s[14:15], v[10:11]
	s_or_b32 vcc_lo, vcc_lo, s0
	s_or_b32 s0, s1, s2
	s_wait_alu 0xfffe
	v_cndmask_b32_e32 v5, s15, v5, vcc_lo
	s_or_b32 s1, s3, s4
	v_cndmask_b32_e64 v7, s15, v7, s0
	s_or_b32 s2, s5, s6
	v_cndmask_b32_e32 v4, s14, v4, vcc_lo
	v_cndmask_b32_e64 v6, s14, v6, s0
	s_wait_alu 0xfffe
	v_cndmask_b32_e64 v9, s15, v9, s1
	v_cndmask_b32_e64 v11, s15, v11, s2
	;; [unrolled: 1-line block ×4, first 2 shown]
	s_or_b32 s9, s8, s9
	s_clause 0x1
	global_store_b128 v[12:13], v[4:7], off
	global_store_b128 v[12:13], v[8:11], off offset:16
	s_wait_alu 0xfffe
	s_and_not1_b32 exec_lo, exec_lo, s9
	s_cbranch_execnz .LBB139_24
.LBB139_25:
	s_endpgm
	.section	.rodata,"a",@progbits
	.p2align	6, 0x0
	.amdhsa_kernel _ZN2at6native12_GLOBAL__N_125multi_tensor_apply_kernelINS1_18TensorListMetadataILi2EEENS1_21BinaryOpScalarFunctorIdLi2ELi1ELi1EEEJNS0_7maximumIdEEdEEEvT_T0_DpT1_
		.amdhsa_group_segment_fixed_size 0
		.amdhsa_private_segment_fixed_size 0
		.amdhsa_kernarg_size 3416
		.amdhsa_user_sgpr_count 2
		.amdhsa_user_sgpr_dispatch_ptr 0
		.amdhsa_user_sgpr_queue_ptr 0
		.amdhsa_user_sgpr_kernarg_segment_ptr 1
		.amdhsa_user_sgpr_dispatch_id 0
		.amdhsa_user_sgpr_private_segment_size 0
		.amdhsa_wavefront_size32 1
		.amdhsa_uses_dynamic_stack 0
		.amdhsa_enable_private_segment 0
		.amdhsa_system_sgpr_workgroup_id_x 1
		.amdhsa_system_sgpr_workgroup_id_y 0
		.amdhsa_system_sgpr_workgroup_id_z 0
		.amdhsa_system_sgpr_workgroup_info 0
		.amdhsa_system_vgpr_workitem_id 0
		.amdhsa_next_free_vgpr 33
		.amdhsa_next_free_sgpr 26
		.amdhsa_reserve_vcc 1
		.amdhsa_float_round_mode_32 0
		.amdhsa_float_round_mode_16_64 0
		.amdhsa_float_denorm_mode_32 3
		.amdhsa_float_denorm_mode_16_64 3
		.amdhsa_fp16_overflow 0
		.amdhsa_workgroup_processor_mode 1
		.amdhsa_memory_ordered 1
		.amdhsa_forward_progress 1
		.amdhsa_inst_pref_size 15
		.amdhsa_round_robin_scheduling 0
		.amdhsa_exception_fp_ieee_invalid_op 0
		.amdhsa_exception_fp_denorm_src 0
		.amdhsa_exception_fp_ieee_div_zero 0
		.amdhsa_exception_fp_ieee_overflow 0
		.amdhsa_exception_fp_ieee_underflow 0
		.amdhsa_exception_fp_ieee_inexact 0
		.amdhsa_exception_int_div_zero 0
	.end_amdhsa_kernel
	.section	.text._ZN2at6native12_GLOBAL__N_125multi_tensor_apply_kernelINS1_18TensorListMetadataILi2EEENS1_21BinaryOpScalarFunctorIdLi2ELi1ELi1EEEJNS0_7maximumIdEEdEEEvT_T0_DpT1_,"axG",@progbits,_ZN2at6native12_GLOBAL__N_125multi_tensor_apply_kernelINS1_18TensorListMetadataILi2EEENS1_21BinaryOpScalarFunctorIdLi2ELi1ELi1EEEJNS0_7maximumIdEEdEEEvT_T0_DpT1_,comdat
.Lfunc_end139:
	.size	_ZN2at6native12_GLOBAL__N_125multi_tensor_apply_kernelINS1_18TensorListMetadataILi2EEENS1_21BinaryOpScalarFunctorIdLi2ELi1ELi1EEEJNS0_7maximumIdEEdEEEvT_T0_DpT1_, .Lfunc_end139-_ZN2at6native12_GLOBAL__N_125multi_tensor_apply_kernelINS1_18TensorListMetadataILi2EEENS1_21BinaryOpScalarFunctorIdLi2ELi1ELi1EEEJNS0_7maximumIdEEdEEEvT_T0_DpT1_
                                        ; -- End function
	.set _ZN2at6native12_GLOBAL__N_125multi_tensor_apply_kernelINS1_18TensorListMetadataILi2EEENS1_21BinaryOpScalarFunctorIdLi2ELi1ELi1EEEJNS0_7maximumIdEEdEEEvT_T0_DpT1_.num_vgpr, 33
	.set _ZN2at6native12_GLOBAL__N_125multi_tensor_apply_kernelINS1_18TensorListMetadataILi2EEENS1_21BinaryOpScalarFunctorIdLi2ELi1ELi1EEEJNS0_7maximumIdEEdEEEvT_T0_DpT1_.num_agpr, 0
	.set _ZN2at6native12_GLOBAL__N_125multi_tensor_apply_kernelINS1_18TensorListMetadataILi2EEENS1_21BinaryOpScalarFunctorIdLi2ELi1ELi1EEEJNS0_7maximumIdEEdEEEvT_T0_DpT1_.numbered_sgpr, 26
	.set _ZN2at6native12_GLOBAL__N_125multi_tensor_apply_kernelINS1_18TensorListMetadataILi2EEENS1_21BinaryOpScalarFunctorIdLi2ELi1ELi1EEEJNS0_7maximumIdEEdEEEvT_T0_DpT1_.num_named_barrier, 0
	.set _ZN2at6native12_GLOBAL__N_125multi_tensor_apply_kernelINS1_18TensorListMetadataILi2EEENS1_21BinaryOpScalarFunctorIdLi2ELi1ELi1EEEJNS0_7maximumIdEEdEEEvT_T0_DpT1_.private_seg_size, 0
	.set _ZN2at6native12_GLOBAL__N_125multi_tensor_apply_kernelINS1_18TensorListMetadataILi2EEENS1_21BinaryOpScalarFunctorIdLi2ELi1ELi1EEEJNS0_7maximumIdEEdEEEvT_T0_DpT1_.uses_vcc, 1
	.set _ZN2at6native12_GLOBAL__N_125multi_tensor_apply_kernelINS1_18TensorListMetadataILi2EEENS1_21BinaryOpScalarFunctorIdLi2ELi1ELi1EEEJNS0_7maximumIdEEdEEEvT_T0_DpT1_.uses_flat_scratch, 0
	.set _ZN2at6native12_GLOBAL__N_125multi_tensor_apply_kernelINS1_18TensorListMetadataILi2EEENS1_21BinaryOpScalarFunctorIdLi2ELi1ELi1EEEJNS0_7maximumIdEEdEEEvT_T0_DpT1_.has_dyn_sized_stack, 0
	.set _ZN2at6native12_GLOBAL__N_125multi_tensor_apply_kernelINS1_18TensorListMetadataILi2EEENS1_21BinaryOpScalarFunctorIdLi2ELi1ELi1EEEJNS0_7maximumIdEEdEEEvT_T0_DpT1_.has_recursion, 0
	.set _ZN2at6native12_GLOBAL__N_125multi_tensor_apply_kernelINS1_18TensorListMetadataILi2EEENS1_21BinaryOpScalarFunctorIdLi2ELi1ELi1EEEJNS0_7maximumIdEEdEEEvT_T0_DpT1_.has_indirect_call, 0
	.section	.AMDGPU.csdata,"",@progbits
; Kernel info:
; codeLenInByte = 1908
; TotalNumSgprs: 28
; NumVgprs: 33
; ScratchSize: 0
; MemoryBound: 0
; FloatMode: 240
; IeeeMode: 1
; LDSByteSize: 0 bytes/workgroup (compile time only)
; SGPRBlocks: 0
; VGPRBlocks: 4
; NumSGPRsForWavesPerEU: 28
; NumVGPRsForWavesPerEU: 33
; Occupancy: 16
; WaveLimiterHint : 0
; COMPUTE_PGM_RSRC2:SCRATCH_EN: 0
; COMPUTE_PGM_RSRC2:USER_SGPR: 2
; COMPUTE_PGM_RSRC2:TRAP_HANDLER: 0
; COMPUTE_PGM_RSRC2:TGID_X_EN: 1
; COMPUTE_PGM_RSRC2:TGID_Y_EN: 0
; COMPUTE_PGM_RSRC2:TGID_Z_EN: 0
; COMPUTE_PGM_RSRC2:TIDIG_COMP_CNT: 0
	.section	.text._ZN2at6native12_GLOBAL__N_125multi_tensor_apply_kernelINS1_18TensorListMetadataILi2EEENS1_21BinaryOpScalarFunctorIfLi2ELi1ELi1EEEJNS0_7maximumIfEEfEEEvT_T0_DpT1_,"axG",@progbits,_ZN2at6native12_GLOBAL__N_125multi_tensor_apply_kernelINS1_18TensorListMetadataILi2EEENS1_21BinaryOpScalarFunctorIfLi2ELi1ELi1EEEJNS0_7maximumIfEEfEEEvT_T0_DpT1_,comdat
	.globl	_ZN2at6native12_GLOBAL__N_125multi_tensor_apply_kernelINS1_18TensorListMetadataILi2EEENS1_21BinaryOpScalarFunctorIfLi2ELi1ELi1EEEJNS0_7maximumIfEEfEEEvT_T0_DpT1_ ; -- Begin function _ZN2at6native12_GLOBAL__N_125multi_tensor_apply_kernelINS1_18TensorListMetadataILi2EEENS1_21BinaryOpScalarFunctorIfLi2ELi1ELi1EEEJNS0_7maximumIfEEfEEEvT_T0_DpT1_
	.p2align	8
	.type	_ZN2at6native12_GLOBAL__N_125multi_tensor_apply_kernelINS1_18TensorListMetadataILi2EEENS1_21BinaryOpScalarFunctorIfLi2ELi1ELi1EEEJNS0_7maximumIfEEfEEEvT_T0_DpT1_,@function
_ZN2at6native12_GLOBAL__N_125multi_tensor_apply_kernelINS1_18TensorListMetadataILi2EEENS1_21BinaryOpScalarFunctorIfLi2ELi1ELi1EEEJNS0_7maximumIfEEfEEEvT_T0_DpT1_: ; @_ZN2at6native12_GLOBAL__N_125multi_tensor_apply_kernelINS1_18TensorListMetadataILi2EEENS1_21BinaryOpScalarFunctorIfLi2ELi1ELi1EEEJNS0_7maximumIfEEfEEEvT_T0_DpT1_
; %bb.0:
	s_load_u8 s8, s[0:1], ttmp9 offset:0x600
	s_mov_b32 s2, ttmp9
	s_mov_b32 s3, 0
	s_delay_alu instid0(SALU_CYCLE_1)
	s_mul_u64 s[4:5], s[2:3], 3
	s_add_nc_u64 s[6:7], s[0:1], s[2:3]
	s_mov_b32 s15, s3
	s_add_nc_u64 s[4:5], s[6:7], s[4:5]
	s_mov_b32 s17, s3
	s_load_b32 s4, s[4:5], 0x740
	s_wait_kmcnt 0x0
	s_lshl_b32 s2, s8, 3
	s_clause 0x3
	s_load_b64 s[10:11], s[0:1], s2 offset:0x0
	s_load_b64 s[12:13], s[0:1], s2 offset:0x200
	;; [unrolled: 1-line block ×3, first 2 shown]
	s_load_b32 s22, s[0:1], 0xc4c
	s_ashr_i32 s5, s4, 31
	s_delay_alu instid0(SALU_CYCLE_1)
	s_lshl_b64 s[6:7], s[4:5], 18
	s_lshl_b64 s[4:5], s[4:5], 16
	s_wait_kmcnt 0x0
	s_add_nc_u64 s[18:19], s[10:11], s[6:7]
	s_and_b32 s14, s12, 15
	s_and_b32 s16, s8, 3
	;; [unrolled: 1-line block ×3, first 2 shown]
	s_or_b64 s[14:15], s[14:15], s[16:17]
	s_sub_nc_u64 s[8:9], s[8:9], s[4:5]
	s_or_b64 s[2:3], s[14:15], s[2:3]
	s_delay_alu instid0(SALU_CYCLE_1)
	s_cmp_eq_u64 s[2:3], 0
	s_mov_b32 s2, -1
	s_cbranch_scc1 .LBB140_21
; %bb.1:
	v_cmp_lt_i64_e64 s2, s[8:9], 1
	s_and_b32 vcc_lo, exec_lo, s2
	s_cbranch_vccnz .LBB140_20
; %bb.2:
	s_load_b32 s2, s[0:1], 0xc5c
	v_cmp_gt_i64_e64 s3, 0x10000, s[8:9]
	v_dual_mov_b32 v10, 0 :: v_dual_lshlrev_b32 v9, 2, v0
	v_cmp_gt_u64_e64 s4, 0x10000, s[8:9]
	s_mov_b32 s15, 0
	s_mov_b64 s[20:21], 0
	s_and_b32 s3, s3, exec_lo
	v_add_co_u32 v3, s3, s12, v9
	v_add_co_u32 v1, s5, s10, v9
	s_cselect_b32 s17, s9, 0
	s_cselect_b32 s16, s8, 0x10000
	v_add_co_ci_u32_e64 v4, null, s13, 0, s3
	v_add_co_ci_u32_e64 v2, null, s11, 0, s5
	s_wait_kmcnt 0x0
	s_and_b32 s2, s2, 0xffff
	s_and_b32 s3, s4, exec_lo
	s_cselect_b32 s19, s9, 0
	s_cselect_b32 s18, s8, 0x10000
	s_wait_alu 0xfffe
	s_mul_i32 s4, s2, 3
	s_lshl_b32 s5, s2, 3
	v_mad_co_u64_u32 v[7:8], null, s2, 12, v[9:10]
	s_wait_alu 0xfffe
	v_add_co_u32 v14, s5, s5, v9
	v_add_co_u32 v9, s4, s4, v0
	s_wait_alu 0xf1ff
	v_add_co_ci_u32_e64 v10, null, 0, 0, s4
	v_add_co_u32 v13, s4, v0, s2
	s_lshl_b32 s3, s2, 1
	v_add_co_u32 v5, vcc_lo, s10, v7
	v_lshlrev_b32_e32 v21, 2, v13
	v_add_co_ci_u32_e64 v15, null, 0, 0, s5
	v_add_co_ci_u32_e64 v6, null, s11, v8, vcc_lo
	v_add_co_u32 v7, vcc_lo, s12, v7
	s_wait_alu 0xfffe
	v_add_co_u32 v17, s3, s3, v0
	s_wait_alu 0xfffd
	v_add_co_ci_u32_e64 v8, null, s13, v8, vcc_lo
	v_add_co_u32 v11, vcc_lo, s10, v14
	s_wait_alu 0xf1ff
	v_add_co_ci_u32_e64 v18, null, 0, 0, s3
	v_add_co_u32 v19, s3, s10, v21
	s_wait_alu 0xfffd
	v_add_co_ci_u32_e64 v12, null, s11, v15, vcc_lo
	v_add_co_u32 v14, vcc_lo, s12, v14
	s_wait_alu 0xf1ff
	v_add_co_ci_u32_e64 v20, null, s11, 0, s3
	v_add_co_u32 v21, s3, s12, v21
	s_wait_alu 0xfffd
	v_add_co_ci_u32_e64 v15, null, s13, v15, vcc_lo
	v_add_co_ci_u32_e64 v16, null, 0, 0, s4
	s_wait_alu 0xf1ff
	v_add_co_ci_u32_e64 v22, null, s13, 0, s3
	s_lshl_b32 s14, s2, 2
	s_lshl_b32 s23, s2, 4
	s_branch .LBB140_4
.LBB140_3:                              ;   in Loop: Header=BB140_4 Depth=1
	s_wait_alu 0xfffe
	s_or_b32 exec_lo, exec_lo, s3
	v_add_co_u32 v1, vcc_lo, v1, s23
	s_wait_alu 0xfffd
	v_add_co_ci_u32_e64 v2, null, 0, v2, vcc_lo
	v_add_co_u32 v3, vcc_lo, v3, s23
	s_wait_alu 0xfffd
	v_add_co_ci_u32_e64 v4, null, 0, v4, vcc_lo
	;; [unrolled: 3-line block ×5, first 2 shown]
	v_add_co_u32 v14, vcc_lo, v14, s23
	s_add_nc_u64 s[20:21], s[20:21], s[14:15]
	s_wait_alu 0xfffd
	v_add_co_ci_u32_e64 v15, null, 0, v15, vcc_lo
	v_add_co_u32 v19, vcc_lo, v19, s23
	s_wait_alu 0xfffe
	v_cmp_lt_i64_e64 s2, s[20:21], s[16:17]
	s_wait_alu 0xfffd
	v_add_co_ci_u32_e64 v20, null, 0, v20, vcc_lo
	v_add_co_u32 v21, vcc_lo, v21, s23
	s_wait_alu 0xfffd
	v_add_co_ci_u32_e64 v22, null, 0, v22, vcc_lo
	s_and_b32 vcc_lo, exec_lo, s2
	s_wait_alu 0xfffe
	s_cbranch_vccz .LBB140_20
.LBB140_4:                              ; =>This Inner Loop Header: Depth=1
	s_wait_loadcnt 0x0
	v_add_co_u32 v23, s2, v0, s20
	s_wait_alu 0xf1ff
	v_add_co_ci_u32_e64 v24, null, 0, s21, s2
	s_delay_alu instid0(VALU_DEP_1)
	v_cmp_gt_u64_e32 vcc_lo, s[18:19], v[23:24]
	v_mov_b32_e32 v24, 0
	s_and_saveexec_b32 s3, vcc_lo
	s_cbranch_execz .LBB140_6
; %bb.5:                                ;   in Loop: Header=BB140_4 Depth=1
	v_add_co_u32 v23, s2, v1, s6
	s_wait_alu 0xf1ff
	v_add_co_ci_u32_e64 v24, null, s7, v2, s2
	global_load_b32 v24, v[23:24], off
.LBB140_6:                              ;   in Loop: Header=BB140_4 Depth=1
	s_wait_alu 0xfffe
	s_or_b32 exec_lo, exec_lo, s3
	v_add_co_u32 v25, s2, v13, s20
	s_wait_alu 0xf1ff
	v_add_co_ci_u32_e64 v26, null, s21, v16, s2
	v_mov_b32_e32 v23, 0
	s_delay_alu instid0(VALU_DEP_2)
	v_cmp_gt_u64_e64 s2, s[18:19], v[25:26]
	v_mov_b32_e32 v25, 0
	s_and_saveexec_b32 s4, s2
	s_cbranch_execz .LBB140_8
; %bb.7:                                ;   in Loop: Header=BB140_4 Depth=1
	v_add_co_u32 v25, s3, v19, s6
	s_wait_alu 0xf1ff
	v_add_co_ci_u32_e64 v26, null, s7, v20, s3
	global_load_b32 v25, v[25:26], off
.LBB140_8:                              ;   in Loop: Header=BB140_4 Depth=1
	s_wait_alu 0xfffe
	s_or_b32 exec_lo, exec_lo, s4
	v_add_co_u32 v26, s3, v17, s20
	s_wait_alu 0xf1ff
	v_add_co_ci_u32_e64 v27, null, s21, v18, s3
	s_delay_alu instid0(VALU_DEP_1)
	v_cmp_gt_u64_e64 s3, s[18:19], v[26:27]
	s_and_saveexec_b32 s5, s3
	s_cbranch_execz .LBB140_10
; %bb.9:                                ;   in Loop: Header=BB140_4 Depth=1
	v_add_co_u32 v26, s4, v11, s6
	s_wait_alu 0xf1ff
	v_add_co_ci_u32_e64 v27, null, s7, v12, s4
	global_load_b32 v23, v[26:27], off
.LBB140_10:                             ;   in Loop: Header=BB140_4 Depth=1
	s_wait_alu 0xfffe
	s_or_b32 exec_lo, exec_lo, s5
	v_add_co_u32 v26, s4, v9, s20
	s_wait_alu 0xf1ff
	v_add_co_ci_u32_e64 v27, null, s21, v10, s4
	s_delay_alu instid0(VALU_DEP_1)
	v_cmp_gt_u64_e64 s4, s[18:19], v[26:27]
	v_mov_b32_e32 v26, 0
	s_and_saveexec_b32 s24, s4
	s_cbranch_execnz .LBB140_15
; %bb.11:                               ;   in Loop: Header=BB140_4 Depth=1
	s_or_b32 exec_lo, exec_lo, s24
	s_and_saveexec_b32 s24, vcc_lo
	s_cbranch_execnz .LBB140_16
.LBB140_12:                             ;   in Loop: Header=BB140_4 Depth=1
	s_or_b32 exec_lo, exec_lo, s24
	s_and_saveexec_b32 s5, s2
	s_cbranch_execnz .LBB140_17
.LBB140_13:                             ;   in Loop: Header=BB140_4 Depth=1
	s_wait_alu 0xfffe
	s_or_b32 exec_lo, exec_lo, s5
	s_and_saveexec_b32 s5, s3
	s_cbranch_execnz .LBB140_18
.LBB140_14:                             ;   in Loop: Header=BB140_4 Depth=1
	s_wait_alu 0xfffe
	s_or_b32 exec_lo, exec_lo, s5
	s_and_saveexec_b32 s3, s4
	s_cbranch_execz .LBB140_3
	s_branch .LBB140_19
.LBB140_15:                             ;   in Loop: Header=BB140_4 Depth=1
	v_add_co_u32 v26, s5, v5, s6
	s_wait_alu 0xf1ff
	v_add_co_ci_u32_e64 v27, null, s7, v6, s5
	global_load_b32 v26, v[26:27], off
	s_or_b32 exec_lo, exec_lo, s24
	s_and_saveexec_b32 s24, vcc_lo
	s_cbranch_execz .LBB140_12
.LBB140_16:                             ;   in Loop: Header=BB140_4 Depth=1
	s_wait_loadcnt 0x0
	v_cmp_u_f32_e32 vcc_lo, v24, v24
	v_cmp_lt_f32_e64 s5, s22, v24
	s_or_b32 vcc_lo, vcc_lo, s5
	s_wait_alu 0xfffe
	v_cndmask_b32_e32 v24, s22, v24, vcc_lo
	v_add_co_u32 v27, vcc_lo, v3, s6
	s_wait_alu 0xfffd
	v_add_co_ci_u32_e64 v28, null, s7, v4, vcc_lo
	global_store_b32 v[27:28], v24, off
	s_or_b32 exec_lo, exec_lo, s24
	s_and_saveexec_b32 s5, s2
	s_cbranch_execz .LBB140_13
.LBB140_17:                             ;   in Loop: Header=BB140_4 Depth=1
	s_wait_loadcnt 0x0
	v_cmp_u_f32_e32 vcc_lo, v25, v25
	v_cmp_lt_f32_e64 s2, s22, v25
	s_or_b32 vcc_lo, vcc_lo, s2
	s_wait_alu 0xfffe
	v_cndmask_b32_e32 v27, s22, v25, vcc_lo
	v_add_co_u32 v24, vcc_lo, v21, s6
	s_wait_alu 0xfffd
	v_add_co_ci_u32_e64 v25, null, s7, v22, vcc_lo
	global_store_b32 v[24:25], v27, off
	s_or_b32 exec_lo, exec_lo, s5
	s_and_saveexec_b32 s5, s3
	s_cbranch_execz .LBB140_14
.LBB140_18:                             ;   in Loop: Header=BB140_4 Depth=1
	s_wait_loadcnt 0x0
	v_cmp_u_f32_e32 vcc_lo, v23, v23
	v_cmp_lt_f32_e64 s2, s22, v23
	s_or_b32 vcc_lo, vcc_lo, s2
	s_wait_alu 0xfffe
	v_cndmask_b32_e32 v25, s22, v23, vcc_lo
	v_add_co_u32 v23, vcc_lo, v14, s6
	s_wait_alu 0xfffd
	v_add_co_ci_u32_e64 v24, null, s7, v15, vcc_lo
	global_store_b32 v[23:24], v25, off
	s_or_b32 exec_lo, exec_lo, s5
	s_and_saveexec_b32 s3, s4
	s_cbranch_execz .LBB140_3
.LBB140_19:                             ;   in Loop: Header=BB140_4 Depth=1
	s_wait_loadcnt 0x0
	v_cmp_u_f32_e32 vcc_lo, v26, v26
	v_cmp_lt_f32_e64 s2, s22, v26
	s_or_b32 vcc_lo, vcc_lo, s2
	s_wait_alu 0xfffe
	v_cndmask_b32_e32 v25, s22, v26, vcc_lo
	v_add_co_u32 v23, vcc_lo, v7, s6
	s_wait_alu 0xfffd
	v_add_co_ci_u32_e64 v24, null, s7, v8, vcc_lo
	global_store_b32 v[23:24], v25, off
	s_branch .LBB140_3
.LBB140_20:
	s_mov_b32 s2, 0
.LBB140_21:
	s_wait_alu 0xfffe
	s_and_not1_b32 vcc_lo, exec_lo, s2
	s_wait_alu 0xfffe
	s_cbranch_vccnz .LBB140_25
; %bb.22:
	v_cmp_gt_i64_e64 s2, 0x10000, s[8:9]
	v_dual_mov_b32 v2, 0 :: v_dual_lshlrev_b32 v1, 2, v0
	s_and_b32 s2, s2, exec_lo
	s_cselect_b32 s15, s9, 0
	s_cselect_b32 s14, s8, 0x10000
	s_mov_b32 s9, 0
	s_mov_b32 s2, exec_lo
	v_cmpx_gt_i64_e64 s[14:15], v[1:2]
	s_cbranch_execz .LBB140_25
; %bb.23:
	s_load_b32 s0, s[0:1], 0xc5c
	v_lshlrev_b32_e32 v3, 4, v0
	v_mov_b32_e32 v1, v2
	s_delay_alu instid0(VALU_DEP_2) | instskip(NEXT) | instid1(VALU_DEP_1)
	v_add_co_u32 v2, s1, s6, v3
	v_add_co_ci_u32_e64 v3, null, s7, 0, s1
	s_wait_kmcnt 0x0
	s_and_b32 s16, s0, 0xffff
	s_wait_alu 0xfffe
	s_lshl_b32 s17, s16, 4
.LBB140_24:                             ; =>This Inner Loop Header: Depth=1
	v_add_co_u32 v4, vcc_lo, s10, v2
	s_wait_alu 0xfffd
	v_add_co_ci_u32_e64 v5, null, s11, v3, vcc_lo
	v_add_co_u32 v0, vcc_lo, v0, s16
	s_wait_alu 0xfffd
	v_add_co_ci_u32_e64 v1, null, 0, v1, vcc_lo
	global_load_b128 v[4:7], v[4:5], off
	v_add_co_u32 v8, vcc_lo, s12, v2
	v_lshlrev_b64_e32 v[10:11], 2, v[0:1]
	s_wait_alu 0xfffd
	v_add_co_ci_u32_e64 v9, null, s13, v3, vcc_lo
	s_wait_alu 0xfffe
	v_add_co_u32 v2, vcc_lo, v2, s17
	s_wait_alu 0xfffd
	v_add_co_ci_u32_e64 v3, null, 0, v3, vcc_lo
	v_cmp_le_i64_e64 s0, s[14:15], v[10:11]
	s_wait_loadcnt 0x0
	v_cmp_u_f32_e64 s1, v4, v4
	v_cmp_lt_f32_e64 s2, s22, v4
	v_cmp_u_f32_e64 s3, v5, v5
	v_cmp_lt_f32_e64 s4, s22, v5
	;; [unrolled: 2-line block ×3, first 2 shown]
	s_or_b32 s1, s1, s2
	v_cmp_u_f32_e64 s7, v7, v7
	v_cmp_lt_f32_e64 s8, s22, v7
	s_wait_alu 0xfffe
	v_cndmask_b32_e64 v4, s22, v4, s1
	s_or_b32 s1, s3, s4
	s_wait_alu 0xfffe
	v_cndmask_b32_e64 v5, s22, v5, s1
	s_or_b32 s1, s5, s6
	;; [unrolled: 3-line block ×3, first 2 shown]
	s_or_b32 s9, s0, s9
	s_wait_alu 0xfffe
	v_cndmask_b32_e64 v7, s22, v7, s1
	global_store_b128 v[8:9], v[4:7], off
	s_and_not1_b32 exec_lo, exec_lo, s9
	s_cbranch_execnz .LBB140_24
.LBB140_25:
	s_endpgm
	.section	.rodata,"a",@progbits
	.p2align	6, 0x0
	.amdhsa_kernel _ZN2at6native12_GLOBAL__N_125multi_tensor_apply_kernelINS1_18TensorListMetadataILi2EEENS1_21BinaryOpScalarFunctorIfLi2ELi1ELi1EEEJNS0_7maximumIfEEfEEEvT_T0_DpT1_
		.amdhsa_group_segment_fixed_size 0
		.amdhsa_private_segment_fixed_size 0
		.amdhsa_kernarg_size 3408
		.amdhsa_user_sgpr_count 2
		.amdhsa_user_sgpr_dispatch_ptr 0
		.amdhsa_user_sgpr_queue_ptr 0
		.amdhsa_user_sgpr_kernarg_segment_ptr 1
		.amdhsa_user_sgpr_dispatch_id 0
		.amdhsa_user_sgpr_private_segment_size 0
		.amdhsa_wavefront_size32 1
		.amdhsa_uses_dynamic_stack 0
		.amdhsa_enable_private_segment 0
		.amdhsa_system_sgpr_workgroup_id_x 1
		.amdhsa_system_sgpr_workgroup_id_y 0
		.amdhsa_system_sgpr_workgroup_id_z 0
		.amdhsa_system_sgpr_workgroup_info 0
		.amdhsa_system_vgpr_workitem_id 0
		.amdhsa_next_free_vgpr 29
		.amdhsa_next_free_sgpr 25
		.amdhsa_reserve_vcc 1
		.amdhsa_float_round_mode_32 0
		.amdhsa_float_round_mode_16_64 0
		.amdhsa_float_denorm_mode_32 3
		.amdhsa_float_denorm_mode_16_64 3
		.amdhsa_fp16_overflow 0
		.amdhsa_workgroup_processor_mode 1
		.amdhsa_memory_ordered 1
		.amdhsa_forward_progress 1
		.amdhsa_inst_pref_size 15
		.amdhsa_round_robin_scheduling 0
		.amdhsa_exception_fp_ieee_invalid_op 0
		.amdhsa_exception_fp_denorm_src 0
		.amdhsa_exception_fp_ieee_div_zero 0
		.amdhsa_exception_fp_ieee_overflow 0
		.amdhsa_exception_fp_ieee_underflow 0
		.amdhsa_exception_fp_ieee_inexact 0
		.amdhsa_exception_int_div_zero 0
	.end_amdhsa_kernel
	.section	.text._ZN2at6native12_GLOBAL__N_125multi_tensor_apply_kernelINS1_18TensorListMetadataILi2EEENS1_21BinaryOpScalarFunctorIfLi2ELi1ELi1EEEJNS0_7maximumIfEEfEEEvT_T0_DpT1_,"axG",@progbits,_ZN2at6native12_GLOBAL__N_125multi_tensor_apply_kernelINS1_18TensorListMetadataILi2EEENS1_21BinaryOpScalarFunctorIfLi2ELi1ELi1EEEJNS0_7maximumIfEEfEEEvT_T0_DpT1_,comdat
.Lfunc_end140:
	.size	_ZN2at6native12_GLOBAL__N_125multi_tensor_apply_kernelINS1_18TensorListMetadataILi2EEENS1_21BinaryOpScalarFunctorIfLi2ELi1ELi1EEEJNS0_7maximumIfEEfEEEvT_T0_DpT1_, .Lfunc_end140-_ZN2at6native12_GLOBAL__N_125multi_tensor_apply_kernelINS1_18TensorListMetadataILi2EEENS1_21BinaryOpScalarFunctorIfLi2ELi1ELi1EEEJNS0_7maximumIfEEfEEEvT_T0_DpT1_
                                        ; -- End function
	.set _ZN2at6native12_GLOBAL__N_125multi_tensor_apply_kernelINS1_18TensorListMetadataILi2EEENS1_21BinaryOpScalarFunctorIfLi2ELi1ELi1EEEJNS0_7maximumIfEEfEEEvT_T0_DpT1_.num_vgpr, 29
	.set _ZN2at6native12_GLOBAL__N_125multi_tensor_apply_kernelINS1_18TensorListMetadataILi2EEENS1_21BinaryOpScalarFunctorIfLi2ELi1ELi1EEEJNS0_7maximumIfEEfEEEvT_T0_DpT1_.num_agpr, 0
	.set _ZN2at6native12_GLOBAL__N_125multi_tensor_apply_kernelINS1_18TensorListMetadataILi2EEENS1_21BinaryOpScalarFunctorIfLi2ELi1ELi1EEEJNS0_7maximumIfEEfEEEvT_T0_DpT1_.numbered_sgpr, 25
	.set _ZN2at6native12_GLOBAL__N_125multi_tensor_apply_kernelINS1_18TensorListMetadataILi2EEENS1_21BinaryOpScalarFunctorIfLi2ELi1ELi1EEEJNS0_7maximumIfEEfEEEvT_T0_DpT1_.num_named_barrier, 0
	.set _ZN2at6native12_GLOBAL__N_125multi_tensor_apply_kernelINS1_18TensorListMetadataILi2EEENS1_21BinaryOpScalarFunctorIfLi2ELi1ELi1EEEJNS0_7maximumIfEEfEEEvT_T0_DpT1_.private_seg_size, 0
	.set _ZN2at6native12_GLOBAL__N_125multi_tensor_apply_kernelINS1_18TensorListMetadataILi2EEENS1_21BinaryOpScalarFunctorIfLi2ELi1ELi1EEEJNS0_7maximumIfEEfEEEvT_T0_DpT1_.uses_vcc, 1
	.set _ZN2at6native12_GLOBAL__N_125multi_tensor_apply_kernelINS1_18TensorListMetadataILi2EEENS1_21BinaryOpScalarFunctorIfLi2ELi1ELi1EEEJNS0_7maximumIfEEfEEEvT_T0_DpT1_.uses_flat_scratch, 0
	.set _ZN2at6native12_GLOBAL__N_125multi_tensor_apply_kernelINS1_18TensorListMetadataILi2EEENS1_21BinaryOpScalarFunctorIfLi2ELi1ELi1EEEJNS0_7maximumIfEEfEEEvT_T0_DpT1_.has_dyn_sized_stack, 0
	.set _ZN2at6native12_GLOBAL__N_125multi_tensor_apply_kernelINS1_18TensorListMetadataILi2EEENS1_21BinaryOpScalarFunctorIfLi2ELi1ELi1EEEJNS0_7maximumIfEEfEEEvT_T0_DpT1_.has_recursion, 0
	.set _ZN2at6native12_GLOBAL__N_125multi_tensor_apply_kernelINS1_18TensorListMetadataILi2EEENS1_21BinaryOpScalarFunctorIfLi2ELi1ELi1EEEJNS0_7maximumIfEEfEEEvT_T0_DpT1_.has_indirect_call, 0
	.section	.AMDGPU.csdata,"",@progbits
; Kernel info:
; codeLenInByte = 1808
; TotalNumSgprs: 27
; NumVgprs: 29
; ScratchSize: 0
; MemoryBound: 0
; FloatMode: 240
; IeeeMode: 1
; LDSByteSize: 0 bytes/workgroup (compile time only)
; SGPRBlocks: 0
; VGPRBlocks: 3
; NumSGPRsForWavesPerEU: 27
; NumVGPRsForWavesPerEU: 29
; Occupancy: 16
; WaveLimiterHint : 0
; COMPUTE_PGM_RSRC2:SCRATCH_EN: 0
; COMPUTE_PGM_RSRC2:USER_SGPR: 2
; COMPUTE_PGM_RSRC2:TRAP_HANDLER: 0
; COMPUTE_PGM_RSRC2:TGID_X_EN: 1
; COMPUTE_PGM_RSRC2:TGID_Y_EN: 0
; COMPUTE_PGM_RSRC2:TGID_Z_EN: 0
; COMPUTE_PGM_RSRC2:TIDIG_COMP_CNT: 0
	.section	.text._ZN2at6native12_GLOBAL__N_125multi_tensor_apply_kernelINS1_18TensorListMetadataILi2EEENS1_21BinaryOpScalarFunctorIN3c104HalfELi2ELi1ELi1EEEJNS0_7maximumIfEEfEEEvT_T0_DpT1_,"axG",@progbits,_ZN2at6native12_GLOBAL__N_125multi_tensor_apply_kernelINS1_18TensorListMetadataILi2EEENS1_21BinaryOpScalarFunctorIN3c104HalfELi2ELi1ELi1EEEJNS0_7maximumIfEEfEEEvT_T0_DpT1_,comdat
	.globl	_ZN2at6native12_GLOBAL__N_125multi_tensor_apply_kernelINS1_18TensorListMetadataILi2EEENS1_21BinaryOpScalarFunctorIN3c104HalfELi2ELi1ELi1EEEJNS0_7maximumIfEEfEEEvT_T0_DpT1_ ; -- Begin function _ZN2at6native12_GLOBAL__N_125multi_tensor_apply_kernelINS1_18TensorListMetadataILi2EEENS1_21BinaryOpScalarFunctorIN3c104HalfELi2ELi1ELi1EEEJNS0_7maximumIfEEfEEEvT_T0_DpT1_
	.p2align	8
	.type	_ZN2at6native12_GLOBAL__N_125multi_tensor_apply_kernelINS1_18TensorListMetadataILi2EEENS1_21BinaryOpScalarFunctorIN3c104HalfELi2ELi1ELi1EEEJNS0_7maximumIfEEfEEEvT_T0_DpT1_,@function
_ZN2at6native12_GLOBAL__N_125multi_tensor_apply_kernelINS1_18TensorListMetadataILi2EEENS1_21BinaryOpScalarFunctorIN3c104HalfELi2ELi1ELi1EEEJNS0_7maximumIfEEfEEEvT_T0_DpT1_: ; @_ZN2at6native12_GLOBAL__N_125multi_tensor_apply_kernelINS1_18TensorListMetadataILi2EEENS1_21BinaryOpScalarFunctorIN3c104HalfELi2ELi1ELi1EEEJNS0_7maximumIfEEfEEEvT_T0_DpT1_
; %bb.0:
	s_load_u8 s8, s[0:1], ttmp9 offset:0x600
	s_mov_b32 s2, ttmp9
	s_mov_b32 s3, 0
	s_delay_alu instid0(SALU_CYCLE_1)
	s_mul_u64 s[4:5], s[2:3], 3
	s_add_nc_u64 s[6:7], s[0:1], s[2:3]
	s_mov_b32 s15, s3
	s_add_nc_u64 s[4:5], s[6:7], s[4:5]
	s_mov_b32 s17, s3
	s_load_b32 s4, s[4:5], 0x740
	s_wait_kmcnt 0x0
	s_lshl_b32 s2, s8, 3
	s_clause 0x3
	s_load_b64 s[6:7], s[0:1], s2 offset:0x0
	s_load_b64 s[8:9], s[0:1], s2 offset:0x200
	;; [unrolled: 1-line block ×3, first 2 shown]
	s_load_b32 s22, s[0:1], 0xc4c
	s_ashr_i32 s5, s4, 31
	s_delay_alu instid0(SALU_CYCLE_1)
	s_lshl_b64 s[10:11], s[4:5], 17
	s_lshl_b64 s[4:5], s[4:5], 16
	s_wait_kmcnt 0x0
	s_add_nc_u64 s[18:19], s[6:7], s[10:11]
	s_and_b32 s14, s8, 7
	s_and_b32 s16, s12, 3
	;; [unrolled: 1-line block ×3, first 2 shown]
	s_or_b64 s[14:15], s[14:15], s[16:17]
	s_sub_nc_u64 s[12:13], s[12:13], s[4:5]
	s_or_b64 s[2:3], s[14:15], s[2:3]
	s_delay_alu instid0(SALU_CYCLE_1)
	s_cmp_eq_u64 s[2:3], 0
	s_mov_b32 s2, -1
	s_cbranch_scc1 .LBB141_21
; %bb.1:
	v_cmp_lt_i64_e64 s2, s[12:13], 1
	s_and_b32 vcc_lo, exec_lo, s2
	s_cbranch_vccnz .LBB141_20
; %bb.2:
	s_load_b32 s2, s[0:1], 0xc5c
	v_cmp_gt_i64_e64 s3, 0x10000, s[12:13]
	v_dual_mov_b32 v10, 0 :: v_dual_lshlrev_b32 v9, 1, v0
	v_cmp_gt_u64_e64 s4, 0x10000, s[12:13]
	s_cvt_f16_f32 s23, s22
	s_mov_b32 s15, 0
	s_and_b32 s3, s3, exec_lo
	v_add_co_u32 v1, s5, s6, v9
	s_cselect_b32 s17, s13, 0
	s_cselect_b32 s16, s12, 0x10000
	v_add_co_ci_u32_e64 v2, null, s7, 0, s5
	v_add_co_u32 v3, s5, s8, v9
	s_wait_alu 0xf1ff
	v_add_co_ci_u32_e64 v4, null, s9, 0, s5
	s_mov_b64 s[20:21], 0
	s_wait_kmcnt 0x0
	s_and_b32 s2, s2, 0xffff
	s_and_b32 s3, s4, exec_lo
	s_cselect_b32 s19, s13, 0
	s_cselect_b32 s18, s12, 0x10000
	s_mul_i32 s4, s2, 3
	s_lshl_b32 s14, s2, 2
	v_mad_co_u64_u32 v[7:8], null, s2, 6, v[9:10]
	v_add_co_u32 v14, s5, s14, v9
	s_wait_alu 0xfffe
	v_add_co_u32 v9, s4, s4, v0
	s_wait_alu 0xf1ff
	v_add_co_ci_u32_e64 v10, null, 0, 0, s4
	v_add_co_u32 v13, s4, v0, s2
	s_lshl_b32 s3, s2, 1
	v_add_co_u32 v5, vcc_lo, s6, v7
	v_lshlrev_b32_e32 v21, 1, v13
	v_add_co_ci_u32_e64 v15, null, 0, 0, s5
	v_add_co_ci_u32_e64 v6, null, s7, v8, vcc_lo
	v_add_co_u32 v7, vcc_lo, s8, v7
	s_wait_alu 0xfffe
	v_add_co_u32 v17, s3, s3, v0
	s_wait_alu 0xfffd
	v_add_co_ci_u32_e64 v8, null, s9, v8, vcc_lo
	v_add_co_u32 v11, vcc_lo, s6, v14
	s_wait_alu 0xf1ff
	v_add_co_ci_u32_e64 v18, null, 0, 0, s3
	v_add_co_u32 v19, s3, s6, v21
	s_wait_alu 0xfffd
	v_add_co_ci_u32_e64 v12, null, s7, v15, vcc_lo
	v_add_co_u32 v14, vcc_lo, s8, v14
	s_wait_alu 0xf1ff
	v_add_co_ci_u32_e64 v20, null, s7, 0, s3
	v_add_co_u32 v21, s3, s8, v21
	s_wait_alu 0xfffd
	v_add_co_ci_u32_e64 v15, null, s9, v15, vcc_lo
	v_add_co_ci_u32_e64 v16, null, 0, 0, s4
	s_wait_alu 0xf1ff
	v_add_co_ci_u32_e64 v22, null, s9, 0, s3
	s_lshl_b32 s24, s2, 3
	s_branch .LBB141_4
.LBB141_3:                              ;   in Loop: Header=BB141_4 Depth=1
	s_wait_alu 0xfffe
	s_or_b32 exec_lo, exec_lo, s3
	v_add_co_u32 v1, vcc_lo, v1, s24
	s_wait_alu 0xfffd
	v_add_co_ci_u32_e64 v2, null, 0, v2, vcc_lo
	v_add_co_u32 v3, vcc_lo, v3, s24
	s_wait_alu 0xfffd
	v_add_co_ci_u32_e64 v4, null, 0, v4, vcc_lo
	;; [unrolled: 3-line block ×5, first 2 shown]
	v_add_co_u32 v14, vcc_lo, v14, s24
	s_add_nc_u64 s[20:21], s[20:21], s[14:15]
	s_wait_alu 0xfffd
	v_add_co_ci_u32_e64 v15, null, 0, v15, vcc_lo
	v_add_co_u32 v19, vcc_lo, v19, s24
	s_wait_alu 0xfffe
	v_cmp_lt_i64_e64 s2, s[20:21], s[16:17]
	s_wait_alu 0xfffd
	v_add_co_ci_u32_e64 v20, null, 0, v20, vcc_lo
	v_add_co_u32 v21, vcc_lo, v21, s24
	s_wait_alu 0xfffd
	v_add_co_ci_u32_e64 v22, null, 0, v22, vcc_lo
	s_and_b32 vcc_lo, exec_lo, s2
	s_wait_alu 0xfffe
	s_cbranch_vccz .LBB141_20
.LBB141_4:                              ; =>This Inner Loop Header: Depth=1
	s_wait_loadcnt 0x0
	v_add_co_u32 v23, s2, v0, s20
	s_wait_alu 0xf1ff
	v_add_co_ci_u32_e64 v24, null, 0, s21, s2
	s_delay_alu instid0(VALU_DEP_1)
	v_cmp_gt_u64_e32 vcc_lo, s[18:19], v[23:24]
	v_mov_b32_e32 v24, 0
	s_and_saveexec_b32 s3, vcc_lo
	s_cbranch_execz .LBB141_6
; %bb.5:                                ;   in Loop: Header=BB141_4 Depth=1
	v_add_co_u32 v23, s2, v1, s10
	s_wait_alu 0xf1ff
	v_add_co_ci_u32_e64 v24, null, s11, v2, s2
	global_load_u16 v24, v[23:24], off
.LBB141_6:                              ;   in Loop: Header=BB141_4 Depth=1
	s_wait_alu 0xfffe
	s_or_b32 exec_lo, exec_lo, s3
	v_add_co_u32 v25, s2, v13, s20
	s_wait_alu 0xf1ff
	v_add_co_ci_u32_e64 v26, null, s21, v16, s2
	v_mov_b32_e32 v23, 0
	s_delay_alu instid0(VALU_DEP_2)
	v_cmp_gt_u64_e64 s2, s[18:19], v[25:26]
	v_mov_b32_e32 v25, 0
	s_and_saveexec_b32 s4, s2
	s_cbranch_execz .LBB141_8
; %bb.7:                                ;   in Loop: Header=BB141_4 Depth=1
	v_add_co_u32 v25, s3, v19, s10
	s_wait_alu 0xf1ff
	v_add_co_ci_u32_e64 v26, null, s11, v20, s3
	global_load_u16 v25, v[25:26], off
.LBB141_8:                              ;   in Loop: Header=BB141_4 Depth=1
	s_wait_alu 0xfffe
	s_or_b32 exec_lo, exec_lo, s4
	v_add_co_u32 v26, s3, v17, s20
	s_wait_alu 0xf1ff
	v_add_co_ci_u32_e64 v27, null, s21, v18, s3
	s_delay_alu instid0(VALU_DEP_1)
	v_cmp_gt_u64_e64 s3, s[18:19], v[26:27]
	s_and_saveexec_b32 s5, s3
	s_cbranch_execz .LBB141_10
; %bb.9:                                ;   in Loop: Header=BB141_4 Depth=1
	v_add_co_u32 v26, s4, v11, s10
	s_wait_alu 0xf1ff
	v_add_co_ci_u32_e64 v27, null, s11, v12, s4
	global_load_u16 v23, v[26:27], off
.LBB141_10:                             ;   in Loop: Header=BB141_4 Depth=1
	s_wait_alu 0xfffe
	s_or_b32 exec_lo, exec_lo, s5
	v_add_co_u32 v26, s4, v9, s20
	s_wait_alu 0xf1ff
	v_add_co_ci_u32_e64 v27, null, s21, v10, s4
	s_delay_alu instid0(VALU_DEP_1)
	v_cmp_gt_u64_e64 s4, s[18:19], v[26:27]
	v_mov_b32_e32 v26, 0
	s_and_saveexec_b32 s25, s4
	s_cbranch_execnz .LBB141_15
; %bb.11:                               ;   in Loop: Header=BB141_4 Depth=1
	s_wait_alu 0xfffe
	s_or_b32 exec_lo, exec_lo, s25
	s_and_saveexec_b32 s25, vcc_lo
	s_cbranch_execnz .LBB141_16
.LBB141_12:                             ;   in Loop: Header=BB141_4 Depth=1
	s_wait_alu 0xfffe
	s_or_b32 exec_lo, exec_lo, s25
	s_and_saveexec_b32 s5, s2
	s_cbranch_execnz .LBB141_17
.LBB141_13:                             ;   in Loop: Header=BB141_4 Depth=1
	s_wait_alu 0xfffe
	s_or_b32 exec_lo, exec_lo, s5
	s_and_saveexec_b32 s5, s3
	s_cbranch_execnz .LBB141_18
.LBB141_14:                             ;   in Loop: Header=BB141_4 Depth=1
	s_wait_alu 0xfffe
	s_or_b32 exec_lo, exec_lo, s5
	s_and_saveexec_b32 s3, s4
	s_cbranch_execz .LBB141_3
	s_branch .LBB141_19
.LBB141_15:                             ;   in Loop: Header=BB141_4 Depth=1
	v_add_co_u32 v26, s5, v5, s10
	s_wait_alu 0xf1ff
	v_add_co_ci_u32_e64 v27, null, s11, v6, s5
	global_load_u16 v26, v[26:27], off
	s_wait_alu 0xfffe
	s_or_b32 exec_lo, exec_lo, s25
	s_and_saveexec_b32 s25, vcc_lo
	s_cbranch_execz .LBB141_12
.LBB141_16:                             ;   in Loop: Header=BB141_4 Depth=1
	s_wait_loadcnt 0x0
	v_cvt_f32_f16_e32 v27, v24
	v_cmp_u_f16_e32 vcc_lo, v24, v24
	s_delay_alu instid0(VALU_DEP_2)
	v_cmp_lt_f32_e64 s5, s22, v27
	s_or_b32 vcc_lo, vcc_lo, s5
	s_wait_alu 0xfffe
	v_cndmask_b32_e32 v24, s23, v24, vcc_lo
	v_add_co_u32 v27, vcc_lo, v3, s10
	s_wait_alu 0xfffd
	v_add_co_ci_u32_e64 v28, null, s11, v4, vcc_lo
	global_store_b16 v[27:28], v24, off
	s_or_b32 exec_lo, exec_lo, s25
	s_and_saveexec_b32 s5, s2
	s_cbranch_execz .LBB141_13
.LBB141_17:                             ;   in Loop: Header=BB141_4 Depth=1
	s_wait_loadcnt 0x0
	v_cvt_f32_f16_e32 v24, v25
	v_cmp_u_f16_e32 vcc_lo, v25, v25
	s_delay_alu instid0(VALU_DEP_2)
	v_cmp_lt_f32_e64 s2, s22, v24
	s_or_b32 vcc_lo, vcc_lo, s2
	s_wait_alu 0xfffe
	v_cndmask_b32_e32 v27, s23, v25, vcc_lo
	v_add_co_u32 v24, vcc_lo, v21, s10
	s_wait_alu 0xfffd
	v_add_co_ci_u32_e64 v25, null, s11, v22, vcc_lo
	global_store_b16 v[24:25], v27, off
	s_or_b32 exec_lo, exec_lo, s5
	s_and_saveexec_b32 s5, s3
	s_cbranch_execz .LBB141_14
.LBB141_18:                             ;   in Loop: Header=BB141_4 Depth=1
	s_wait_loadcnt 0x0
	v_cvt_f32_f16_e32 v24, v23
	v_cmp_u_f16_e32 vcc_lo, v23, v23
	s_delay_alu instid0(VALU_DEP_2)
	v_cmp_lt_f32_e64 s2, s22, v24
	s_or_b32 vcc_lo, vcc_lo, s2
	s_wait_alu 0xfffe
	v_cndmask_b32_e32 v25, s23, v23, vcc_lo
	v_add_co_u32 v23, vcc_lo, v14, s10
	s_wait_alu 0xfffd
	v_add_co_ci_u32_e64 v24, null, s11, v15, vcc_lo
	global_store_b16 v[23:24], v25, off
	s_or_b32 exec_lo, exec_lo, s5
	s_and_saveexec_b32 s3, s4
	s_cbranch_execz .LBB141_3
.LBB141_19:                             ;   in Loop: Header=BB141_4 Depth=1
	s_wait_loadcnt 0x0
	v_cvt_f32_f16_e32 v23, v26
	v_cmp_u_f16_e32 vcc_lo, v26, v26
	s_delay_alu instid0(VALU_DEP_2)
	v_cmp_lt_f32_e64 s2, s22, v23
	s_or_b32 vcc_lo, vcc_lo, s2
	s_wait_alu 0xfffe
	v_cndmask_b32_e32 v25, s23, v26, vcc_lo
	v_add_co_u32 v23, vcc_lo, v7, s10
	s_wait_alu 0xfffd
	v_add_co_ci_u32_e64 v24, null, s11, v8, vcc_lo
	global_store_b16 v[23:24], v25, off
	s_branch .LBB141_3
.LBB141_20:
	s_mov_b32 s2, 0
.LBB141_21:
	s_wait_alu 0xfffe
	s_and_not1_b32 vcc_lo, exec_lo, s2
	s_wait_alu 0xfffe
	s_cbranch_vccnz .LBB141_25
; %bb.22:
	v_cmp_gt_i64_e64 s2, 0x10000, s[12:13]
	v_dual_mov_b32 v2, 0 :: v_dual_lshlrev_b32 v1, 2, v0
	s_mov_b32 s14, 0
	s_and_b32 s2, s2, exec_lo
	s_cselect_b32 s13, s13, 0
	s_cselect_b32 s12, s12, 0x10000
	s_mov_b32 s2, exec_lo
	s_wait_alu 0xfffe
	v_cmpx_gt_i64_e64 s[12:13], v[1:2]
	s_cbranch_execz .LBB141_25
; %bb.23:
	s_load_b32 s0, s[0:1], 0xc5c
	v_lshlrev_b32_e32 v3, 3, v0
	s_cvt_f16_f32 s15, s22
	v_mov_b32_e32 v1, v2
	s_mov_b32 s16, s22
	s_delay_alu instid0(VALU_DEP_2) | instskip(NEXT) | instid1(VALU_DEP_1)
	v_add_co_u32 v2, s1, s10, v3
	v_add_co_ci_u32_e64 v3, null, s11, 0, s1
	s_wait_alu 0xfffe
	s_pack_ll_b32_b16 s11, s15, s15
	s_wait_alu 0xfffe
	s_lshr_b32 s18, s11, 16
	s_wait_kmcnt 0x0
	s_and_b32 s10, s0, 0xffff
	s_wait_alu 0xfffe
	s_lshl_b32 s17, s10, 3
.LBB141_24:                             ; =>This Inner Loop Header: Depth=1
	v_add_co_u32 v4, vcc_lo, s6, v2
	s_wait_alu 0xfffd
	v_add_co_ci_u32_e64 v5, null, s7, v3, vcc_lo
	v_add_co_u32 v0, vcc_lo, v0, s10
	s_wait_alu 0xfffd
	v_add_co_ci_u32_e64 v1, null, 0, v1, vcc_lo
	global_load_b64 v[4:5], v[4:5], off
	v_add_co_u32 v6, vcc_lo, s8, v2
	s_wait_alu 0xfffd
	v_add_co_ci_u32_e64 v7, null, s9, v3, vcc_lo
	v_lshlrev_b64_e32 v[8:9], 2, v[0:1]
	s_wait_loadcnt 0x0
	v_cvt_f32_f16_e32 v10, v4
	v_lshrrev_b32_e32 v11, 16, v5
	v_lshrrev_b32_e32 v12, 16, v4
	v_cmp_u_f16_e32 vcc_lo, v4, v4
	v_cvt_f32_f16_e32 v13, v5
	v_cmp_lt_f32_e64 s1, s22, v10
	v_cvt_f32_f16_e32 v10, v11
	v_cvt_f32_f16_e32 v14, v12
	v_cmp_u_f16_e64 s0, v5, v5
	v_cmp_lt_f32_e64 s4, s16, v13
	s_or_b32 vcc_lo, vcc_lo, s1
	v_cmp_u_f16_e64 s2, v11, v11
	v_cmp_u_f16_e64 s3, v12, v12
	v_cmp_lt_f32_e64 s5, s22, v10
	s_wait_alu 0xfffe
	v_cndmask_b32_e32 v4, s15, v4, vcc_lo
	v_cmp_lt_f32_e32 vcc_lo, s22, v14
	s_or_b32 s0, s0, s4
	s_wait_alu 0xfffe
	v_cndmask_b32_e64 v5, s18, v5, s0
	s_or_b32 s0, s2, s5
	s_or_b32 vcc_lo, s3, vcc_lo
	s_wait_alu 0xfffe
	v_cndmask_b32_e64 v10, s15, v11, s0
	v_cndmask_b32_e32 v11, s11, v12, vcc_lo
	v_cmp_le_i64_e64 s0, s[12:13], v[8:9]
	v_add_co_u32 v2, vcc_lo, v2, s17
	s_delay_alu instid0(VALU_DEP_4) | instskip(NEXT) | instid1(VALU_DEP_4)
	v_perm_b32 v5, v10, v5, 0x5040100
	v_perm_b32 v4, v11, v4, 0x5040100
	s_wait_alu 0xfffd
	v_add_co_ci_u32_e64 v3, null, 0, v3, vcc_lo
	s_or_b32 s14, s0, s14
	global_store_b64 v[6:7], v[4:5], off
	s_wait_alu 0xfffe
	s_and_not1_b32 exec_lo, exec_lo, s14
	s_cbranch_execnz .LBB141_24
.LBB141_25:
	s_endpgm
	.section	.rodata,"a",@progbits
	.p2align	6, 0x0
	.amdhsa_kernel _ZN2at6native12_GLOBAL__N_125multi_tensor_apply_kernelINS1_18TensorListMetadataILi2EEENS1_21BinaryOpScalarFunctorIN3c104HalfELi2ELi1ELi1EEEJNS0_7maximumIfEEfEEEvT_T0_DpT1_
		.amdhsa_group_segment_fixed_size 0
		.amdhsa_private_segment_fixed_size 0
		.amdhsa_kernarg_size 3408
		.amdhsa_user_sgpr_count 2
		.amdhsa_user_sgpr_dispatch_ptr 0
		.amdhsa_user_sgpr_queue_ptr 0
		.amdhsa_user_sgpr_kernarg_segment_ptr 1
		.amdhsa_user_sgpr_dispatch_id 0
		.amdhsa_user_sgpr_private_segment_size 0
		.amdhsa_wavefront_size32 1
		.amdhsa_uses_dynamic_stack 0
		.amdhsa_enable_private_segment 0
		.amdhsa_system_sgpr_workgroup_id_x 1
		.amdhsa_system_sgpr_workgroup_id_y 0
		.amdhsa_system_sgpr_workgroup_id_z 0
		.amdhsa_system_sgpr_workgroup_info 0
		.amdhsa_system_vgpr_workitem_id 0
		.amdhsa_next_free_vgpr 29
		.amdhsa_next_free_sgpr 26
		.amdhsa_reserve_vcc 1
		.amdhsa_float_round_mode_32 0
		.amdhsa_float_round_mode_16_64 0
		.amdhsa_float_denorm_mode_32 3
		.amdhsa_float_denorm_mode_16_64 3
		.amdhsa_fp16_overflow 0
		.amdhsa_workgroup_processor_mode 1
		.amdhsa_memory_ordered 1
		.amdhsa_forward_progress 1
		.amdhsa_inst_pref_size 15
		.amdhsa_round_robin_scheduling 0
		.amdhsa_exception_fp_ieee_invalid_op 0
		.amdhsa_exception_fp_denorm_src 0
		.amdhsa_exception_fp_ieee_div_zero 0
		.amdhsa_exception_fp_ieee_overflow 0
		.amdhsa_exception_fp_ieee_underflow 0
		.amdhsa_exception_fp_ieee_inexact 0
		.amdhsa_exception_int_div_zero 0
	.end_amdhsa_kernel
	.section	.text._ZN2at6native12_GLOBAL__N_125multi_tensor_apply_kernelINS1_18TensorListMetadataILi2EEENS1_21BinaryOpScalarFunctorIN3c104HalfELi2ELi1ELi1EEEJNS0_7maximumIfEEfEEEvT_T0_DpT1_,"axG",@progbits,_ZN2at6native12_GLOBAL__N_125multi_tensor_apply_kernelINS1_18TensorListMetadataILi2EEENS1_21BinaryOpScalarFunctorIN3c104HalfELi2ELi1ELi1EEEJNS0_7maximumIfEEfEEEvT_T0_DpT1_,comdat
.Lfunc_end141:
	.size	_ZN2at6native12_GLOBAL__N_125multi_tensor_apply_kernelINS1_18TensorListMetadataILi2EEENS1_21BinaryOpScalarFunctorIN3c104HalfELi2ELi1ELi1EEEJNS0_7maximumIfEEfEEEvT_T0_DpT1_, .Lfunc_end141-_ZN2at6native12_GLOBAL__N_125multi_tensor_apply_kernelINS1_18TensorListMetadataILi2EEENS1_21BinaryOpScalarFunctorIN3c104HalfELi2ELi1ELi1EEEJNS0_7maximumIfEEfEEEvT_T0_DpT1_
                                        ; -- End function
	.set _ZN2at6native12_GLOBAL__N_125multi_tensor_apply_kernelINS1_18TensorListMetadataILi2EEENS1_21BinaryOpScalarFunctorIN3c104HalfELi2ELi1ELi1EEEJNS0_7maximumIfEEfEEEvT_T0_DpT1_.num_vgpr, 29
	.set _ZN2at6native12_GLOBAL__N_125multi_tensor_apply_kernelINS1_18TensorListMetadataILi2EEENS1_21BinaryOpScalarFunctorIN3c104HalfELi2ELi1ELi1EEEJNS0_7maximumIfEEfEEEvT_T0_DpT1_.num_agpr, 0
	.set _ZN2at6native12_GLOBAL__N_125multi_tensor_apply_kernelINS1_18TensorListMetadataILi2EEENS1_21BinaryOpScalarFunctorIN3c104HalfELi2ELi1ELi1EEEJNS0_7maximumIfEEfEEEvT_T0_DpT1_.numbered_sgpr, 26
	.set _ZN2at6native12_GLOBAL__N_125multi_tensor_apply_kernelINS1_18TensorListMetadataILi2EEENS1_21BinaryOpScalarFunctorIN3c104HalfELi2ELi1ELi1EEEJNS0_7maximumIfEEfEEEvT_T0_DpT1_.num_named_barrier, 0
	.set _ZN2at6native12_GLOBAL__N_125multi_tensor_apply_kernelINS1_18TensorListMetadataILi2EEENS1_21BinaryOpScalarFunctorIN3c104HalfELi2ELi1ELi1EEEJNS0_7maximumIfEEfEEEvT_T0_DpT1_.private_seg_size, 0
	.set _ZN2at6native12_GLOBAL__N_125multi_tensor_apply_kernelINS1_18TensorListMetadataILi2EEENS1_21BinaryOpScalarFunctorIN3c104HalfELi2ELi1ELi1EEEJNS0_7maximumIfEEfEEEvT_T0_DpT1_.uses_vcc, 1
	.set _ZN2at6native12_GLOBAL__N_125multi_tensor_apply_kernelINS1_18TensorListMetadataILi2EEENS1_21BinaryOpScalarFunctorIN3c104HalfELi2ELi1ELi1EEEJNS0_7maximumIfEEfEEEvT_T0_DpT1_.uses_flat_scratch, 0
	.set _ZN2at6native12_GLOBAL__N_125multi_tensor_apply_kernelINS1_18TensorListMetadataILi2EEENS1_21BinaryOpScalarFunctorIN3c104HalfELi2ELi1ELi1EEEJNS0_7maximumIfEEfEEEvT_T0_DpT1_.has_dyn_sized_stack, 0
	.set _ZN2at6native12_GLOBAL__N_125multi_tensor_apply_kernelINS1_18TensorListMetadataILi2EEENS1_21BinaryOpScalarFunctorIN3c104HalfELi2ELi1ELi1EEEJNS0_7maximumIfEEfEEEvT_T0_DpT1_.has_recursion, 0
	.set _ZN2at6native12_GLOBAL__N_125multi_tensor_apply_kernelINS1_18TensorListMetadataILi2EEENS1_21BinaryOpScalarFunctorIN3c104HalfELi2ELi1ELi1EEEJNS0_7maximumIfEEfEEEvT_T0_DpT1_.has_indirect_call, 0
	.section	.AMDGPU.csdata,"",@progbits
; Kernel info:
; codeLenInByte = 1912
; TotalNumSgprs: 28
; NumVgprs: 29
; ScratchSize: 0
; MemoryBound: 0
; FloatMode: 240
; IeeeMode: 1
; LDSByteSize: 0 bytes/workgroup (compile time only)
; SGPRBlocks: 0
; VGPRBlocks: 3
; NumSGPRsForWavesPerEU: 28
; NumVGPRsForWavesPerEU: 29
; Occupancy: 16
; WaveLimiterHint : 0
; COMPUTE_PGM_RSRC2:SCRATCH_EN: 0
; COMPUTE_PGM_RSRC2:USER_SGPR: 2
; COMPUTE_PGM_RSRC2:TRAP_HANDLER: 0
; COMPUTE_PGM_RSRC2:TGID_X_EN: 1
; COMPUTE_PGM_RSRC2:TGID_Y_EN: 0
; COMPUTE_PGM_RSRC2:TGID_Z_EN: 0
; COMPUTE_PGM_RSRC2:TIDIG_COMP_CNT: 0
	.section	.text._ZN2at6native12_GLOBAL__N_125multi_tensor_apply_kernelINS1_18TensorListMetadataILi2EEENS1_21BinaryOpScalarFunctorIN3c108BFloat16ELi2ELi1ELi1EEEJNS0_7maximumIfEEfEEEvT_T0_DpT1_,"axG",@progbits,_ZN2at6native12_GLOBAL__N_125multi_tensor_apply_kernelINS1_18TensorListMetadataILi2EEENS1_21BinaryOpScalarFunctorIN3c108BFloat16ELi2ELi1ELi1EEEJNS0_7maximumIfEEfEEEvT_T0_DpT1_,comdat
	.globl	_ZN2at6native12_GLOBAL__N_125multi_tensor_apply_kernelINS1_18TensorListMetadataILi2EEENS1_21BinaryOpScalarFunctorIN3c108BFloat16ELi2ELi1ELi1EEEJNS0_7maximumIfEEfEEEvT_T0_DpT1_ ; -- Begin function _ZN2at6native12_GLOBAL__N_125multi_tensor_apply_kernelINS1_18TensorListMetadataILi2EEENS1_21BinaryOpScalarFunctorIN3c108BFloat16ELi2ELi1ELi1EEEJNS0_7maximumIfEEfEEEvT_T0_DpT1_
	.p2align	8
	.type	_ZN2at6native12_GLOBAL__N_125multi_tensor_apply_kernelINS1_18TensorListMetadataILi2EEENS1_21BinaryOpScalarFunctorIN3c108BFloat16ELi2ELi1ELi1EEEJNS0_7maximumIfEEfEEEvT_T0_DpT1_,@function
_ZN2at6native12_GLOBAL__N_125multi_tensor_apply_kernelINS1_18TensorListMetadataILi2EEENS1_21BinaryOpScalarFunctorIN3c108BFloat16ELi2ELi1ELi1EEEJNS0_7maximumIfEEfEEEvT_T0_DpT1_: ; @_ZN2at6native12_GLOBAL__N_125multi_tensor_apply_kernelINS1_18TensorListMetadataILi2EEENS1_21BinaryOpScalarFunctorIN3c108BFloat16ELi2ELi1ELi1EEEJNS0_7maximumIfEEfEEEvT_T0_DpT1_
; %bb.0:
	s_load_u8 s8, s[0:1], ttmp9 offset:0x600
	s_mov_b32 s2, ttmp9
	s_mov_b32 s3, 0
	s_delay_alu instid0(SALU_CYCLE_1)
	s_mul_u64 s[4:5], s[2:3], 3
	s_add_nc_u64 s[6:7], s[0:1], s[2:3]
	s_mov_b32 s15, s3
	s_add_nc_u64 s[4:5], s[6:7], s[4:5]
	s_mov_b32 s17, s3
	s_load_b32 s4, s[4:5], 0x740
	s_wait_kmcnt 0x0
	s_lshl_b32 s2, s8, 3
	s_clause 0x3
	s_load_b64 s[6:7], s[0:1], s2 offset:0x0
	s_load_b64 s[8:9], s[0:1], s2 offset:0x200
	;; [unrolled: 1-line block ×3, first 2 shown]
	s_load_b32 s22, s[0:1], 0xc4c
	s_ashr_i32 s5, s4, 31
	s_delay_alu instid0(SALU_CYCLE_1)
	s_lshl_b64 s[10:11], s[4:5], 17
	s_lshl_b64 s[4:5], s[4:5], 16
	s_wait_kmcnt 0x0
	s_add_nc_u64 s[18:19], s[6:7], s[10:11]
	s_and_b32 s14, s8, 7
	s_and_b32 s16, s12, 3
	;; [unrolled: 1-line block ×3, first 2 shown]
	s_or_b64 s[14:15], s[14:15], s[16:17]
	s_sub_nc_u64 s[12:13], s[12:13], s[4:5]
	s_or_b64 s[2:3], s[14:15], s[2:3]
	s_delay_alu instid0(SALU_CYCLE_1)
	s_cmp_eq_u64 s[2:3], 0
	s_mov_b32 s2, -1
	s_cbranch_scc1 .LBB142_21
; %bb.1:
	v_cmp_lt_i64_e64 s2, s[12:13], 1
	s_and_b32 vcc_lo, exec_lo, s2
	s_cbranch_vccnz .LBB142_20
; %bb.2:
	s_load_b32 s2, s[0:1], 0xc5c
	v_cmp_gt_i64_e64 s3, 0x10000, s[12:13]
	v_dual_mov_b32 v10, 0 :: v_dual_lshlrev_b32 v9, 1, v0
	v_cmp_gt_u64_e64 s4, 0x10000, s[12:13]
	s_mov_b32 s19, 0
	s_mov_b64 s[20:21], 0
	s_and_b32 s3, s3, exec_lo
	v_add_co_u32 v1, s5, s6, v9
	s_cselect_b32 s15, s13, 0
	s_cselect_b32 s14, s12, 0x10000
	v_add_co_ci_u32_e64 v2, null, s7, 0, s5
	v_add_co_u32 v3, s5, s8, v9
	s_wait_alu 0xf1ff
	v_add_co_ci_u32_e64 v4, null, s9, 0, s5
	s_wait_kmcnt 0x0
	s_and_b32 s2, s2, 0xffff
	s_and_b32 s3, s4, exec_lo
	s_cselect_b32 s17, s13, 0
	s_cselect_b32 s16, s12, 0x10000
	s_mul_i32 s4, s2, 3
	s_lshl_b32 s18, s2, 2
	v_mad_co_u64_u32 v[7:8], null, s2, 6, v[9:10]
	v_add_co_u32 v14, s5, s18, v9
	s_wait_alu 0xfffe
	v_add_co_u32 v9, s4, s4, v0
	s_wait_alu 0xf1ff
	v_add_co_ci_u32_e64 v10, null, 0, 0, s4
	v_add_co_u32 v13, s4, v0, s2
	s_lshl_b32 s3, s2, 1
	v_add_co_u32 v5, vcc_lo, s6, v7
	v_lshlrev_b32_e32 v21, 1, v13
	v_add_co_ci_u32_e64 v15, null, 0, 0, s5
	v_add_co_ci_u32_e64 v6, null, s7, v8, vcc_lo
	v_add_co_u32 v7, vcc_lo, s8, v7
	s_wait_alu 0xfffe
	v_add_co_u32 v17, s3, s3, v0
	s_wait_alu 0xfffd
	v_add_co_ci_u32_e64 v8, null, s9, v8, vcc_lo
	v_add_co_u32 v11, vcc_lo, s6, v14
	s_wait_alu 0xf1ff
	v_add_co_ci_u32_e64 v18, null, 0, 0, s3
	v_add_co_u32 v19, s3, s6, v21
	s_wait_alu 0xfffd
	v_add_co_ci_u32_e64 v12, null, s7, v15, vcc_lo
	v_add_co_u32 v14, vcc_lo, s8, v14
	s_wait_alu 0xf1ff
	v_add_co_ci_u32_e64 v20, null, s7, 0, s3
	v_add_co_u32 v21, s3, s8, v21
	s_wait_alu 0xfffd
	v_add_co_ci_u32_e64 v15, null, s9, v15, vcc_lo
	v_add_co_ci_u32_e64 v16, null, 0, 0, s4
	s_wait_alu 0xf1ff
	v_add_co_ci_u32_e64 v22, null, s9, 0, s3
	s_lshl_b32 s23, s2, 3
	s_branch .LBB142_4
.LBB142_3:                              ;   in Loop: Header=BB142_4 Depth=1
	s_wait_alu 0xfffe
	s_or_b32 exec_lo, exec_lo, s4
	v_add_co_u32 v1, vcc_lo, v1, s23
	s_wait_alu 0xfffd
	v_add_co_ci_u32_e64 v2, null, 0, v2, vcc_lo
	v_add_co_u32 v3, vcc_lo, v3, s23
	s_wait_alu 0xfffd
	v_add_co_ci_u32_e64 v4, null, 0, v4, vcc_lo
	v_add_co_u32 v5, vcc_lo, v5, s23
	s_wait_alu 0xfffd
	v_add_co_ci_u32_e64 v6, null, 0, v6, vcc_lo
	v_add_co_u32 v7, vcc_lo, v7, s23
	s_wait_alu 0xfffd
	v_add_co_ci_u32_e64 v8, null, 0, v8, vcc_lo
	v_add_co_u32 v11, vcc_lo, v11, s23
	s_wait_alu 0xfffd
	v_add_co_ci_u32_e64 v12, null, 0, v12, vcc_lo
	v_add_co_u32 v14, vcc_lo, v14, s23
	s_add_nc_u64 s[20:21], s[20:21], s[18:19]
	s_wait_alu 0xfffd
	v_add_co_ci_u32_e64 v15, null, 0, v15, vcc_lo
	v_add_co_u32 v19, vcc_lo, v19, s23
	s_wait_alu 0xfffe
	v_cmp_lt_i64_e64 s2, s[20:21], s[14:15]
	s_wait_alu 0xfffd
	v_add_co_ci_u32_e64 v20, null, 0, v20, vcc_lo
	v_add_co_u32 v21, vcc_lo, v21, s23
	s_wait_alu 0xfffd
	v_add_co_ci_u32_e64 v22, null, 0, v22, vcc_lo
	s_and_b32 vcc_lo, exec_lo, s2
	s_wait_alu 0xfffe
	s_cbranch_vccz .LBB142_20
.LBB142_4:                              ; =>This Inner Loop Header: Depth=1
	v_add_co_u32 v23, s2, v0, s20
	s_wait_alu 0xf1ff
	v_add_co_ci_u32_e64 v24, null, 0, s21, s2
	s_delay_alu instid0(VALU_DEP_1)
	v_cmp_gt_u64_e64 s4, s[16:17], v[23:24]
	v_mov_b32_e32 v24, 0
	s_and_saveexec_b32 s2, s4
	s_cbranch_execz .LBB142_6
; %bb.5:                                ;   in Loop: Header=BB142_4 Depth=1
	v_add_co_u32 v23, vcc_lo, v1, s10
	s_wait_alu 0xfffd
	v_add_co_ci_u32_e64 v24, null, s11, v2, vcc_lo
	global_load_u16 v23, v[23:24], off
	s_wait_loadcnt 0x0
	v_lshlrev_b32_e32 v24, 16, v23
.LBB142_6:                              ;   in Loop: Header=BB142_4 Depth=1
	s_wait_alu 0xfffe
	s_or_b32 exec_lo, exec_lo, s2
	v_add_co_u32 v25, vcc_lo, v13, s20
	s_wait_alu 0xfffd
	v_add_co_ci_u32_e64 v26, null, s21, v16, vcc_lo
	v_mov_b32_e32 v23, 0
	s_delay_alu instid0(VALU_DEP_2)
	v_cmp_gt_u64_e32 vcc_lo, s[16:17], v[25:26]
	v_mov_b32_e32 v25, 0
	s_and_saveexec_b32 s3, vcc_lo
	s_cbranch_execz .LBB142_8
; %bb.7:                                ;   in Loop: Header=BB142_4 Depth=1
	v_add_co_u32 v25, s2, v19, s10
	s_wait_alu 0xf1ff
	v_add_co_ci_u32_e64 v26, null, s11, v20, s2
	global_load_u16 v25, v[25:26], off
	s_wait_loadcnt 0x0
	v_lshlrev_b32_e32 v25, 16, v25
.LBB142_8:                              ;   in Loop: Header=BB142_4 Depth=1
	s_wait_alu 0xfffe
	s_or_b32 exec_lo, exec_lo, s3
	v_add_co_u32 v26, s2, v17, s20
	s_wait_alu 0xf1ff
	v_add_co_ci_u32_e64 v27, null, s21, v18, s2
	s_delay_alu instid0(VALU_DEP_1)
	v_cmp_gt_u64_e64 s2, s[16:17], v[26:27]
	s_and_saveexec_b32 s5, s2
	s_cbranch_execz .LBB142_10
; %bb.9:                                ;   in Loop: Header=BB142_4 Depth=1
	v_add_co_u32 v26, s3, v11, s10
	s_wait_alu 0xf1ff
	v_add_co_ci_u32_e64 v27, null, s11, v12, s3
	global_load_u16 v23, v[26:27], off
	s_wait_loadcnt 0x0
	v_lshlrev_b32_e32 v23, 16, v23
.LBB142_10:                             ;   in Loop: Header=BB142_4 Depth=1
	s_wait_alu 0xfffe
	s_or_b32 exec_lo, exec_lo, s5
	v_add_co_u32 v26, s3, v9, s20
	s_wait_alu 0xf1ff
	v_add_co_ci_u32_e64 v27, null, s21, v10, s3
	s_delay_alu instid0(VALU_DEP_1)
	v_cmp_gt_u64_e64 s3, s[16:17], v[26:27]
	v_mov_b32_e32 v26, 0
	s_and_saveexec_b32 s24, s3
	s_cbranch_execnz .LBB142_15
; %bb.11:                               ;   in Loop: Header=BB142_4 Depth=1
	s_or_b32 exec_lo, exec_lo, s24
	s_and_saveexec_b32 s24, s4
	s_cbranch_execnz .LBB142_16
.LBB142_12:                             ;   in Loop: Header=BB142_4 Depth=1
	s_or_b32 exec_lo, exec_lo, s24
	s_and_saveexec_b32 s5, vcc_lo
	s_cbranch_execnz .LBB142_17
.LBB142_13:                             ;   in Loop: Header=BB142_4 Depth=1
	s_wait_alu 0xfffe
	s_or_b32 exec_lo, exec_lo, s5
	s_and_saveexec_b32 s4, s2
	s_cbranch_execnz .LBB142_18
.LBB142_14:                             ;   in Loop: Header=BB142_4 Depth=1
	s_wait_alu 0xfffe
	s_or_b32 exec_lo, exec_lo, s4
	s_and_saveexec_b32 s4, s3
	s_cbranch_execz .LBB142_3
	s_branch .LBB142_19
.LBB142_15:                             ;   in Loop: Header=BB142_4 Depth=1
	v_add_co_u32 v26, s5, v5, s10
	s_wait_alu 0xf1ff
	v_add_co_ci_u32_e64 v27, null, s11, v6, s5
	global_load_u16 v26, v[26:27], off
	s_wait_loadcnt 0x0
	v_lshlrev_b32_e32 v26, 16, v26
	s_or_b32 exec_lo, exec_lo, s24
	s_and_saveexec_b32 s24, s4
	s_cbranch_execz .LBB142_12
.LBB142_16:                             ;   in Loop: Header=BB142_4 Depth=1
	v_cmp_u_f32_e64 s4, v24, v24
	v_cmp_lt_f32_e64 s5, s22, v24
	s_or_b32 s4, s4, s5
	s_wait_alu 0xfffe
	v_cndmask_b32_e64 v24, s22, v24, s4
	s_delay_alu instid0(VALU_DEP_1) | instskip(NEXT) | instid1(VALU_DEP_1)
	v_bfe_u32 v27, v24, 16, 1
	v_add3_u32 v27, v24, v27, 0x7fff
	s_delay_alu instid0(VALU_DEP_1)
	v_lshrrev_b32_e32 v29, 16, v27
	v_add_co_u32 v27, s4, v3, s10
	s_wait_alu 0xf1ff
	v_add_co_ci_u32_e64 v28, null, s11, v4, s4
	v_cmp_o_f32_e64 s4, v24, v24
	s_wait_alu 0xf1ff
	s_delay_alu instid0(VALU_DEP_1)
	v_cndmask_b32_e64 v24, 0x7fc0, v29, s4
	global_store_b16 v[27:28], v24, off
	s_or_b32 exec_lo, exec_lo, s24
	s_and_saveexec_b32 s5, vcc_lo
	s_cbranch_execz .LBB142_13
.LBB142_17:                             ;   in Loop: Header=BB142_4 Depth=1
	v_cmp_u_f32_e32 vcc_lo, v25, v25
	v_cmp_lt_f32_e64 s4, s22, v25
	s_or_b32 vcc_lo, vcc_lo, s4
	s_wait_alu 0xfffe
	v_cndmask_b32_e32 v24, s22, v25, vcc_lo
	s_delay_alu instid0(VALU_DEP_1) | instskip(SKIP_1) | instid1(VALU_DEP_2)
	v_bfe_u32 v25, v24, 16, 1
	v_cmp_o_f32_e32 vcc_lo, v24, v24
	v_add3_u32 v25, v24, v25, 0x7fff
	s_delay_alu instid0(VALU_DEP_1) | instskip(SKIP_1) | instid1(VALU_DEP_1)
	v_lshrrev_b32_e32 v25, 16, v25
	s_wait_alu 0xfffd
	v_cndmask_b32_e32 v27, 0x7fc0, v25, vcc_lo
	v_add_co_u32 v24, vcc_lo, v21, s10
	s_wait_alu 0xfffd
	v_add_co_ci_u32_e64 v25, null, s11, v22, vcc_lo
	global_store_b16 v[24:25], v27, off
	s_or_b32 exec_lo, exec_lo, s5
	s_and_saveexec_b32 s4, s2
	s_cbranch_execz .LBB142_14
.LBB142_18:                             ;   in Loop: Header=BB142_4 Depth=1
	v_cmp_u_f32_e32 vcc_lo, v23, v23
	v_cmp_lt_f32_e64 s2, s22, v23
	s_or_b32 vcc_lo, vcc_lo, s2
	s_wait_alu 0xfffe
	v_cndmask_b32_e32 v23, s22, v23, vcc_lo
	s_delay_alu instid0(VALU_DEP_1) | instskip(SKIP_1) | instid1(VALU_DEP_2)
	v_bfe_u32 v24, v23, 16, 1
	v_cmp_o_f32_e32 vcc_lo, v23, v23
	v_add3_u32 v24, v23, v24, 0x7fff
	s_delay_alu instid0(VALU_DEP_1) | instskip(SKIP_1) | instid1(VALU_DEP_1)
	v_lshrrev_b32_e32 v24, 16, v24
	s_wait_alu 0xfffd
	v_cndmask_b32_e32 v25, 0x7fc0, v24, vcc_lo
	v_add_co_u32 v23, vcc_lo, v14, s10
	s_wait_alu 0xfffd
	v_add_co_ci_u32_e64 v24, null, s11, v15, vcc_lo
	global_store_b16 v[23:24], v25, off
	s_or_b32 exec_lo, exec_lo, s4
	s_and_saveexec_b32 s4, s3
	s_cbranch_execz .LBB142_3
.LBB142_19:                             ;   in Loop: Header=BB142_4 Depth=1
	v_cmp_u_f32_e32 vcc_lo, v26, v26
	v_cmp_lt_f32_e64 s2, s22, v26
	s_or_b32 vcc_lo, vcc_lo, s2
	s_wait_alu 0xfffe
	v_cndmask_b32_e32 v23, s22, v26, vcc_lo
	s_delay_alu instid0(VALU_DEP_1) | instskip(SKIP_1) | instid1(VALU_DEP_2)
	v_bfe_u32 v24, v23, 16, 1
	v_cmp_o_f32_e32 vcc_lo, v23, v23
	v_add3_u32 v24, v23, v24, 0x7fff
	s_delay_alu instid0(VALU_DEP_1) | instskip(SKIP_1) | instid1(VALU_DEP_1)
	v_lshrrev_b32_e32 v24, 16, v24
	s_wait_alu 0xfffd
	v_cndmask_b32_e32 v25, 0x7fc0, v24, vcc_lo
	v_add_co_u32 v23, vcc_lo, v7, s10
	s_wait_alu 0xfffd
	v_add_co_ci_u32_e64 v24, null, s11, v8, vcc_lo
	global_store_b16 v[23:24], v25, off
	s_branch .LBB142_3
.LBB142_20:
	s_mov_b32 s2, 0
.LBB142_21:
	s_wait_alu 0xfffe
	s_and_not1_b32 vcc_lo, exec_lo, s2
	s_wait_alu 0xfffe
	s_cbranch_vccnz .LBB142_25
; %bb.22:
	v_cmp_gt_i64_e64 s2, 0x10000, s[12:13]
	v_dual_mov_b32 v2, 0 :: v_dual_lshlrev_b32 v1, 2, v0
	s_mov_b32 s5, 0
	s_and_b32 s2, s2, exec_lo
	s_cselect_b32 s13, s13, 0
	s_cselect_b32 s12, s12, 0x10000
	s_mov_b32 s2, exec_lo
	s_wait_alu 0xfffe
	v_cmpx_gt_i64_e64 s[12:13], v[1:2]
	s_cbranch_execz .LBB142_25
; %bb.23:
	s_load_b32 s0, s[0:1], 0xc5c
	v_lshlrev_b32_e32 v3, 3, v0
	v_mov_b32_e32 v1, v2
	s_delay_alu instid0(VALU_DEP_2) | instskip(NEXT) | instid1(VALU_DEP_1)
	v_add_co_u32 v2, s1, s10, v3
	v_add_co_ci_u32_e64 v3, null, s11, 0, s1
	s_wait_kmcnt 0x0
	s_and_b32 s10, s0, 0xffff
	s_wait_alu 0xfffe
	s_lshl_b32 s11, s10, 3
.LBB142_24:                             ; =>This Inner Loop Header: Depth=1
	v_add_co_u32 v4, vcc_lo, s6, v2
	s_wait_alu 0xfffd
	v_add_co_ci_u32_e64 v5, null, s7, v3, vcc_lo
	v_add_co_u32 v0, vcc_lo, v0, s10
	s_wait_alu 0xfffd
	v_add_co_ci_u32_e64 v1, null, 0, v1, vcc_lo
	global_load_b64 v[4:5], v[4:5], off
	v_add_co_u32 v6, vcc_lo, s8, v2
	s_wait_alu 0xfffd
	v_add_co_ci_u32_e64 v7, null, s9, v3, vcc_lo
	v_lshlrev_b64_e32 v[8:9], 2, v[0:1]
	s_wait_loadcnt 0x0
	v_and_b32_e32 v11, 0xffff0000, v4
	v_lshlrev_b32_e32 v10, 16, v4
	v_alignbit_b32 v4, v5, v4, 16
	v_and_b32_e32 v5, 0xffff0000, v5
	s_delay_alu instid0(VALU_DEP_4) | instskip(NEXT) | instid1(VALU_DEP_4)
	v_cmp_u_f32_e64 s1, v11, v11
	v_cmp_u_f32_e32 vcc_lo, v10, v10
	v_cmp_lt_f32_e64 s0, s22, v10
	v_cmp_lt_f32_e64 s2, s22, v11
	v_and_b32_e32 v4, 0xffff0000, v4
	v_cmp_u_f32_e64 s3, v5, v5
	v_cmp_lt_f32_e64 s4, s22, v5
	s_or_b32 vcc_lo, vcc_lo, s0
	s_wait_alu 0xfffe
	v_cndmask_b32_e32 v10, s22, v10, vcc_lo
	s_or_b32 vcc_lo, s1, s2
	v_cmp_lt_f32_e64 s0, s22, v4
	s_wait_alu 0xfffe
	v_cndmask_b32_e32 v11, s22, v11, vcc_lo
	v_cmp_u_f32_e32 vcc_lo, v4, v4
	s_or_b32 s1, s3, s4
	v_bfe_u32 v12, v10, 16, 1
	s_wait_alu 0xfffe
	v_cndmask_b32_e64 v5, s22, v5, s1
	v_bfe_u32 v13, v11, 16, 1
	s_or_b32 vcc_lo, vcc_lo, s0
	v_cmp_o_f32_e64 s0, v11, v11
	s_wait_alu 0xfffe
	v_cndmask_b32_e32 v4, s22, v4, vcc_lo
	v_bfe_u32 v14, v5, 16, 1
	v_add3_u32 v12, v10, v12, 0x7fff
	v_add3_u32 v13, v11, v13, 0x7fff
	v_cmp_o_f32_e32 vcc_lo, v5, v5
	v_bfe_u32 v15, v4, 16, 1
	v_add3_u32 v14, v5, v14, 0x7fff
	v_lshrrev_b32_e32 v12, 16, v12
	v_and_b32_e32 v13, 0xffff0000, v13
	v_cmp_o_f32_e64 s1, v10, v10
	v_add3_u32 v15, v4, v15, 0x7fff
	v_and_b32_e32 v14, 0xffff0000, v14
	s_wait_alu 0xf1ff
	v_cndmask_b32_e64 v10, 0x7fc00000, v13, s0
	v_cndmask_b32_e64 v11, 0x7fc0, v12, s1
	v_lshrrev_b32_e32 v5, 16, v15
	s_wait_alu 0xfffd
	v_cndmask_b32_e32 v12, 0x7fc00000, v14, vcc_lo
	v_cmp_o_f32_e32 vcc_lo, v4, v4
	v_cmp_le_i64_e64 s0, s[12:13], v[8:9]
	v_or_b32_e32 v10, v11, v10
	s_wait_alu 0xfffd
	v_cndmask_b32_e32 v4, 0x7fc0, v5, vcc_lo
	v_add_co_u32 v2, vcc_lo, v2, s11
	s_wait_alu 0xfffd
	v_add_co_ci_u32_e64 v3, null, 0, v3, vcc_lo
	s_delay_alu instid0(VALU_DEP_3)
	v_or3_b32 v5, 0, v4, v12
	v_or3_b32 v4, v10, 0, 0
	s_or_b32 s5, s0, s5
	global_store_b64 v[6:7], v[4:5], off
	s_wait_alu 0xfffe
	s_and_not1_b32 exec_lo, exec_lo, s5
	s_cbranch_execnz .LBB142_24
.LBB142_25:
	s_endpgm
	.section	.rodata,"a",@progbits
	.p2align	6, 0x0
	.amdhsa_kernel _ZN2at6native12_GLOBAL__N_125multi_tensor_apply_kernelINS1_18TensorListMetadataILi2EEENS1_21BinaryOpScalarFunctorIN3c108BFloat16ELi2ELi1ELi1EEEJNS0_7maximumIfEEfEEEvT_T0_DpT1_
		.amdhsa_group_segment_fixed_size 0
		.amdhsa_private_segment_fixed_size 0
		.amdhsa_kernarg_size 3408
		.amdhsa_user_sgpr_count 2
		.amdhsa_user_sgpr_dispatch_ptr 0
		.amdhsa_user_sgpr_queue_ptr 0
		.amdhsa_user_sgpr_kernarg_segment_ptr 1
		.amdhsa_user_sgpr_dispatch_id 0
		.amdhsa_user_sgpr_private_segment_size 0
		.amdhsa_wavefront_size32 1
		.amdhsa_uses_dynamic_stack 0
		.amdhsa_enable_private_segment 0
		.amdhsa_system_sgpr_workgroup_id_x 1
		.amdhsa_system_sgpr_workgroup_id_y 0
		.amdhsa_system_sgpr_workgroup_id_z 0
		.amdhsa_system_sgpr_workgroup_info 0
		.amdhsa_system_vgpr_workitem_id 0
		.amdhsa_next_free_vgpr 30
		.amdhsa_next_free_sgpr 25
		.amdhsa_reserve_vcc 1
		.amdhsa_float_round_mode_32 0
		.amdhsa_float_round_mode_16_64 0
		.amdhsa_float_denorm_mode_32 3
		.amdhsa_float_denorm_mode_16_64 3
		.amdhsa_fp16_overflow 0
		.amdhsa_workgroup_processor_mode 1
		.amdhsa_memory_ordered 1
		.amdhsa_forward_progress 1
		.amdhsa_inst_pref_size 18
		.amdhsa_round_robin_scheduling 0
		.amdhsa_exception_fp_ieee_invalid_op 0
		.amdhsa_exception_fp_denorm_src 0
		.amdhsa_exception_fp_ieee_div_zero 0
		.amdhsa_exception_fp_ieee_overflow 0
		.amdhsa_exception_fp_ieee_underflow 0
		.amdhsa_exception_fp_ieee_inexact 0
		.amdhsa_exception_int_div_zero 0
	.end_amdhsa_kernel
	.section	.text._ZN2at6native12_GLOBAL__N_125multi_tensor_apply_kernelINS1_18TensorListMetadataILi2EEENS1_21BinaryOpScalarFunctorIN3c108BFloat16ELi2ELi1ELi1EEEJNS0_7maximumIfEEfEEEvT_T0_DpT1_,"axG",@progbits,_ZN2at6native12_GLOBAL__N_125multi_tensor_apply_kernelINS1_18TensorListMetadataILi2EEENS1_21BinaryOpScalarFunctorIN3c108BFloat16ELi2ELi1ELi1EEEJNS0_7maximumIfEEfEEEvT_T0_DpT1_,comdat
.Lfunc_end142:
	.size	_ZN2at6native12_GLOBAL__N_125multi_tensor_apply_kernelINS1_18TensorListMetadataILi2EEENS1_21BinaryOpScalarFunctorIN3c108BFloat16ELi2ELi1ELi1EEEJNS0_7maximumIfEEfEEEvT_T0_DpT1_, .Lfunc_end142-_ZN2at6native12_GLOBAL__N_125multi_tensor_apply_kernelINS1_18TensorListMetadataILi2EEENS1_21BinaryOpScalarFunctorIN3c108BFloat16ELi2ELi1ELi1EEEJNS0_7maximumIfEEfEEEvT_T0_DpT1_
                                        ; -- End function
	.set _ZN2at6native12_GLOBAL__N_125multi_tensor_apply_kernelINS1_18TensorListMetadataILi2EEENS1_21BinaryOpScalarFunctorIN3c108BFloat16ELi2ELi1ELi1EEEJNS0_7maximumIfEEfEEEvT_T0_DpT1_.num_vgpr, 30
	.set _ZN2at6native12_GLOBAL__N_125multi_tensor_apply_kernelINS1_18TensorListMetadataILi2EEENS1_21BinaryOpScalarFunctorIN3c108BFloat16ELi2ELi1ELi1EEEJNS0_7maximumIfEEfEEEvT_T0_DpT1_.num_agpr, 0
	.set _ZN2at6native12_GLOBAL__N_125multi_tensor_apply_kernelINS1_18TensorListMetadataILi2EEENS1_21BinaryOpScalarFunctorIN3c108BFloat16ELi2ELi1ELi1EEEJNS0_7maximumIfEEfEEEvT_T0_DpT1_.numbered_sgpr, 25
	.set _ZN2at6native12_GLOBAL__N_125multi_tensor_apply_kernelINS1_18TensorListMetadataILi2EEENS1_21BinaryOpScalarFunctorIN3c108BFloat16ELi2ELi1ELi1EEEJNS0_7maximumIfEEfEEEvT_T0_DpT1_.num_named_barrier, 0
	.set _ZN2at6native12_GLOBAL__N_125multi_tensor_apply_kernelINS1_18TensorListMetadataILi2EEENS1_21BinaryOpScalarFunctorIN3c108BFloat16ELi2ELi1ELi1EEEJNS0_7maximumIfEEfEEEvT_T0_DpT1_.private_seg_size, 0
	.set _ZN2at6native12_GLOBAL__N_125multi_tensor_apply_kernelINS1_18TensorListMetadataILi2EEENS1_21BinaryOpScalarFunctorIN3c108BFloat16ELi2ELi1ELi1EEEJNS0_7maximumIfEEfEEEvT_T0_DpT1_.uses_vcc, 1
	.set _ZN2at6native12_GLOBAL__N_125multi_tensor_apply_kernelINS1_18TensorListMetadataILi2EEENS1_21BinaryOpScalarFunctorIN3c108BFloat16ELi2ELi1ELi1EEEJNS0_7maximumIfEEfEEEvT_T0_DpT1_.uses_flat_scratch, 0
	.set _ZN2at6native12_GLOBAL__N_125multi_tensor_apply_kernelINS1_18TensorListMetadataILi2EEENS1_21BinaryOpScalarFunctorIN3c108BFloat16ELi2ELi1ELi1EEEJNS0_7maximumIfEEfEEEvT_T0_DpT1_.has_dyn_sized_stack, 0
	.set _ZN2at6native12_GLOBAL__N_125multi_tensor_apply_kernelINS1_18TensorListMetadataILi2EEENS1_21BinaryOpScalarFunctorIN3c108BFloat16ELi2ELi1ELi1EEEJNS0_7maximumIfEEfEEEvT_T0_DpT1_.has_recursion, 0
	.set _ZN2at6native12_GLOBAL__N_125multi_tensor_apply_kernelINS1_18TensorListMetadataILi2EEENS1_21BinaryOpScalarFunctorIN3c108BFloat16ELi2ELi1ELi1EEEJNS0_7maximumIfEEfEEEvT_T0_DpT1_.has_indirect_call, 0
	.section	.AMDGPU.csdata,"",@progbits
; Kernel info:
; codeLenInByte = 2256
; TotalNumSgprs: 27
; NumVgprs: 30
; ScratchSize: 0
; MemoryBound: 0
; FloatMode: 240
; IeeeMode: 1
; LDSByteSize: 0 bytes/workgroup (compile time only)
; SGPRBlocks: 0
; VGPRBlocks: 3
; NumSGPRsForWavesPerEU: 27
; NumVGPRsForWavesPerEU: 30
; Occupancy: 16
; WaveLimiterHint : 0
; COMPUTE_PGM_RSRC2:SCRATCH_EN: 0
; COMPUTE_PGM_RSRC2:USER_SGPR: 2
; COMPUTE_PGM_RSRC2:TRAP_HANDLER: 0
; COMPUTE_PGM_RSRC2:TGID_X_EN: 1
; COMPUTE_PGM_RSRC2:TGID_Y_EN: 0
; COMPUTE_PGM_RSRC2:TGID_Z_EN: 0
; COMPUTE_PGM_RSRC2:TIDIG_COMP_CNT: 0
	.text
	.p2alignl 7, 3214868480
	.fill 96, 4, 3214868480
	.section	.AMDGPU.gpr_maximums,"",@progbits
	.set amdgpu.max_num_vgpr, 68
	.set amdgpu.max_num_agpr, 0
	.set amdgpu.max_num_sgpr, 32
	.text
	.type	__hip_cuid_7c891825ac2d7a76,@object ; @__hip_cuid_7c891825ac2d7a76
	.section	.bss,"aw",@nobits
	.globl	__hip_cuid_7c891825ac2d7a76
__hip_cuid_7c891825ac2d7a76:
	.byte	0                               ; 0x0
	.size	__hip_cuid_7c891825ac2d7a76, 1

	.ident	"AMD clang version 22.0.0git (https://github.com/RadeonOpenCompute/llvm-project roc-7.2.4 26084 f58b06dce1f9c15707c5f808fd002e18c2accf7e)"
	.section	".note.GNU-stack","",@progbits
	.addrsig
	.addrsig_sym __hip_cuid_7c891825ac2d7a76
	.amdgpu_metadata
---
amdhsa.kernels:
  - .args:
      - .offset:         0
        .size:           3368
        .value_kind:     by_value
      - .offset:         3368
        .size:           1
        .value_kind:     by_value
      - .offset:         3369
        .size:           1
        .value_kind:     by_value
      - .offset:         3370
        .size:           1
        .value_kind:     by_value
      - .offset:         3376
        .size:           4
        .value_kind:     hidden_block_count_x
      - .offset:         3380
        .size:           4
        .value_kind:     hidden_block_count_y
      - .offset:         3384
        .size:           4
        .value_kind:     hidden_block_count_z
      - .offset:         3388
        .size:           2
        .value_kind:     hidden_group_size_x
      - .offset:         3390
        .size:           2
        .value_kind:     hidden_group_size_y
      - .offset:         3392
        .size:           2
        .value_kind:     hidden_group_size_z
      - .offset:         3394
        .size:           2
        .value_kind:     hidden_remainder_x
      - .offset:         3396
        .size:           2
        .value_kind:     hidden_remainder_y
      - .offset:         3398
        .size:           2
        .value_kind:     hidden_remainder_z
      - .offset:         3416
        .size:           8
        .value_kind:     hidden_global_offset_x
      - .offset:         3424
        .size:           8
        .value_kind:     hidden_global_offset_y
      - .offset:         3432
        .size:           8
        .value_kind:     hidden_global_offset_z
      - .offset:         3440
        .size:           2
        .value_kind:     hidden_grid_dims
    .group_segment_fixed_size: 0
    .kernarg_segment_align: 8
    .kernarg_segment_size: 3632
    .language:       OpenCL C
    .language_version:
      - 2
      - 0
    .max_flat_workgroup_size: 512
    .name:           _ZN2at6native12_GLOBAL__N_125multi_tensor_apply_kernelINS1_18TensorListMetadataILi1EEENS1_21BinaryOpScalarFunctorIhLi1ELi1ELi0EEEJSt4plusIhEhEEEvT_T0_DpT1_
    .private_segment_fixed_size: 0
    .sgpr_count:     26
    .sgpr_spill_count: 0
    .symbol:         _ZN2at6native12_GLOBAL__N_125multi_tensor_apply_kernelINS1_18TensorListMetadataILi1EEENS1_21BinaryOpScalarFunctorIhLi1ELi1ELi0EEEJSt4plusIhEhEEEvT_T0_DpT1_.kd
    .uniform_work_group_size: 1
    .uses_dynamic_stack: false
    .vgpr_count:     21
    .vgpr_spill_count: 0
    .wavefront_size: 32
    .workgroup_processor_mode: 1
  - .args:
      - .offset:         0
        .size:           3368
        .value_kind:     by_value
      - .offset:         3368
        .size:           1
        .value_kind:     by_value
      - .offset:         3369
        .size:           1
        .value_kind:     by_value
      - .offset:         3370
        .size:           1
        .value_kind:     by_value
      - .offset:         3376
        .size:           4
        .value_kind:     hidden_block_count_x
      - .offset:         3380
        .size:           4
        .value_kind:     hidden_block_count_y
      - .offset:         3384
        .size:           4
        .value_kind:     hidden_block_count_z
      - .offset:         3388
        .size:           2
        .value_kind:     hidden_group_size_x
      - .offset:         3390
        .size:           2
        .value_kind:     hidden_group_size_y
      - .offset:         3392
        .size:           2
        .value_kind:     hidden_group_size_z
      - .offset:         3394
        .size:           2
        .value_kind:     hidden_remainder_x
      - .offset:         3396
        .size:           2
        .value_kind:     hidden_remainder_y
      - .offset:         3398
        .size:           2
        .value_kind:     hidden_remainder_z
      - .offset:         3416
        .size:           8
        .value_kind:     hidden_global_offset_x
      - .offset:         3424
        .size:           8
        .value_kind:     hidden_global_offset_y
      - .offset:         3432
        .size:           8
        .value_kind:     hidden_global_offset_z
      - .offset:         3440
        .size:           2
        .value_kind:     hidden_grid_dims
    .group_segment_fixed_size: 0
    .kernarg_segment_align: 8
    .kernarg_segment_size: 3632
    .language:       OpenCL C
    .language_version:
      - 2
      - 0
    .max_flat_workgroup_size: 512
    .name:           _ZN2at6native12_GLOBAL__N_125multi_tensor_apply_kernelINS1_18TensorListMetadataILi1EEENS1_21BinaryOpScalarFunctorIaLi1ELi1ELi0EEEJSt4plusIaEaEEEvT_T0_DpT1_
    .private_segment_fixed_size: 0
    .sgpr_count:     26
    .sgpr_spill_count: 0
    .symbol:         _ZN2at6native12_GLOBAL__N_125multi_tensor_apply_kernelINS1_18TensorListMetadataILi1EEENS1_21BinaryOpScalarFunctorIaLi1ELi1ELi0EEEJSt4plusIaEaEEEvT_T0_DpT1_.kd
    .uniform_work_group_size: 1
    .uses_dynamic_stack: false
    .vgpr_count:     21
    .vgpr_spill_count: 0
    .wavefront_size: 32
    .workgroup_processor_mode: 1
  - .args:
      - .offset:         0
        .size:           3368
        .value_kind:     by_value
      - .offset:         3368
        .size:           1
        .value_kind:     by_value
      - .offset:         3369
        .size:           1
        .value_kind:     by_value
      - .offset:         3372
        .size:           4
        .value_kind:     by_value
      - .offset:         3376
        .size:           4
        .value_kind:     hidden_block_count_x
      - .offset:         3380
        .size:           4
        .value_kind:     hidden_block_count_y
      - .offset:         3384
        .size:           4
        .value_kind:     hidden_block_count_z
      - .offset:         3388
        .size:           2
        .value_kind:     hidden_group_size_x
      - .offset:         3390
        .size:           2
        .value_kind:     hidden_group_size_y
      - .offset:         3392
        .size:           2
        .value_kind:     hidden_group_size_z
      - .offset:         3394
        .size:           2
        .value_kind:     hidden_remainder_x
      - .offset:         3396
        .size:           2
        .value_kind:     hidden_remainder_y
      - .offset:         3398
        .size:           2
        .value_kind:     hidden_remainder_z
      - .offset:         3416
        .size:           8
        .value_kind:     hidden_global_offset_x
      - .offset:         3424
        .size:           8
        .value_kind:     hidden_global_offset_y
      - .offset:         3432
        .size:           8
        .value_kind:     hidden_global_offset_z
      - .offset:         3440
        .size:           2
        .value_kind:     hidden_grid_dims
    .group_segment_fixed_size: 0
    .kernarg_segment_align: 8
    .kernarg_segment_size: 3632
    .language:       OpenCL C
    .language_version:
      - 2
      - 0
    .max_flat_workgroup_size: 512
    .name:           _ZN2at6native12_GLOBAL__N_125multi_tensor_apply_kernelINS1_18TensorListMetadataILi1EEENS1_21BinaryOpScalarFunctorIiLi1ELi1ELi0EEEJSt4plusIiEiEEEvT_T0_DpT1_
    .private_segment_fixed_size: 0
    .sgpr_count:     28
    .sgpr_spill_count: 0
    .symbol:         _ZN2at6native12_GLOBAL__N_125multi_tensor_apply_kernelINS1_18TensorListMetadataILi1EEENS1_21BinaryOpScalarFunctorIiLi1ELi1ELi0EEEJSt4plusIiEiEEEvT_T0_DpT1_.kd
    .uniform_work_group_size: 1
    .uses_dynamic_stack: false
    .vgpr_count:     16
    .vgpr_spill_count: 0
    .wavefront_size: 32
    .workgroup_processor_mode: 1
  - .args:
      - .offset:         0
        .size:           3368
        .value_kind:     by_value
      - .offset:         3368
        .size:           1
        .value_kind:     by_value
      - .offset:         3369
        .size:           1
        .value_kind:     by_value
      - .offset:         3376
        .size:           8
        .value_kind:     by_value
      - .offset:         3384
        .size:           4
        .value_kind:     hidden_block_count_x
      - .offset:         3388
        .size:           4
        .value_kind:     hidden_block_count_y
      - .offset:         3392
        .size:           4
        .value_kind:     hidden_block_count_z
      - .offset:         3396
        .size:           2
        .value_kind:     hidden_group_size_x
      - .offset:         3398
        .size:           2
        .value_kind:     hidden_group_size_y
      - .offset:         3400
        .size:           2
        .value_kind:     hidden_group_size_z
      - .offset:         3402
        .size:           2
        .value_kind:     hidden_remainder_x
      - .offset:         3404
        .size:           2
        .value_kind:     hidden_remainder_y
      - .offset:         3406
        .size:           2
        .value_kind:     hidden_remainder_z
      - .offset:         3424
        .size:           8
        .value_kind:     hidden_global_offset_x
      - .offset:         3432
        .size:           8
        .value_kind:     hidden_global_offset_y
      - .offset:         3440
        .size:           8
        .value_kind:     hidden_global_offset_z
      - .offset:         3448
        .size:           2
        .value_kind:     hidden_grid_dims
    .group_segment_fixed_size: 0
    .kernarg_segment_align: 8
    .kernarg_segment_size: 3640
    .language:       OpenCL C
    .language_version:
      - 2
      - 0
    .max_flat_workgroup_size: 512
    .name:           _ZN2at6native12_GLOBAL__N_125multi_tensor_apply_kernelINS1_18TensorListMetadataILi1EEENS1_21BinaryOpScalarFunctorIlLi1ELi1ELi0EEEJSt4plusIlElEEEvT_T0_DpT1_
    .private_segment_fixed_size: 0
    .sgpr_count:     29
    .sgpr_spill_count: 0
    .symbol:         _ZN2at6native12_GLOBAL__N_125multi_tensor_apply_kernelINS1_18TensorListMetadataILi1EEENS1_21BinaryOpScalarFunctorIlLi1ELi1ELi0EEEJSt4plusIlElEEEvT_T0_DpT1_.kd
    .uniform_work_group_size: 1
    .uses_dynamic_stack: false
    .vgpr_count:     21
    .vgpr_spill_count: 0
    .wavefront_size: 32
    .workgroup_processor_mode: 1
  - .args:
      - .offset:         0
        .size:           3368
        .value_kind:     by_value
      - .offset:         3368
        .size:           1
        .value_kind:     by_value
      - .offset:         3369
        .size:           1
        .value_kind:     by_value
      - .offset:         3370
        .size:           2
        .value_kind:     by_value
      - .offset:         3376
        .size:           4
        .value_kind:     hidden_block_count_x
      - .offset:         3380
        .size:           4
        .value_kind:     hidden_block_count_y
      - .offset:         3384
        .size:           4
        .value_kind:     hidden_block_count_z
      - .offset:         3388
        .size:           2
        .value_kind:     hidden_group_size_x
      - .offset:         3390
        .size:           2
        .value_kind:     hidden_group_size_y
      - .offset:         3392
        .size:           2
        .value_kind:     hidden_group_size_z
      - .offset:         3394
        .size:           2
        .value_kind:     hidden_remainder_x
      - .offset:         3396
        .size:           2
        .value_kind:     hidden_remainder_y
      - .offset:         3398
        .size:           2
        .value_kind:     hidden_remainder_z
      - .offset:         3416
        .size:           8
        .value_kind:     hidden_global_offset_x
      - .offset:         3424
        .size:           8
        .value_kind:     hidden_global_offset_y
      - .offset:         3432
        .size:           8
        .value_kind:     hidden_global_offset_z
      - .offset:         3440
        .size:           2
        .value_kind:     hidden_grid_dims
    .group_segment_fixed_size: 0
    .kernarg_segment_align: 8
    .kernarg_segment_size: 3632
    .language:       OpenCL C
    .language_version:
      - 2
      - 0
    .max_flat_workgroup_size: 512
    .name:           _ZN2at6native12_GLOBAL__N_125multi_tensor_apply_kernelINS1_18TensorListMetadataILi1EEENS1_21BinaryOpScalarFunctorIsLi1ELi1ELi0EEEJSt4plusIsEsEEEvT_T0_DpT1_
    .private_segment_fixed_size: 0
    .sgpr_count:     27
    .sgpr_spill_count: 0
    .symbol:         _ZN2at6native12_GLOBAL__N_125multi_tensor_apply_kernelINS1_18TensorListMetadataILi1EEENS1_21BinaryOpScalarFunctorIsLi1ELi1ELi0EEEJSt4plusIsEsEEEvT_T0_DpT1_.kd
    .uniform_work_group_size: 1
    .uses_dynamic_stack: false
    .vgpr_count:     16
    .vgpr_spill_count: 0
    .wavefront_size: 32
    .workgroup_processor_mode: 1
  - .args:
      - .offset:         0
        .size:           3368
        .value_kind:     by_value
      - .offset:         3368
        .size:           1
        .value_kind:     by_value
      - .offset:         3369
        .size:           1
        .value_kind:     by_value
      - .offset:         3376
        .size:           8
        .value_kind:     by_value
      - .offset:         3384
        .size:           4
        .value_kind:     hidden_block_count_x
      - .offset:         3388
        .size:           4
        .value_kind:     hidden_block_count_y
      - .offset:         3392
        .size:           4
        .value_kind:     hidden_block_count_z
      - .offset:         3396
        .size:           2
        .value_kind:     hidden_group_size_x
      - .offset:         3398
        .size:           2
        .value_kind:     hidden_group_size_y
      - .offset:         3400
        .size:           2
        .value_kind:     hidden_group_size_z
      - .offset:         3402
        .size:           2
        .value_kind:     hidden_remainder_x
      - .offset:         3404
        .size:           2
        .value_kind:     hidden_remainder_y
      - .offset:         3406
        .size:           2
        .value_kind:     hidden_remainder_z
      - .offset:         3424
        .size:           8
        .value_kind:     hidden_global_offset_x
      - .offset:         3432
        .size:           8
        .value_kind:     hidden_global_offset_y
      - .offset:         3440
        .size:           8
        .value_kind:     hidden_global_offset_z
      - .offset:         3448
        .size:           2
        .value_kind:     hidden_grid_dims
    .group_segment_fixed_size: 0
    .kernarg_segment_align: 8
    .kernarg_segment_size: 3640
    .language:       OpenCL C
    .language_version:
      - 2
      - 0
    .max_flat_workgroup_size: 512
    .name:           _ZN2at6native12_GLOBAL__N_125multi_tensor_apply_kernelINS1_18TensorListMetadataILi1EEENS1_21BinaryOpScalarFunctorIdLi1ELi1ELi0EEEJSt4plusIdEdEEEvT_T0_DpT1_
    .private_segment_fixed_size: 0
    .sgpr_count:     29
    .sgpr_spill_count: 0
    .symbol:         _ZN2at6native12_GLOBAL__N_125multi_tensor_apply_kernelINS1_18TensorListMetadataILi1EEENS1_21BinaryOpScalarFunctorIdLi1ELi1ELi0EEEJSt4plusIdEdEEEvT_T0_DpT1_.kd
    .uniform_work_group_size: 1
    .uses_dynamic_stack: false
    .vgpr_count:     21
    .vgpr_spill_count: 0
    .wavefront_size: 32
    .workgroup_processor_mode: 1
  - .args:
      - .offset:         0
        .size:           3368
        .value_kind:     by_value
      - .offset:         3368
        .size:           1
        .value_kind:     by_value
      - .offset:         3369
        .size:           1
        .value_kind:     by_value
      - .offset:         3372
        .size:           4
        .value_kind:     by_value
      - .offset:         3376
        .size:           4
        .value_kind:     hidden_block_count_x
      - .offset:         3380
        .size:           4
        .value_kind:     hidden_block_count_y
      - .offset:         3384
        .size:           4
        .value_kind:     hidden_block_count_z
      - .offset:         3388
        .size:           2
        .value_kind:     hidden_group_size_x
      - .offset:         3390
        .size:           2
        .value_kind:     hidden_group_size_y
      - .offset:         3392
        .size:           2
        .value_kind:     hidden_group_size_z
      - .offset:         3394
        .size:           2
        .value_kind:     hidden_remainder_x
      - .offset:         3396
        .size:           2
        .value_kind:     hidden_remainder_y
      - .offset:         3398
        .size:           2
        .value_kind:     hidden_remainder_z
      - .offset:         3416
        .size:           8
        .value_kind:     hidden_global_offset_x
      - .offset:         3424
        .size:           8
        .value_kind:     hidden_global_offset_y
      - .offset:         3432
        .size:           8
        .value_kind:     hidden_global_offset_z
      - .offset:         3440
        .size:           2
        .value_kind:     hidden_grid_dims
    .group_segment_fixed_size: 0
    .kernarg_segment_align: 8
    .kernarg_segment_size: 3632
    .language:       OpenCL C
    .language_version:
      - 2
      - 0
    .max_flat_workgroup_size: 512
    .name:           _ZN2at6native12_GLOBAL__N_125multi_tensor_apply_kernelINS1_18TensorListMetadataILi1EEENS1_21BinaryOpScalarFunctorIfLi1ELi1ELi0EEEJSt4plusIfEfEEEvT_T0_DpT1_
    .private_segment_fixed_size: 0
    .sgpr_count:     28
    .sgpr_spill_count: 0
    .symbol:         _ZN2at6native12_GLOBAL__N_125multi_tensor_apply_kernelINS1_18TensorListMetadataILi1EEENS1_21BinaryOpScalarFunctorIfLi1ELi1ELi0EEEJSt4plusIfEfEEEvT_T0_DpT1_.kd
    .uniform_work_group_size: 1
    .uses_dynamic_stack: false
    .vgpr_count:     16
    .vgpr_spill_count: 0
    .wavefront_size: 32
    .workgroup_processor_mode: 1
  - .args:
      - .offset:         0
        .size:           3368
        .value_kind:     by_value
      - .offset:         3368
        .size:           1
        .value_kind:     by_value
      - .offset:         3369
        .size:           1
        .value_kind:     by_value
      - .offset:         3376
        .size:           16
        .value_kind:     by_value
      - .offset:         3392
        .size:           4
        .value_kind:     hidden_block_count_x
      - .offset:         3396
        .size:           4
        .value_kind:     hidden_block_count_y
      - .offset:         3400
        .size:           4
        .value_kind:     hidden_block_count_z
      - .offset:         3404
        .size:           2
        .value_kind:     hidden_group_size_x
      - .offset:         3406
        .size:           2
        .value_kind:     hidden_group_size_y
      - .offset:         3408
        .size:           2
        .value_kind:     hidden_group_size_z
      - .offset:         3410
        .size:           2
        .value_kind:     hidden_remainder_x
      - .offset:         3412
        .size:           2
        .value_kind:     hidden_remainder_y
      - .offset:         3414
        .size:           2
        .value_kind:     hidden_remainder_z
      - .offset:         3432
        .size:           8
        .value_kind:     hidden_global_offset_x
      - .offset:         3440
        .size:           8
        .value_kind:     hidden_global_offset_y
      - .offset:         3448
        .size:           8
        .value_kind:     hidden_global_offset_z
      - .offset:         3456
        .size:           2
        .value_kind:     hidden_grid_dims
    .group_segment_fixed_size: 0
    .kernarg_segment_align: 16
    .kernarg_segment_size: 3648
    .language:       OpenCL C
    .language_version:
      - 2
      - 0
    .max_flat_workgroup_size: 512
    .name:           _ZN2at6native12_GLOBAL__N_125multi_tensor_apply_kernelINS1_18TensorListMetadataILi1EEENS1_21BinaryOpScalarFunctorIN3c107complexIdEELi1ELi1ELi0EEEJSt4plusIS8_ES8_EEEvT_T0_DpT1_
    .private_segment_fixed_size: 0
    .sgpr_count:     31
    .sgpr_spill_count: 0
    .symbol:         _ZN2at6native12_GLOBAL__N_125multi_tensor_apply_kernelINS1_18TensorListMetadataILi1EEENS1_21BinaryOpScalarFunctorIN3c107complexIdEELi1ELi1ELi0EEEJSt4plusIS8_ES8_EEEvT_T0_DpT1_.kd
    .uniform_work_group_size: 1
    .uses_dynamic_stack: false
    .vgpr_count:     31
    .vgpr_spill_count: 0
    .wavefront_size: 32
    .workgroup_processor_mode: 1
  - .args:
      - .offset:         0
        .size:           3368
        .value_kind:     by_value
      - .offset:         3368
        .size:           1
        .value_kind:     by_value
      - .offset:         3369
        .size:           1
        .value_kind:     by_value
      - .offset:         3376
        .size:           8
        .value_kind:     by_value
      - .offset:         3384
        .size:           4
        .value_kind:     hidden_block_count_x
      - .offset:         3388
        .size:           4
        .value_kind:     hidden_block_count_y
      - .offset:         3392
        .size:           4
        .value_kind:     hidden_block_count_z
      - .offset:         3396
        .size:           2
        .value_kind:     hidden_group_size_x
      - .offset:         3398
        .size:           2
        .value_kind:     hidden_group_size_y
      - .offset:         3400
        .size:           2
        .value_kind:     hidden_group_size_z
      - .offset:         3402
        .size:           2
        .value_kind:     hidden_remainder_x
      - .offset:         3404
        .size:           2
        .value_kind:     hidden_remainder_y
      - .offset:         3406
        .size:           2
        .value_kind:     hidden_remainder_z
      - .offset:         3424
        .size:           8
        .value_kind:     hidden_global_offset_x
      - .offset:         3432
        .size:           8
        .value_kind:     hidden_global_offset_y
      - .offset:         3440
        .size:           8
        .value_kind:     hidden_global_offset_z
      - .offset:         3448
        .size:           2
        .value_kind:     hidden_grid_dims
    .group_segment_fixed_size: 0
    .kernarg_segment_align: 8
    .kernarg_segment_size: 3640
    .language:       OpenCL C
    .language_version:
      - 2
      - 0
    .max_flat_workgroup_size: 512
    .name:           _ZN2at6native12_GLOBAL__N_125multi_tensor_apply_kernelINS1_18TensorListMetadataILi1EEENS1_21BinaryOpScalarFunctorIN3c107complexIfEELi1ELi1ELi0EEEJSt4plusIS8_ES8_EEEvT_T0_DpT1_
    .private_segment_fixed_size: 16
    .sgpr_count:     26
    .sgpr_spill_count: 0
    .symbol:         _ZN2at6native12_GLOBAL__N_125multi_tensor_apply_kernelINS1_18TensorListMetadataILi1EEENS1_21BinaryOpScalarFunctorIN3c107complexIfEELi1ELi1ELi0EEEJSt4plusIS8_ES8_EEEvT_T0_DpT1_.kd
    .uniform_work_group_size: 1
    .uses_dynamic_stack: false
    .vgpr_count:     19
    .vgpr_spill_count: 0
    .wavefront_size: 32
    .workgroup_processor_mode: 1
  - .args:
      - .offset:         0
        .size:           3368
        .value_kind:     by_value
      - .offset:         3368
        .size:           1
        .value_kind:     by_value
      - .offset:         3369
        .size:           1
        .value_kind:     by_value
      - .offset:         3370
        .size:           1
        .value_kind:     by_value
      - .offset:         3376
        .size:           4
        .value_kind:     hidden_block_count_x
      - .offset:         3380
        .size:           4
        .value_kind:     hidden_block_count_y
      - .offset:         3384
        .size:           4
        .value_kind:     hidden_block_count_z
      - .offset:         3388
        .size:           2
        .value_kind:     hidden_group_size_x
      - .offset:         3390
        .size:           2
        .value_kind:     hidden_group_size_y
      - .offset:         3392
        .size:           2
        .value_kind:     hidden_group_size_z
      - .offset:         3394
        .size:           2
        .value_kind:     hidden_remainder_x
      - .offset:         3396
        .size:           2
        .value_kind:     hidden_remainder_y
      - .offset:         3398
        .size:           2
        .value_kind:     hidden_remainder_z
      - .offset:         3416
        .size:           8
        .value_kind:     hidden_global_offset_x
      - .offset:         3424
        .size:           8
        .value_kind:     hidden_global_offset_y
      - .offset:         3432
        .size:           8
        .value_kind:     hidden_global_offset_z
      - .offset:         3440
        .size:           2
        .value_kind:     hidden_grid_dims
    .group_segment_fixed_size: 0
    .kernarg_segment_align: 8
    .kernarg_segment_size: 3632
    .language:       OpenCL C
    .language_version:
      - 2
      - 0
    .max_flat_workgroup_size: 512
    .name:           _ZN2at6native12_GLOBAL__N_125multi_tensor_apply_kernelINS1_18TensorListMetadataILi1EEENS1_21BinaryOpScalarFunctorIbLi1ELi1ELi0EEEJSt4plusIbEbEEEvT_T0_DpT1_
    .private_segment_fixed_size: 0
    .sgpr_count:     24
    .sgpr_spill_count: 0
    .symbol:         _ZN2at6native12_GLOBAL__N_125multi_tensor_apply_kernelINS1_18TensorListMetadataILi1EEENS1_21BinaryOpScalarFunctorIbLi1ELi1ELi0EEEJSt4plusIbEbEEEvT_T0_DpT1_.kd
    .uniform_work_group_size: 1
    .uses_dynamic_stack: false
    .vgpr_count:     21
    .vgpr_spill_count: 0
    .wavefront_size: 32
    .workgroup_processor_mode: 1
  - .args:
      - .offset:         0
        .size:           3368
        .value_kind:     by_value
      - .offset:         3368
        .size:           1
        .value_kind:     by_value
      - .offset:         3369
        .size:           1
        .value_kind:     by_value
      - .offset:         3372
        .size:           4
        .value_kind:     by_value
      - .offset:         3376
        .size:           4
        .value_kind:     hidden_block_count_x
      - .offset:         3380
        .size:           4
        .value_kind:     hidden_block_count_y
      - .offset:         3384
        .size:           4
        .value_kind:     hidden_block_count_z
      - .offset:         3388
        .size:           2
        .value_kind:     hidden_group_size_x
      - .offset:         3390
        .size:           2
        .value_kind:     hidden_group_size_y
      - .offset:         3392
        .size:           2
        .value_kind:     hidden_group_size_z
      - .offset:         3394
        .size:           2
        .value_kind:     hidden_remainder_x
      - .offset:         3396
        .size:           2
        .value_kind:     hidden_remainder_y
      - .offset:         3398
        .size:           2
        .value_kind:     hidden_remainder_z
      - .offset:         3416
        .size:           8
        .value_kind:     hidden_global_offset_x
      - .offset:         3424
        .size:           8
        .value_kind:     hidden_global_offset_y
      - .offset:         3432
        .size:           8
        .value_kind:     hidden_global_offset_z
      - .offset:         3440
        .size:           2
        .value_kind:     hidden_grid_dims
    .group_segment_fixed_size: 0
    .kernarg_segment_align: 8
    .kernarg_segment_size: 3632
    .language:       OpenCL C
    .language_version:
      - 2
      - 0
    .max_flat_workgroup_size: 512
    .name:           _ZN2at6native12_GLOBAL__N_125multi_tensor_apply_kernelINS1_18TensorListMetadataILi1EEENS1_21BinaryOpScalarFunctorIN3c104HalfELi1ELi1ELi0EEEJSt4plusIfEfEEEvT_T0_DpT1_
    .private_segment_fixed_size: 0
    .sgpr_count:     27
    .sgpr_spill_count: 0
    .symbol:         _ZN2at6native12_GLOBAL__N_125multi_tensor_apply_kernelINS1_18TensorListMetadataILi1EEENS1_21BinaryOpScalarFunctorIN3c104HalfELi1ELi1ELi0EEEJSt4plusIfEfEEEvT_T0_DpT1_.kd
    .uniform_work_group_size: 1
    .uses_dynamic_stack: false
    .vgpr_count:     16
    .vgpr_spill_count: 0
    .wavefront_size: 32
    .workgroup_processor_mode: 1
  - .args:
      - .offset:         0
        .size:           3368
        .value_kind:     by_value
      - .offset:         3368
        .size:           1
        .value_kind:     by_value
      - .offset:         3369
        .size:           1
        .value_kind:     by_value
      - .offset:         3372
        .size:           4
        .value_kind:     by_value
      - .offset:         3376
        .size:           4
        .value_kind:     hidden_block_count_x
      - .offset:         3380
        .size:           4
        .value_kind:     hidden_block_count_y
      - .offset:         3384
        .size:           4
        .value_kind:     hidden_block_count_z
      - .offset:         3388
        .size:           2
        .value_kind:     hidden_group_size_x
      - .offset:         3390
        .size:           2
        .value_kind:     hidden_group_size_y
      - .offset:         3392
        .size:           2
        .value_kind:     hidden_group_size_z
      - .offset:         3394
        .size:           2
        .value_kind:     hidden_remainder_x
      - .offset:         3396
        .size:           2
        .value_kind:     hidden_remainder_y
      - .offset:         3398
        .size:           2
        .value_kind:     hidden_remainder_z
      - .offset:         3416
        .size:           8
        .value_kind:     hidden_global_offset_x
      - .offset:         3424
        .size:           8
        .value_kind:     hidden_global_offset_y
      - .offset:         3432
        .size:           8
        .value_kind:     hidden_global_offset_z
      - .offset:         3440
        .size:           2
        .value_kind:     hidden_grid_dims
    .group_segment_fixed_size: 0
    .kernarg_segment_align: 8
    .kernarg_segment_size: 3632
    .language:       OpenCL C
    .language_version:
      - 2
      - 0
    .max_flat_workgroup_size: 512
    .name:           _ZN2at6native12_GLOBAL__N_125multi_tensor_apply_kernelINS1_18TensorListMetadataILi1EEENS1_21BinaryOpScalarFunctorIN3c108BFloat16ELi1ELi1ELi0EEEJSt4plusIfEfEEEvT_T0_DpT1_
    .private_segment_fixed_size: 0
    .sgpr_count:     27
    .sgpr_spill_count: 0
    .symbol:         _ZN2at6native12_GLOBAL__N_125multi_tensor_apply_kernelINS1_18TensorListMetadataILi1EEENS1_21BinaryOpScalarFunctorIN3c108BFloat16ELi1ELi1ELi0EEEJSt4plusIfEfEEEvT_T0_DpT1_.kd
    .uniform_work_group_size: 1
    .uses_dynamic_stack: false
    .vgpr_count:     16
    .vgpr_spill_count: 0
    .wavefront_size: 32
    .workgroup_processor_mode: 1
  - .args:
      - .offset:         0
        .size:           3144
        .value_kind:     by_value
      - .offset:         3144
        .size:           1
        .value_kind:     by_value
      - .offset:         3145
        .size:           1
        .value_kind:     by_value
      - .offset:         3146
        .size:           1
        .value_kind:     by_value
      - .offset:         3152
        .size:           4
        .value_kind:     hidden_block_count_x
      - .offset:         3156
        .size:           4
        .value_kind:     hidden_block_count_y
      - .offset:         3160
        .size:           4
        .value_kind:     hidden_block_count_z
      - .offset:         3164
        .size:           2
        .value_kind:     hidden_group_size_x
      - .offset:         3166
        .size:           2
        .value_kind:     hidden_group_size_y
      - .offset:         3168
        .size:           2
        .value_kind:     hidden_group_size_z
      - .offset:         3170
        .size:           2
        .value_kind:     hidden_remainder_x
      - .offset:         3172
        .size:           2
        .value_kind:     hidden_remainder_y
      - .offset:         3174
        .size:           2
        .value_kind:     hidden_remainder_z
      - .offset:         3192
        .size:           8
        .value_kind:     hidden_global_offset_x
      - .offset:         3200
        .size:           8
        .value_kind:     hidden_global_offset_y
      - .offset:         3208
        .size:           8
        .value_kind:     hidden_global_offset_z
      - .offset:         3216
        .size:           2
        .value_kind:     hidden_grid_dims
    .group_segment_fixed_size: 0
    .kernarg_segment_align: 8
    .kernarg_segment_size: 3408
    .language:       OpenCL C
    .language_version:
      - 2
      - 0
    .max_flat_workgroup_size: 512
    .name:           _ZN2at6native12_GLOBAL__N_125multi_tensor_apply_kernelINS1_18TensorListMetadataILi2EEENS1_21BinaryOpScalarFunctorIhLi2ELi1ELi1EEEJSt4plusIhEhEEEvT_T0_DpT1_
    .private_segment_fixed_size: 0
    .sgpr_count:     27
    .sgpr_spill_count: 0
    .symbol:         _ZN2at6native12_GLOBAL__N_125multi_tensor_apply_kernelINS1_18TensorListMetadataILi2EEENS1_21BinaryOpScalarFunctorIhLi2ELi1ELi1EEEJSt4plusIhEhEEEvT_T0_DpT1_.kd
    .uniform_work_group_size: 1
    .uses_dynamic_stack: false
    .vgpr_count:     29
    .vgpr_spill_count: 0
    .wavefront_size: 32
    .workgroup_processor_mode: 1
  - .args:
      - .offset:         0
        .size:           3144
        .value_kind:     by_value
      - .offset:         3144
        .size:           1
        .value_kind:     by_value
      - .offset:         3145
        .size:           1
        .value_kind:     by_value
      - .offset:         3146
        .size:           1
        .value_kind:     by_value
      - .offset:         3152
        .size:           4
        .value_kind:     hidden_block_count_x
      - .offset:         3156
        .size:           4
        .value_kind:     hidden_block_count_y
      - .offset:         3160
        .size:           4
        .value_kind:     hidden_block_count_z
      - .offset:         3164
        .size:           2
        .value_kind:     hidden_group_size_x
      - .offset:         3166
        .size:           2
        .value_kind:     hidden_group_size_y
      - .offset:         3168
        .size:           2
        .value_kind:     hidden_group_size_z
      - .offset:         3170
        .size:           2
        .value_kind:     hidden_remainder_x
      - .offset:         3172
        .size:           2
        .value_kind:     hidden_remainder_y
      - .offset:         3174
        .size:           2
        .value_kind:     hidden_remainder_z
      - .offset:         3192
        .size:           8
        .value_kind:     hidden_global_offset_x
      - .offset:         3200
        .size:           8
        .value_kind:     hidden_global_offset_y
      - .offset:         3208
        .size:           8
        .value_kind:     hidden_global_offset_z
      - .offset:         3216
        .size:           2
        .value_kind:     hidden_grid_dims
    .group_segment_fixed_size: 0
    .kernarg_segment_align: 8
    .kernarg_segment_size: 3408
    .language:       OpenCL C
    .language_version:
      - 2
      - 0
    .max_flat_workgroup_size: 512
    .name:           _ZN2at6native12_GLOBAL__N_125multi_tensor_apply_kernelINS1_18TensorListMetadataILi2EEENS1_21BinaryOpScalarFunctorIaLi2ELi1ELi1EEEJSt4plusIaEaEEEvT_T0_DpT1_
    .private_segment_fixed_size: 0
    .sgpr_count:     27
    .sgpr_spill_count: 0
    .symbol:         _ZN2at6native12_GLOBAL__N_125multi_tensor_apply_kernelINS1_18TensorListMetadataILi2EEENS1_21BinaryOpScalarFunctorIaLi2ELi1ELi1EEEJSt4plusIaEaEEEvT_T0_DpT1_.kd
    .uniform_work_group_size: 1
    .uses_dynamic_stack: false
    .vgpr_count:     29
    .vgpr_spill_count: 0
    .wavefront_size: 32
    .workgroup_processor_mode: 1
  - .args:
      - .offset:         0
        .size:           3144
        .value_kind:     by_value
      - .offset:         3144
        .size:           1
        .value_kind:     by_value
      - .offset:         3145
        .size:           1
        .value_kind:     by_value
      - .offset:         3148
        .size:           4
        .value_kind:     by_value
      - .offset:         3152
        .size:           4
        .value_kind:     hidden_block_count_x
      - .offset:         3156
        .size:           4
        .value_kind:     hidden_block_count_y
      - .offset:         3160
        .size:           4
        .value_kind:     hidden_block_count_z
      - .offset:         3164
        .size:           2
        .value_kind:     hidden_group_size_x
      - .offset:         3166
        .size:           2
        .value_kind:     hidden_group_size_y
      - .offset:         3168
        .size:           2
        .value_kind:     hidden_group_size_z
      - .offset:         3170
        .size:           2
        .value_kind:     hidden_remainder_x
      - .offset:         3172
        .size:           2
        .value_kind:     hidden_remainder_y
      - .offset:         3174
        .size:           2
        .value_kind:     hidden_remainder_z
      - .offset:         3192
        .size:           8
        .value_kind:     hidden_global_offset_x
      - .offset:         3200
        .size:           8
        .value_kind:     hidden_global_offset_y
      - .offset:         3208
        .size:           8
        .value_kind:     hidden_global_offset_z
      - .offset:         3216
        .size:           2
        .value_kind:     hidden_grid_dims
    .group_segment_fixed_size: 0
    .kernarg_segment_align: 8
    .kernarg_segment_size: 3408
    .language:       OpenCL C
    .language_version:
      - 2
      - 0
    .max_flat_workgroup_size: 512
    .name:           _ZN2at6native12_GLOBAL__N_125multi_tensor_apply_kernelINS1_18TensorListMetadataILi2EEENS1_21BinaryOpScalarFunctorIiLi2ELi1ELi1EEEJSt4plusIiEiEEEvT_T0_DpT1_
    .private_segment_fixed_size: 0
    .sgpr_count:     27
    .sgpr_spill_count: 0
    .symbol:         _ZN2at6native12_GLOBAL__N_125multi_tensor_apply_kernelINS1_18TensorListMetadataILi2EEENS1_21BinaryOpScalarFunctorIiLi2ELi1ELi1EEEJSt4plusIiEiEEEvT_T0_DpT1_.kd
    .uniform_work_group_size: 1
    .uses_dynamic_stack: false
    .vgpr_count:     29
    .vgpr_spill_count: 0
    .wavefront_size: 32
    .workgroup_processor_mode: 1
  - .args:
      - .offset:         0
        .size:           3144
        .value_kind:     by_value
      - .offset:         3144
        .size:           1
        .value_kind:     by_value
      - .offset:         3145
        .size:           1
        .value_kind:     by_value
      - .offset:         3152
        .size:           8
        .value_kind:     by_value
      - .offset:         3160
        .size:           4
        .value_kind:     hidden_block_count_x
      - .offset:         3164
        .size:           4
        .value_kind:     hidden_block_count_y
      - .offset:         3168
        .size:           4
        .value_kind:     hidden_block_count_z
      - .offset:         3172
        .size:           2
        .value_kind:     hidden_group_size_x
      - .offset:         3174
        .size:           2
        .value_kind:     hidden_group_size_y
      - .offset:         3176
        .size:           2
        .value_kind:     hidden_group_size_z
      - .offset:         3178
        .size:           2
        .value_kind:     hidden_remainder_x
      - .offset:         3180
        .size:           2
        .value_kind:     hidden_remainder_y
      - .offset:         3182
        .size:           2
        .value_kind:     hidden_remainder_z
      - .offset:         3200
        .size:           8
        .value_kind:     hidden_global_offset_x
      - .offset:         3208
        .size:           8
        .value_kind:     hidden_global_offset_y
      - .offset:         3216
        .size:           8
        .value_kind:     hidden_global_offset_z
      - .offset:         3224
        .size:           2
        .value_kind:     hidden_grid_dims
    .group_segment_fixed_size: 0
    .kernarg_segment_align: 8
    .kernarg_segment_size: 3416
    .language:       OpenCL C
    .language_version:
      - 2
      - 0
    .max_flat_workgroup_size: 512
    .name:           _ZN2at6native12_GLOBAL__N_125multi_tensor_apply_kernelINS1_18TensorListMetadataILi2EEENS1_21BinaryOpScalarFunctorIlLi2ELi1ELi1EEEJSt4plusIlElEEEvT_T0_DpT1_
    .private_segment_fixed_size: 0
    .sgpr_count:     28
    .sgpr_spill_count: 0
    .symbol:         _ZN2at6native12_GLOBAL__N_125multi_tensor_apply_kernelINS1_18TensorListMetadataILi2EEENS1_21BinaryOpScalarFunctorIlLi2ELi1ELi1EEEJSt4plusIlElEEEvT_T0_DpT1_.kd
    .uniform_work_group_size: 1
    .uses_dynamic_stack: false
    .vgpr_count:     33
    .vgpr_spill_count: 0
    .wavefront_size: 32
    .workgroup_processor_mode: 1
  - .args:
      - .offset:         0
        .size:           3144
        .value_kind:     by_value
      - .offset:         3144
        .size:           1
        .value_kind:     by_value
      - .offset:         3145
        .size:           1
        .value_kind:     by_value
      - .offset:         3146
        .size:           2
        .value_kind:     by_value
      - .offset:         3152
        .size:           4
        .value_kind:     hidden_block_count_x
      - .offset:         3156
        .size:           4
        .value_kind:     hidden_block_count_y
      - .offset:         3160
        .size:           4
        .value_kind:     hidden_block_count_z
      - .offset:         3164
        .size:           2
        .value_kind:     hidden_group_size_x
      - .offset:         3166
        .size:           2
        .value_kind:     hidden_group_size_y
      - .offset:         3168
        .size:           2
        .value_kind:     hidden_group_size_z
      - .offset:         3170
        .size:           2
        .value_kind:     hidden_remainder_x
      - .offset:         3172
        .size:           2
        .value_kind:     hidden_remainder_y
      - .offset:         3174
        .size:           2
        .value_kind:     hidden_remainder_z
      - .offset:         3192
        .size:           8
        .value_kind:     hidden_global_offset_x
      - .offset:         3200
        .size:           8
        .value_kind:     hidden_global_offset_y
      - .offset:         3208
        .size:           8
        .value_kind:     hidden_global_offset_z
      - .offset:         3216
        .size:           2
        .value_kind:     hidden_grid_dims
    .group_segment_fixed_size: 0
    .kernarg_segment_align: 8
    .kernarg_segment_size: 3408
    .language:       OpenCL C
    .language_version:
      - 2
      - 0
    .max_flat_workgroup_size: 512
    .name:           _ZN2at6native12_GLOBAL__N_125multi_tensor_apply_kernelINS1_18TensorListMetadataILi2EEENS1_21BinaryOpScalarFunctorIsLi2ELi1ELi1EEEJSt4plusIsEsEEEvT_T0_DpT1_
    .private_segment_fixed_size: 0
    .sgpr_count:     27
    .sgpr_spill_count: 0
    .symbol:         _ZN2at6native12_GLOBAL__N_125multi_tensor_apply_kernelINS1_18TensorListMetadataILi2EEENS1_21BinaryOpScalarFunctorIsLi2ELi1ELi1EEEJSt4plusIsEsEEEvT_T0_DpT1_.kd
    .uniform_work_group_size: 1
    .uses_dynamic_stack: false
    .vgpr_count:     29
    .vgpr_spill_count: 0
    .wavefront_size: 32
    .workgroup_processor_mode: 1
  - .args:
      - .offset:         0
        .size:           3144
        .value_kind:     by_value
      - .offset:         3144
        .size:           1
        .value_kind:     by_value
      - .offset:         3145
        .size:           1
        .value_kind:     by_value
      - .offset:         3152
        .size:           8
        .value_kind:     by_value
      - .offset:         3160
        .size:           4
        .value_kind:     hidden_block_count_x
      - .offset:         3164
        .size:           4
        .value_kind:     hidden_block_count_y
      - .offset:         3168
        .size:           4
        .value_kind:     hidden_block_count_z
      - .offset:         3172
        .size:           2
        .value_kind:     hidden_group_size_x
      - .offset:         3174
        .size:           2
        .value_kind:     hidden_group_size_y
      - .offset:         3176
        .size:           2
        .value_kind:     hidden_group_size_z
      - .offset:         3178
        .size:           2
        .value_kind:     hidden_remainder_x
      - .offset:         3180
        .size:           2
        .value_kind:     hidden_remainder_y
      - .offset:         3182
        .size:           2
        .value_kind:     hidden_remainder_z
      - .offset:         3200
        .size:           8
        .value_kind:     hidden_global_offset_x
      - .offset:         3208
        .size:           8
        .value_kind:     hidden_global_offset_y
      - .offset:         3216
        .size:           8
        .value_kind:     hidden_global_offset_z
      - .offset:         3224
        .size:           2
        .value_kind:     hidden_grid_dims
    .group_segment_fixed_size: 0
    .kernarg_segment_align: 8
    .kernarg_segment_size: 3416
    .language:       OpenCL C
    .language_version:
      - 2
      - 0
    .max_flat_workgroup_size: 512
    .name:           _ZN2at6native12_GLOBAL__N_125multi_tensor_apply_kernelINS1_18TensorListMetadataILi2EEENS1_21BinaryOpScalarFunctorIdLi2ELi1ELi1EEEJSt4plusIdEdEEEvT_T0_DpT1_
    .private_segment_fixed_size: 0
    .sgpr_count:     28
    .sgpr_spill_count: 0
    .symbol:         _ZN2at6native12_GLOBAL__N_125multi_tensor_apply_kernelINS1_18TensorListMetadataILi2EEENS1_21BinaryOpScalarFunctorIdLi2ELi1ELi1EEEJSt4plusIdEdEEEvT_T0_DpT1_.kd
    .uniform_work_group_size: 1
    .uses_dynamic_stack: false
    .vgpr_count:     33
    .vgpr_spill_count: 0
    .wavefront_size: 32
    .workgroup_processor_mode: 1
  - .args:
      - .offset:         0
        .size:           3144
        .value_kind:     by_value
      - .offset:         3144
        .size:           1
        .value_kind:     by_value
      - .offset:         3145
        .size:           1
        .value_kind:     by_value
      - .offset:         3148
        .size:           4
        .value_kind:     by_value
      - .offset:         3152
        .size:           4
        .value_kind:     hidden_block_count_x
      - .offset:         3156
        .size:           4
        .value_kind:     hidden_block_count_y
      - .offset:         3160
        .size:           4
        .value_kind:     hidden_block_count_z
      - .offset:         3164
        .size:           2
        .value_kind:     hidden_group_size_x
      - .offset:         3166
        .size:           2
        .value_kind:     hidden_group_size_y
      - .offset:         3168
        .size:           2
        .value_kind:     hidden_group_size_z
      - .offset:         3170
        .size:           2
        .value_kind:     hidden_remainder_x
      - .offset:         3172
        .size:           2
        .value_kind:     hidden_remainder_y
      - .offset:         3174
        .size:           2
        .value_kind:     hidden_remainder_z
      - .offset:         3192
        .size:           8
        .value_kind:     hidden_global_offset_x
      - .offset:         3200
        .size:           8
        .value_kind:     hidden_global_offset_y
      - .offset:         3208
        .size:           8
        .value_kind:     hidden_global_offset_z
      - .offset:         3216
        .size:           2
        .value_kind:     hidden_grid_dims
    .group_segment_fixed_size: 0
    .kernarg_segment_align: 8
    .kernarg_segment_size: 3408
    .language:       OpenCL C
    .language_version:
      - 2
      - 0
    .max_flat_workgroup_size: 512
    .name:           _ZN2at6native12_GLOBAL__N_125multi_tensor_apply_kernelINS1_18TensorListMetadataILi2EEENS1_21BinaryOpScalarFunctorIfLi2ELi1ELi1EEEJSt4plusIfEfEEEvT_T0_DpT1_
    .private_segment_fixed_size: 0
    .sgpr_count:     27
    .sgpr_spill_count: 0
    .symbol:         _ZN2at6native12_GLOBAL__N_125multi_tensor_apply_kernelINS1_18TensorListMetadataILi2EEENS1_21BinaryOpScalarFunctorIfLi2ELi1ELi1EEEJSt4plusIfEfEEEvT_T0_DpT1_.kd
    .uniform_work_group_size: 1
    .uses_dynamic_stack: false
    .vgpr_count:     29
    .vgpr_spill_count: 0
    .wavefront_size: 32
    .workgroup_processor_mode: 1
  - .args:
      - .offset:         0
        .size:           3144
        .value_kind:     by_value
      - .offset:         3144
        .size:           1
        .value_kind:     by_value
      - .offset:         3145
        .size:           1
        .value_kind:     by_value
      - .offset:         3152
        .size:           16
        .value_kind:     by_value
      - .offset:         3168
        .size:           4
        .value_kind:     hidden_block_count_x
      - .offset:         3172
        .size:           4
        .value_kind:     hidden_block_count_y
      - .offset:         3176
        .size:           4
        .value_kind:     hidden_block_count_z
      - .offset:         3180
        .size:           2
        .value_kind:     hidden_group_size_x
      - .offset:         3182
        .size:           2
        .value_kind:     hidden_group_size_y
      - .offset:         3184
        .size:           2
        .value_kind:     hidden_group_size_z
      - .offset:         3186
        .size:           2
        .value_kind:     hidden_remainder_x
      - .offset:         3188
        .size:           2
        .value_kind:     hidden_remainder_y
      - .offset:         3190
        .size:           2
        .value_kind:     hidden_remainder_z
      - .offset:         3208
        .size:           8
        .value_kind:     hidden_global_offset_x
      - .offset:         3216
        .size:           8
        .value_kind:     hidden_global_offset_y
      - .offset:         3224
        .size:           8
        .value_kind:     hidden_global_offset_z
      - .offset:         3232
        .size:           2
        .value_kind:     hidden_grid_dims
    .group_segment_fixed_size: 0
    .kernarg_segment_align: 16
    .kernarg_segment_size: 3424
    .language:       OpenCL C
    .language_version:
      - 2
      - 0
    .max_flat_workgroup_size: 512
    .name:           _ZN2at6native12_GLOBAL__N_125multi_tensor_apply_kernelINS1_18TensorListMetadataILi2EEENS1_21BinaryOpScalarFunctorIN3c107complexIdEELi2ELi1ELi1EEEJSt4plusIS8_ES8_EEEvT_T0_DpT1_
    .private_segment_fixed_size: 0
    .sgpr_count:     30
    .sgpr_spill_count: 0
    .symbol:         _ZN2at6native12_GLOBAL__N_125multi_tensor_apply_kernelINS1_18TensorListMetadataILi2EEENS1_21BinaryOpScalarFunctorIN3c107complexIdEELi2ELi1ELi1EEEJSt4plusIS8_ES8_EEEvT_T0_DpT1_.kd
    .uniform_work_group_size: 1
    .uses_dynamic_stack: false
    .vgpr_count:     25
    .vgpr_spill_count: 0
    .wavefront_size: 32
    .workgroup_processor_mode: 1
  - .args:
      - .offset:         0
        .size:           3144
        .value_kind:     by_value
      - .offset:         3144
        .size:           1
        .value_kind:     by_value
      - .offset:         3145
        .size:           1
        .value_kind:     by_value
      - .offset:         3152
        .size:           8
        .value_kind:     by_value
      - .offset:         3160
        .size:           4
        .value_kind:     hidden_block_count_x
      - .offset:         3164
        .size:           4
        .value_kind:     hidden_block_count_y
      - .offset:         3168
        .size:           4
        .value_kind:     hidden_block_count_z
      - .offset:         3172
        .size:           2
        .value_kind:     hidden_group_size_x
      - .offset:         3174
        .size:           2
        .value_kind:     hidden_group_size_y
      - .offset:         3176
        .size:           2
        .value_kind:     hidden_group_size_z
      - .offset:         3178
        .size:           2
        .value_kind:     hidden_remainder_x
      - .offset:         3180
        .size:           2
        .value_kind:     hidden_remainder_y
      - .offset:         3182
        .size:           2
        .value_kind:     hidden_remainder_z
      - .offset:         3200
        .size:           8
        .value_kind:     hidden_global_offset_x
      - .offset:         3208
        .size:           8
        .value_kind:     hidden_global_offset_y
      - .offset:         3216
        .size:           8
        .value_kind:     hidden_global_offset_z
      - .offset:         3224
        .size:           2
        .value_kind:     hidden_grid_dims
    .group_segment_fixed_size: 0
    .kernarg_segment_align: 8
    .kernarg_segment_size: 3416
    .language:       OpenCL C
    .language_version:
      - 2
      - 0
    .max_flat_workgroup_size: 512
    .name:           _ZN2at6native12_GLOBAL__N_125multi_tensor_apply_kernelINS1_18TensorListMetadataILi2EEENS1_21BinaryOpScalarFunctorIN3c107complexIfEELi2ELi1ELi1EEEJSt4plusIS8_ES8_EEEvT_T0_DpT1_
    .private_segment_fixed_size: 16
    .sgpr_count:     28
    .sgpr_spill_count: 0
    .symbol:         _ZN2at6native12_GLOBAL__N_125multi_tensor_apply_kernelINS1_18TensorListMetadataILi2EEENS1_21BinaryOpScalarFunctorIN3c107complexIfEELi2ELi1ELi1EEEJSt4plusIS8_ES8_EEEvT_T0_DpT1_.kd
    .uniform_work_group_size: 1
    .uses_dynamic_stack: false
    .vgpr_count:     21
    .vgpr_spill_count: 0
    .wavefront_size: 32
    .workgroup_processor_mode: 1
  - .args:
      - .offset:         0
        .size:           3144
        .value_kind:     by_value
      - .offset:         3144
        .size:           1
        .value_kind:     by_value
      - .offset:         3145
        .size:           1
        .value_kind:     by_value
      - .offset:         3146
        .size:           1
        .value_kind:     by_value
      - .offset:         3152
        .size:           4
        .value_kind:     hidden_block_count_x
      - .offset:         3156
        .size:           4
        .value_kind:     hidden_block_count_y
      - .offset:         3160
        .size:           4
        .value_kind:     hidden_block_count_z
      - .offset:         3164
        .size:           2
        .value_kind:     hidden_group_size_x
      - .offset:         3166
        .size:           2
        .value_kind:     hidden_group_size_y
      - .offset:         3168
        .size:           2
        .value_kind:     hidden_group_size_z
      - .offset:         3170
        .size:           2
        .value_kind:     hidden_remainder_x
      - .offset:         3172
        .size:           2
        .value_kind:     hidden_remainder_y
      - .offset:         3174
        .size:           2
        .value_kind:     hidden_remainder_z
      - .offset:         3192
        .size:           8
        .value_kind:     hidden_global_offset_x
      - .offset:         3200
        .size:           8
        .value_kind:     hidden_global_offset_y
      - .offset:         3208
        .size:           8
        .value_kind:     hidden_global_offset_z
      - .offset:         3216
        .size:           2
        .value_kind:     hidden_grid_dims
    .group_segment_fixed_size: 0
    .kernarg_segment_align: 8
    .kernarg_segment_size: 3408
    .language:       OpenCL C
    .language_version:
      - 2
      - 0
    .max_flat_workgroup_size: 512
    .name:           _ZN2at6native12_GLOBAL__N_125multi_tensor_apply_kernelINS1_18TensorListMetadataILi2EEENS1_21BinaryOpScalarFunctorIbLi2ELi1ELi1EEEJSt4plusIbEbEEEvT_T0_DpT1_
    .private_segment_fixed_size: 0
    .sgpr_count:     26
    .sgpr_spill_count: 0
    .symbol:         _ZN2at6native12_GLOBAL__N_125multi_tensor_apply_kernelINS1_18TensorListMetadataILi2EEENS1_21BinaryOpScalarFunctorIbLi2ELi1ELi1EEEJSt4plusIbEbEEEvT_T0_DpT1_.kd
    .uniform_work_group_size: 1
    .uses_dynamic_stack: false
    .vgpr_count:     29
    .vgpr_spill_count: 0
    .wavefront_size: 32
    .workgroup_processor_mode: 1
  - .args:
      - .offset:         0
        .size:           3144
        .value_kind:     by_value
      - .offset:         3144
        .size:           1
        .value_kind:     by_value
      - .offset:         3145
        .size:           1
        .value_kind:     by_value
      - .offset:         3148
        .size:           4
        .value_kind:     by_value
      - .offset:         3152
        .size:           4
        .value_kind:     hidden_block_count_x
      - .offset:         3156
        .size:           4
        .value_kind:     hidden_block_count_y
      - .offset:         3160
        .size:           4
        .value_kind:     hidden_block_count_z
      - .offset:         3164
        .size:           2
        .value_kind:     hidden_group_size_x
      - .offset:         3166
        .size:           2
        .value_kind:     hidden_group_size_y
      - .offset:         3168
        .size:           2
        .value_kind:     hidden_group_size_z
      - .offset:         3170
        .size:           2
        .value_kind:     hidden_remainder_x
      - .offset:         3172
        .size:           2
        .value_kind:     hidden_remainder_y
      - .offset:         3174
        .size:           2
        .value_kind:     hidden_remainder_z
      - .offset:         3192
        .size:           8
        .value_kind:     hidden_global_offset_x
      - .offset:         3200
        .size:           8
        .value_kind:     hidden_global_offset_y
      - .offset:         3208
        .size:           8
        .value_kind:     hidden_global_offset_z
      - .offset:         3216
        .size:           2
        .value_kind:     hidden_grid_dims
    .group_segment_fixed_size: 0
    .kernarg_segment_align: 8
    .kernarg_segment_size: 3408
    .language:       OpenCL C
    .language_version:
      - 2
      - 0
    .max_flat_workgroup_size: 512
    .name:           _ZN2at6native12_GLOBAL__N_125multi_tensor_apply_kernelINS1_18TensorListMetadataILi2EEENS1_21BinaryOpScalarFunctorIN3c104HalfELi2ELi1ELi1EEEJSt4plusIfEfEEEvT_T0_DpT1_
    .private_segment_fixed_size: 0
    .sgpr_count:     27
    .sgpr_spill_count: 0
    .symbol:         _ZN2at6native12_GLOBAL__N_125multi_tensor_apply_kernelINS1_18TensorListMetadataILi2EEENS1_21BinaryOpScalarFunctorIN3c104HalfELi2ELi1ELi1EEEJSt4plusIfEfEEEvT_T0_DpT1_.kd
    .uniform_work_group_size: 1
    .uses_dynamic_stack: false
    .vgpr_count:     29
    .vgpr_spill_count: 0
    .wavefront_size: 32
    .workgroup_processor_mode: 1
  - .args:
      - .offset:         0
        .size:           3144
        .value_kind:     by_value
      - .offset:         3144
        .size:           1
        .value_kind:     by_value
      - .offset:         3145
        .size:           1
        .value_kind:     by_value
      - .offset:         3148
        .size:           4
        .value_kind:     by_value
      - .offset:         3152
        .size:           4
        .value_kind:     hidden_block_count_x
      - .offset:         3156
        .size:           4
        .value_kind:     hidden_block_count_y
      - .offset:         3160
        .size:           4
        .value_kind:     hidden_block_count_z
      - .offset:         3164
        .size:           2
        .value_kind:     hidden_group_size_x
      - .offset:         3166
        .size:           2
        .value_kind:     hidden_group_size_y
      - .offset:         3168
        .size:           2
        .value_kind:     hidden_group_size_z
      - .offset:         3170
        .size:           2
        .value_kind:     hidden_remainder_x
      - .offset:         3172
        .size:           2
        .value_kind:     hidden_remainder_y
      - .offset:         3174
        .size:           2
        .value_kind:     hidden_remainder_z
      - .offset:         3192
        .size:           8
        .value_kind:     hidden_global_offset_x
      - .offset:         3200
        .size:           8
        .value_kind:     hidden_global_offset_y
      - .offset:         3208
        .size:           8
        .value_kind:     hidden_global_offset_z
      - .offset:         3216
        .size:           2
        .value_kind:     hidden_grid_dims
    .group_segment_fixed_size: 0
    .kernarg_segment_align: 8
    .kernarg_segment_size: 3408
    .language:       OpenCL C
    .language_version:
      - 2
      - 0
    .max_flat_workgroup_size: 512
    .name:           _ZN2at6native12_GLOBAL__N_125multi_tensor_apply_kernelINS1_18TensorListMetadataILi2EEENS1_21BinaryOpScalarFunctorIN3c108BFloat16ELi2ELi1ELi1EEEJSt4plusIfEfEEEvT_T0_DpT1_
    .private_segment_fixed_size: 0
    .sgpr_count:     27
    .sgpr_spill_count: 0
    .symbol:         _ZN2at6native12_GLOBAL__N_125multi_tensor_apply_kernelINS1_18TensorListMetadataILi2EEENS1_21BinaryOpScalarFunctorIN3c108BFloat16ELi2ELi1ELi1EEEJSt4plusIfEfEEEvT_T0_DpT1_.kd
    .uniform_work_group_size: 1
    .uses_dynamic_stack: false
    .vgpr_count:     30
    .vgpr_spill_count: 0
    .wavefront_size: 32
    .workgroup_processor_mode: 1
  - .args:
      - .offset:         0
        .size:           3368
        .value_kind:     by_value
      - .offset:         3368
        .size:           1
        .value_kind:     by_value
      - .offset:         3369
        .size:           1
        .value_kind:     by_value
      - .offset:         3370
        .size:           1
        .value_kind:     by_value
      - .offset:         3376
        .size:           4
        .value_kind:     hidden_block_count_x
      - .offset:         3380
        .size:           4
        .value_kind:     hidden_block_count_y
      - .offset:         3384
        .size:           4
        .value_kind:     hidden_block_count_z
      - .offset:         3388
        .size:           2
        .value_kind:     hidden_group_size_x
      - .offset:         3390
        .size:           2
        .value_kind:     hidden_group_size_y
      - .offset:         3392
        .size:           2
        .value_kind:     hidden_group_size_z
      - .offset:         3394
        .size:           2
        .value_kind:     hidden_remainder_x
      - .offset:         3396
        .size:           2
        .value_kind:     hidden_remainder_y
      - .offset:         3398
        .size:           2
        .value_kind:     hidden_remainder_z
      - .offset:         3416
        .size:           8
        .value_kind:     hidden_global_offset_x
      - .offset:         3424
        .size:           8
        .value_kind:     hidden_global_offset_y
      - .offset:         3432
        .size:           8
        .value_kind:     hidden_global_offset_z
      - .offset:         3440
        .size:           2
        .value_kind:     hidden_grid_dims
    .group_segment_fixed_size: 0
    .kernarg_segment_align: 8
    .kernarg_segment_size: 3632
    .language:       OpenCL C
    .language_version:
      - 2
      - 0
    .max_flat_workgroup_size: 512
    .name:           _ZN2at6native12_GLOBAL__N_125multi_tensor_apply_kernelINS1_18TensorListMetadataILi1EEENS1_21BinaryOpScalarFunctorIhLi1ELi1ELi0EEEJSt10multipliesIhEhEEEvT_T0_DpT1_
    .private_segment_fixed_size: 0
    .sgpr_count:     26
    .sgpr_spill_count: 0
    .symbol:         _ZN2at6native12_GLOBAL__N_125multi_tensor_apply_kernelINS1_18TensorListMetadataILi1EEENS1_21BinaryOpScalarFunctorIhLi1ELi1ELi0EEEJSt10multipliesIhEhEEEvT_T0_DpT1_.kd
    .uniform_work_group_size: 1
    .uses_dynamic_stack: false
    .vgpr_count:     21
    .vgpr_spill_count: 0
    .wavefront_size: 32
    .workgroup_processor_mode: 1
  - .args:
      - .offset:         0
        .size:           3368
        .value_kind:     by_value
      - .offset:         3368
        .size:           1
        .value_kind:     by_value
      - .offset:         3369
        .size:           1
        .value_kind:     by_value
      - .offset:         3370
        .size:           1
        .value_kind:     by_value
      - .offset:         3376
        .size:           4
        .value_kind:     hidden_block_count_x
      - .offset:         3380
        .size:           4
        .value_kind:     hidden_block_count_y
      - .offset:         3384
        .size:           4
        .value_kind:     hidden_block_count_z
      - .offset:         3388
        .size:           2
        .value_kind:     hidden_group_size_x
      - .offset:         3390
        .size:           2
        .value_kind:     hidden_group_size_y
      - .offset:         3392
        .size:           2
        .value_kind:     hidden_group_size_z
      - .offset:         3394
        .size:           2
        .value_kind:     hidden_remainder_x
      - .offset:         3396
        .size:           2
        .value_kind:     hidden_remainder_y
      - .offset:         3398
        .size:           2
        .value_kind:     hidden_remainder_z
      - .offset:         3416
        .size:           8
        .value_kind:     hidden_global_offset_x
      - .offset:         3424
        .size:           8
        .value_kind:     hidden_global_offset_y
      - .offset:         3432
        .size:           8
        .value_kind:     hidden_global_offset_z
      - .offset:         3440
        .size:           2
        .value_kind:     hidden_grid_dims
    .group_segment_fixed_size: 0
    .kernarg_segment_align: 8
    .kernarg_segment_size: 3632
    .language:       OpenCL C
    .language_version:
      - 2
      - 0
    .max_flat_workgroup_size: 512
    .name:           _ZN2at6native12_GLOBAL__N_125multi_tensor_apply_kernelINS1_18TensorListMetadataILi1EEENS1_21BinaryOpScalarFunctorIaLi1ELi1ELi0EEEJSt10multipliesIaEaEEEvT_T0_DpT1_
    .private_segment_fixed_size: 0
    .sgpr_count:     26
    .sgpr_spill_count: 0
    .symbol:         _ZN2at6native12_GLOBAL__N_125multi_tensor_apply_kernelINS1_18TensorListMetadataILi1EEENS1_21BinaryOpScalarFunctorIaLi1ELi1ELi0EEEJSt10multipliesIaEaEEEvT_T0_DpT1_.kd
    .uniform_work_group_size: 1
    .uses_dynamic_stack: false
    .vgpr_count:     21
    .vgpr_spill_count: 0
    .wavefront_size: 32
    .workgroup_processor_mode: 1
  - .args:
      - .offset:         0
        .size:           3368
        .value_kind:     by_value
      - .offset:         3368
        .size:           1
        .value_kind:     by_value
      - .offset:         3369
        .size:           1
        .value_kind:     by_value
      - .offset:         3372
        .size:           4
        .value_kind:     by_value
      - .offset:         3376
        .size:           4
        .value_kind:     hidden_block_count_x
      - .offset:         3380
        .size:           4
        .value_kind:     hidden_block_count_y
      - .offset:         3384
        .size:           4
        .value_kind:     hidden_block_count_z
      - .offset:         3388
        .size:           2
        .value_kind:     hidden_group_size_x
      - .offset:         3390
        .size:           2
        .value_kind:     hidden_group_size_y
      - .offset:         3392
        .size:           2
        .value_kind:     hidden_group_size_z
      - .offset:         3394
        .size:           2
        .value_kind:     hidden_remainder_x
      - .offset:         3396
        .size:           2
        .value_kind:     hidden_remainder_y
      - .offset:         3398
        .size:           2
        .value_kind:     hidden_remainder_z
      - .offset:         3416
        .size:           8
        .value_kind:     hidden_global_offset_x
      - .offset:         3424
        .size:           8
        .value_kind:     hidden_global_offset_y
      - .offset:         3432
        .size:           8
        .value_kind:     hidden_global_offset_z
      - .offset:         3440
        .size:           2
        .value_kind:     hidden_grid_dims
    .group_segment_fixed_size: 0
    .kernarg_segment_align: 8
    .kernarg_segment_size: 3632
    .language:       OpenCL C
    .language_version:
      - 2
      - 0
    .max_flat_workgroup_size: 512
    .name:           _ZN2at6native12_GLOBAL__N_125multi_tensor_apply_kernelINS1_18TensorListMetadataILi1EEENS1_21BinaryOpScalarFunctorIiLi1ELi1ELi0EEEJSt10multipliesIiEiEEEvT_T0_DpT1_
    .private_segment_fixed_size: 0
    .sgpr_count:     28
    .sgpr_spill_count: 0
    .symbol:         _ZN2at6native12_GLOBAL__N_125multi_tensor_apply_kernelINS1_18TensorListMetadataILi1EEENS1_21BinaryOpScalarFunctorIiLi1ELi1ELi0EEEJSt10multipliesIiEiEEEvT_T0_DpT1_.kd
    .uniform_work_group_size: 1
    .uses_dynamic_stack: false
    .vgpr_count:     16
    .vgpr_spill_count: 0
    .wavefront_size: 32
    .workgroup_processor_mode: 1
  - .args:
      - .offset:         0
        .size:           3368
        .value_kind:     by_value
      - .offset:         3368
        .size:           1
        .value_kind:     by_value
      - .offset:         3369
        .size:           1
        .value_kind:     by_value
      - .offset:         3376
        .size:           8
        .value_kind:     by_value
      - .offset:         3384
        .size:           4
        .value_kind:     hidden_block_count_x
      - .offset:         3388
        .size:           4
        .value_kind:     hidden_block_count_y
      - .offset:         3392
        .size:           4
        .value_kind:     hidden_block_count_z
      - .offset:         3396
        .size:           2
        .value_kind:     hidden_group_size_x
      - .offset:         3398
        .size:           2
        .value_kind:     hidden_group_size_y
      - .offset:         3400
        .size:           2
        .value_kind:     hidden_group_size_z
      - .offset:         3402
        .size:           2
        .value_kind:     hidden_remainder_x
      - .offset:         3404
        .size:           2
        .value_kind:     hidden_remainder_y
      - .offset:         3406
        .size:           2
        .value_kind:     hidden_remainder_z
      - .offset:         3424
        .size:           8
        .value_kind:     hidden_global_offset_x
      - .offset:         3432
        .size:           8
        .value_kind:     hidden_global_offset_y
      - .offset:         3440
        .size:           8
        .value_kind:     hidden_global_offset_z
      - .offset:         3448
        .size:           2
        .value_kind:     hidden_grid_dims
    .group_segment_fixed_size: 0
    .kernarg_segment_align: 8
    .kernarg_segment_size: 3640
    .language:       OpenCL C
    .language_version:
      - 2
      - 0
    .max_flat_workgroup_size: 512
    .name:           _ZN2at6native12_GLOBAL__N_125multi_tensor_apply_kernelINS1_18TensorListMetadataILi1EEENS1_21BinaryOpScalarFunctorIlLi1ELi1ELi0EEEJSt10multipliesIlElEEEvT_T0_DpT1_
    .private_segment_fixed_size: 0
    .sgpr_count:     29
    .sgpr_spill_count: 0
    .symbol:         _ZN2at6native12_GLOBAL__N_125multi_tensor_apply_kernelINS1_18TensorListMetadataILi1EEENS1_21BinaryOpScalarFunctorIlLi1ELi1ELi0EEEJSt10multipliesIlElEEEvT_T0_DpT1_.kd
    .uniform_work_group_size: 1
    .uses_dynamic_stack: false
    .vgpr_count:     22
    .vgpr_spill_count: 0
    .wavefront_size: 32
    .workgroup_processor_mode: 1
  - .args:
      - .offset:         0
        .size:           3368
        .value_kind:     by_value
      - .offset:         3368
        .size:           1
        .value_kind:     by_value
      - .offset:         3369
        .size:           1
        .value_kind:     by_value
      - .offset:         3370
        .size:           2
        .value_kind:     by_value
      - .offset:         3376
        .size:           4
        .value_kind:     hidden_block_count_x
      - .offset:         3380
        .size:           4
        .value_kind:     hidden_block_count_y
      - .offset:         3384
        .size:           4
        .value_kind:     hidden_block_count_z
      - .offset:         3388
        .size:           2
        .value_kind:     hidden_group_size_x
      - .offset:         3390
        .size:           2
        .value_kind:     hidden_group_size_y
      - .offset:         3392
        .size:           2
        .value_kind:     hidden_group_size_z
      - .offset:         3394
        .size:           2
        .value_kind:     hidden_remainder_x
      - .offset:         3396
        .size:           2
        .value_kind:     hidden_remainder_y
      - .offset:         3398
        .size:           2
        .value_kind:     hidden_remainder_z
      - .offset:         3416
        .size:           8
        .value_kind:     hidden_global_offset_x
      - .offset:         3424
        .size:           8
        .value_kind:     hidden_global_offset_y
      - .offset:         3432
        .size:           8
        .value_kind:     hidden_global_offset_z
      - .offset:         3440
        .size:           2
        .value_kind:     hidden_grid_dims
    .group_segment_fixed_size: 0
    .kernarg_segment_align: 8
    .kernarg_segment_size: 3632
    .language:       OpenCL C
    .language_version:
      - 2
      - 0
    .max_flat_workgroup_size: 512
    .name:           _ZN2at6native12_GLOBAL__N_125multi_tensor_apply_kernelINS1_18TensorListMetadataILi1EEENS1_21BinaryOpScalarFunctorIsLi1ELi1ELi0EEEJSt10multipliesIsEsEEEvT_T0_DpT1_
    .private_segment_fixed_size: 0
    .sgpr_count:     27
    .sgpr_spill_count: 0
    .symbol:         _ZN2at6native12_GLOBAL__N_125multi_tensor_apply_kernelINS1_18TensorListMetadataILi1EEENS1_21BinaryOpScalarFunctorIsLi1ELi1ELi0EEEJSt10multipliesIsEsEEEvT_T0_DpT1_.kd
    .uniform_work_group_size: 1
    .uses_dynamic_stack: false
    .vgpr_count:     16
    .vgpr_spill_count: 0
    .wavefront_size: 32
    .workgroup_processor_mode: 1
  - .args:
      - .offset:         0
        .size:           3368
        .value_kind:     by_value
      - .offset:         3368
        .size:           1
        .value_kind:     by_value
      - .offset:         3369
        .size:           1
        .value_kind:     by_value
      - .offset:         3376
        .size:           8
        .value_kind:     by_value
      - .offset:         3384
        .size:           4
        .value_kind:     hidden_block_count_x
      - .offset:         3388
        .size:           4
        .value_kind:     hidden_block_count_y
      - .offset:         3392
        .size:           4
        .value_kind:     hidden_block_count_z
      - .offset:         3396
        .size:           2
        .value_kind:     hidden_group_size_x
      - .offset:         3398
        .size:           2
        .value_kind:     hidden_group_size_y
      - .offset:         3400
        .size:           2
        .value_kind:     hidden_group_size_z
      - .offset:         3402
        .size:           2
        .value_kind:     hidden_remainder_x
      - .offset:         3404
        .size:           2
        .value_kind:     hidden_remainder_y
      - .offset:         3406
        .size:           2
        .value_kind:     hidden_remainder_z
      - .offset:         3424
        .size:           8
        .value_kind:     hidden_global_offset_x
      - .offset:         3432
        .size:           8
        .value_kind:     hidden_global_offset_y
      - .offset:         3440
        .size:           8
        .value_kind:     hidden_global_offset_z
      - .offset:         3448
        .size:           2
        .value_kind:     hidden_grid_dims
    .group_segment_fixed_size: 0
    .kernarg_segment_align: 8
    .kernarg_segment_size: 3640
    .language:       OpenCL C
    .language_version:
      - 2
      - 0
    .max_flat_workgroup_size: 512
    .name:           _ZN2at6native12_GLOBAL__N_125multi_tensor_apply_kernelINS1_18TensorListMetadataILi1EEENS1_21BinaryOpScalarFunctorIdLi1ELi1ELi0EEEJSt10multipliesIdEdEEEvT_T0_DpT1_
    .private_segment_fixed_size: 0
    .sgpr_count:     29
    .sgpr_spill_count: 0
    .symbol:         _ZN2at6native12_GLOBAL__N_125multi_tensor_apply_kernelINS1_18TensorListMetadataILi1EEENS1_21BinaryOpScalarFunctorIdLi1ELi1ELi0EEEJSt10multipliesIdEdEEEvT_T0_DpT1_.kd
    .uniform_work_group_size: 1
    .uses_dynamic_stack: false
    .vgpr_count:     21
    .vgpr_spill_count: 0
    .wavefront_size: 32
    .workgroup_processor_mode: 1
  - .args:
      - .offset:         0
        .size:           3368
        .value_kind:     by_value
      - .offset:         3368
        .size:           1
        .value_kind:     by_value
      - .offset:         3369
        .size:           1
        .value_kind:     by_value
      - .offset:         3372
        .size:           4
        .value_kind:     by_value
      - .offset:         3376
        .size:           4
        .value_kind:     hidden_block_count_x
      - .offset:         3380
        .size:           4
        .value_kind:     hidden_block_count_y
      - .offset:         3384
        .size:           4
        .value_kind:     hidden_block_count_z
      - .offset:         3388
        .size:           2
        .value_kind:     hidden_group_size_x
      - .offset:         3390
        .size:           2
        .value_kind:     hidden_group_size_y
      - .offset:         3392
        .size:           2
        .value_kind:     hidden_group_size_z
      - .offset:         3394
        .size:           2
        .value_kind:     hidden_remainder_x
      - .offset:         3396
        .size:           2
        .value_kind:     hidden_remainder_y
      - .offset:         3398
        .size:           2
        .value_kind:     hidden_remainder_z
      - .offset:         3416
        .size:           8
        .value_kind:     hidden_global_offset_x
      - .offset:         3424
        .size:           8
        .value_kind:     hidden_global_offset_y
      - .offset:         3432
        .size:           8
        .value_kind:     hidden_global_offset_z
      - .offset:         3440
        .size:           2
        .value_kind:     hidden_grid_dims
    .group_segment_fixed_size: 0
    .kernarg_segment_align: 8
    .kernarg_segment_size: 3632
    .language:       OpenCL C
    .language_version:
      - 2
      - 0
    .max_flat_workgroup_size: 512
    .name:           _ZN2at6native12_GLOBAL__N_125multi_tensor_apply_kernelINS1_18TensorListMetadataILi1EEENS1_21BinaryOpScalarFunctorIfLi1ELi1ELi0EEEJSt10multipliesIfEfEEEvT_T0_DpT1_
    .private_segment_fixed_size: 0
    .sgpr_count:     28
    .sgpr_spill_count: 0
    .symbol:         _ZN2at6native12_GLOBAL__N_125multi_tensor_apply_kernelINS1_18TensorListMetadataILi1EEENS1_21BinaryOpScalarFunctorIfLi1ELi1ELi0EEEJSt10multipliesIfEfEEEvT_T0_DpT1_.kd
    .uniform_work_group_size: 1
    .uses_dynamic_stack: false
    .vgpr_count:     16
    .vgpr_spill_count: 0
    .wavefront_size: 32
    .workgroup_processor_mode: 1
  - .args:
      - .offset:         0
        .size:           3368
        .value_kind:     by_value
      - .offset:         3368
        .size:           1
        .value_kind:     by_value
      - .offset:         3369
        .size:           1
        .value_kind:     by_value
      - .offset:         3376
        .size:           16
        .value_kind:     by_value
      - .offset:         3392
        .size:           4
        .value_kind:     hidden_block_count_x
      - .offset:         3396
        .size:           4
        .value_kind:     hidden_block_count_y
      - .offset:         3400
        .size:           4
        .value_kind:     hidden_block_count_z
      - .offset:         3404
        .size:           2
        .value_kind:     hidden_group_size_x
      - .offset:         3406
        .size:           2
        .value_kind:     hidden_group_size_y
      - .offset:         3408
        .size:           2
        .value_kind:     hidden_group_size_z
      - .offset:         3410
        .size:           2
        .value_kind:     hidden_remainder_x
      - .offset:         3412
        .size:           2
        .value_kind:     hidden_remainder_y
      - .offset:         3414
        .size:           2
        .value_kind:     hidden_remainder_z
      - .offset:         3432
        .size:           8
        .value_kind:     hidden_global_offset_x
      - .offset:         3440
        .size:           8
        .value_kind:     hidden_global_offset_y
      - .offset:         3448
        .size:           8
        .value_kind:     hidden_global_offset_z
      - .offset:         3456
        .size:           2
        .value_kind:     hidden_grid_dims
    .group_segment_fixed_size: 0
    .kernarg_segment_align: 16
    .kernarg_segment_size: 3648
    .language:       OpenCL C
    .language_version:
      - 2
      - 0
    .max_flat_workgroup_size: 512
    .name:           _ZN2at6native12_GLOBAL__N_125multi_tensor_apply_kernelINS1_18TensorListMetadataILi1EEENS1_21BinaryOpScalarFunctorIN3c107complexIdEELi1ELi1ELi0EEEJSt10multipliesIS8_ES8_EEEvT_T0_DpT1_
    .private_segment_fixed_size: 0
    .sgpr_count:     31
    .sgpr_spill_count: 0
    .symbol:         _ZN2at6native12_GLOBAL__N_125multi_tensor_apply_kernelINS1_18TensorListMetadataILi1EEENS1_21BinaryOpScalarFunctorIN3c107complexIdEELi1ELi1ELi0EEEJSt10multipliesIS8_ES8_EEEvT_T0_DpT1_.kd
    .uniform_work_group_size: 1
    .uses_dynamic_stack: false
    .vgpr_count:     33
    .vgpr_spill_count: 0
    .wavefront_size: 32
    .workgroup_processor_mode: 1
  - .args:
      - .offset:         0
        .size:           3368
        .value_kind:     by_value
      - .offset:         3368
        .size:           1
        .value_kind:     by_value
      - .offset:         3369
        .size:           1
        .value_kind:     by_value
      - .offset:         3376
        .size:           8
        .value_kind:     by_value
      - .offset:         3384
        .size:           4
        .value_kind:     hidden_block_count_x
      - .offset:         3388
        .size:           4
        .value_kind:     hidden_block_count_y
      - .offset:         3392
        .size:           4
        .value_kind:     hidden_block_count_z
      - .offset:         3396
        .size:           2
        .value_kind:     hidden_group_size_x
      - .offset:         3398
        .size:           2
        .value_kind:     hidden_group_size_y
      - .offset:         3400
        .size:           2
        .value_kind:     hidden_group_size_z
      - .offset:         3402
        .size:           2
        .value_kind:     hidden_remainder_x
      - .offset:         3404
        .size:           2
        .value_kind:     hidden_remainder_y
      - .offset:         3406
        .size:           2
        .value_kind:     hidden_remainder_z
      - .offset:         3424
        .size:           8
        .value_kind:     hidden_global_offset_x
      - .offset:         3432
        .size:           8
        .value_kind:     hidden_global_offset_y
      - .offset:         3440
        .size:           8
        .value_kind:     hidden_global_offset_z
      - .offset:         3448
        .size:           2
        .value_kind:     hidden_grid_dims
    .group_segment_fixed_size: 0
    .kernarg_segment_align: 8
    .kernarg_segment_size: 3640
    .language:       OpenCL C
    .language_version:
      - 2
      - 0
    .max_flat_workgroup_size: 512
    .name:           _ZN2at6native12_GLOBAL__N_125multi_tensor_apply_kernelINS1_18TensorListMetadataILi1EEENS1_21BinaryOpScalarFunctorIN3c107complexIfEELi1ELi1ELi0EEEJSt10multipliesIS8_ES8_EEEvT_T0_DpT1_
    .private_segment_fixed_size: 16
    .sgpr_count:     26
    .sgpr_spill_count: 0
    .symbol:         _ZN2at6native12_GLOBAL__N_125multi_tensor_apply_kernelINS1_18TensorListMetadataILi1EEENS1_21BinaryOpScalarFunctorIN3c107complexIfEELi1ELi1ELi0EEEJSt10multipliesIS8_ES8_EEEvT_T0_DpT1_.kd
    .uniform_work_group_size: 1
    .uses_dynamic_stack: false
    .vgpr_count:     21
    .vgpr_spill_count: 0
    .wavefront_size: 32
    .workgroup_processor_mode: 1
  - .args:
      - .offset:         0
        .size:           3368
        .value_kind:     by_value
      - .offset:         3368
        .size:           1
        .value_kind:     by_value
      - .offset:         3369
        .size:           1
        .value_kind:     by_value
      - .offset:         3370
        .size:           1
        .value_kind:     by_value
      - .offset:         3376
        .size:           4
        .value_kind:     hidden_block_count_x
      - .offset:         3380
        .size:           4
        .value_kind:     hidden_block_count_y
      - .offset:         3384
        .size:           4
        .value_kind:     hidden_block_count_z
      - .offset:         3388
        .size:           2
        .value_kind:     hidden_group_size_x
      - .offset:         3390
        .size:           2
        .value_kind:     hidden_group_size_y
      - .offset:         3392
        .size:           2
        .value_kind:     hidden_group_size_z
      - .offset:         3394
        .size:           2
        .value_kind:     hidden_remainder_x
      - .offset:         3396
        .size:           2
        .value_kind:     hidden_remainder_y
      - .offset:         3398
        .size:           2
        .value_kind:     hidden_remainder_z
      - .offset:         3416
        .size:           8
        .value_kind:     hidden_global_offset_x
      - .offset:         3424
        .size:           8
        .value_kind:     hidden_global_offset_y
      - .offset:         3432
        .size:           8
        .value_kind:     hidden_global_offset_z
      - .offset:         3440
        .size:           2
        .value_kind:     hidden_grid_dims
    .group_segment_fixed_size: 0
    .kernarg_segment_align: 8
    .kernarg_segment_size: 3632
    .language:       OpenCL C
    .language_version:
      - 2
      - 0
    .max_flat_workgroup_size: 512
    .name:           _ZN2at6native12_GLOBAL__N_125multi_tensor_apply_kernelINS1_18TensorListMetadataILi1EEENS1_21BinaryOpScalarFunctorIbLi1ELi1ELi0EEEJSt10multipliesIbEbEEEvT_T0_DpT1_
    .private_segment_fixed_size: 0
    .sgpr_count:     27
    .sgpr_spill_count: 0
    .symbol:         _ZN2at6native12_GLOBAL__N_125multi_tensor_apply_kernelINS1_18TensorListMetadataILi1EEENS1_21BinaryOpScalarFunctorIbLi1ELi1ELi0EEEJSt10multipliesIbEbEEEvT_T0_DpT1_.kd
    .uniform_work_group_size: 1
    .uses_dynamic_stack: false
    .vgpr_count:     18
    .vgpr_spill_count: 0
    .wavefront_size: 32
    .workgroup_processor_mode: 1
  - .args:
      - .offset:         0
        .size:           3368
        .value_kind:     by_value
      - .offset:         3368
        .size:           1
        .value_kind:     by_value
      - .offset:         3369
        .size:           1
        .value_kind:     by_value
      - .offset:         3372
        .size:           4
        .value_kind:     by_value
      - .offset:         3376
        .size:           4
        .value_kind:     hidden_block_count_x
      - .offset:         3380
        .size:           4
        .value_kind:     hidden_block_count_y
      - .offset:         3384
        .size:           4
        .value_kind:     hidden_block_count_z
      - .offset:         3388
        .size:           2
        .value_kind:     hidden_group_size_x
      - .offset:         3390
        .size:           2
        .value_kind:     hidden_group_size_y
      - .offset:         3392
        .size:           2
        .value_kind:     hidden_group_size_z
      - .offset:         3394
        .size:           2
        .value_kind:     hidden_remainder_x
      - .offset:         3396
        .size:           2
        .value_kind:     hidden_remainder_y
      - .offset:         3398
        .size:           2
        .value_kind:     hidden_remainder_z
      - .offset:         3416
        .size:           8
        .value_kind:     hidden_global_offset_x
      - .offset:         3424
        .size:           8
        .value_kind:     hidden_global_offset_y
      - .offset:         3432
        .size:           8
        .value_kind:     hidden_global_offset_z
      - .offset:         3440
        .size:           2
        .value_kind:     hidden_grid_dims
    .group_segment_fixed_size: 0
    .kernarg_segment_align: 8
    .kernarg_segment_size: 3632
    .language:       OpenCL C
    .language_version:
      - 2
      - 0
    .max_flat_workgroup_size: 512
    .name:           _ZN2at6native12_GLOBAL__N_125multi_tensor_apply_kernelINS1_18TensorListMetadataILi1EEENS1_21BinaryOpScalarFunctorIN3c104HalfELi1ELi1ELi0EEEJSt10multipliesIfEfEEEvT_T0_DpT1_
    .private_segment_fixed_size: 0
    .sgpr_count:     27
    .sgpr_spill_count: 0
    .symbol:         _ZN2at6native12_GLOBAL__N_125multi_tensor_apply_kernelINS1_18TensorListMetadataILi1EEENS1_21BinaryOpScalarFunctorIN3c104HalfELi1ELi1ELi0EEEJSt10multipliesIfEfEEEvT_T0_DpT1_.kd
    .uniform_work_group_size: 1
    .uses_dynamic_stack: false
    .vgpr_count:     16
    .vgpr_spill_count: 0
    .wavefront_size: 32
    .workgroup_processor_mode: 1
  - .args:
      - .offset:         0
        .size:           3368
        .value_kind:     by_value
      - .offset:         3368
        .size:           1
        .value_kind:     by_value
      - .offset:         3369
        .size:           1
        .value_kind:     by_value
      - .offset:         3372
        .size:           4
        .value_kind:     by_value
      - .offset:         3376
        .size:           4
        .value_kind:     hidden_block_count_x
      - .offset:         3380
        .size:           4
        .value_kind:     hidden_block_count_y
      - .offset:         3384
        .size:           4
        .value_kind:     hidden_block_count_z
      - .offset:         3388
        .size:           2
        .value_kind:     hidden_group_size_x
      - .offset:         3390
        .size:           2
        .value_kind:     hidden_group_size_y
      - .offset:         3392
        .size:           2
        .value_kind:     hidden_group_size_z
      - .offset:         3394
        .size:           2
        .value_kind:     hidden_remainder_x
      - .offset:         3396
        .size:           2
        .value_kind:     hidden_remainder_y
      - .offset:         3398
        .size:           2
        .value_kind:     hidden_remainder_z
      - .offset:         3416
        .size:           8
        .value_kind:     hidden_global_offset_x
      - .offset:         3424
        .size:           8
        .value_kind:     hidden_global_offset_y
      - .offset:         3432
        .size:           8
        .value_kind:     hidden_global_offset_z
      - .offset:         3440
        .size:           2
        .value_kind:     hidden_grid_dims
    .group_segment_fixed_size: 0
    .kernarg_segment_align: 8
    .kernarg_segment_size: 3632
    .language:       OpenCL C
    .language_version:
      - 2
      - 0
    .max_flat_workgroup_size: 512
    .name:           _ZN2at6native12_GLOBAL__N_125multi_tensor_apply_kernelINS1_18TensorListMetadataILi1EEENS1_21BinaryOpScalarFunctorIN3c108BFloat16ELi1ELi1ELi0EEEJSt10multipliesIfEfEEEvT_T0_DpT1_
    .private_segment_fixed_size: 0
    .sgpr_count:     27
    .sgpr_spill_count: 0
    .symbol:         _ZN2at6native12_GLOBAL__N_125multi_tensor_apply_kernelINS1_18TensorListMetadataILi1EEENS1_21BinaryOpScalarFunctorIN3c108BFloat16ELi1ELi1ELi0EEEJSt10multipliesIfEfEEEvT_T0_DpT1_.kd
    .uniform_work_group_size: 1
    .uses_dynamic_stack: false
    .vgpr_count:     16
    .vgpr_spill_count: 0
    .wavefront_size: 32
    .workgroup_processor_mode: 1
  - .args:
      - .offset:         0
        .size:           3144
        .value_kind:     by_value
      - .offset:         3144
        .size:           1
        .value_kind:     by_value
      - .offset:         3145
        .size:           1
        .value_kind:     by_value
      - .offset:         3146
        .size:           1
        .value_kind:     by_value
      - .offset:         3152
        .size:           4
        .value_kind:     hidden_block_count_x
      - .offset:         3156
        .size:           4
        .value_kind:     hidden_block_count_y
      - .offset:         3160
        .size:           4
        .value_kind:     hidden_block_count_z
      - .offset:         3164
        .size:           2
        .value_kind:     hidden_group_size_x
      - .offset:         3166
        .size:           2
        .value_kind:     hidden_group_size_y
      - .offset:         3168
        .size:           2
        .value_kind:     hidden_group_size_z
      - .offset:         3170
        .size:           2
        .value_kind:     hidden_remainder_x
      - .offset:         3172
        .size:           2
        .value_kind:     hidden_remainder_y
      - .offset:         3174
        .size:           2
        .value_kind:     hidden_remainder_z
      - .offset:         3192
        .size:           8
        .value_kind:     hidden_global_offset_x
      - .offset:         3200
        .size:           8
        .value_kind:     hidden_global_offset_y
      - .offset:         3208
        .size:           8
        .value_kind:     hidden_global_offset_z
      - .offset:         3216
        .size:           2
        .value_kind:     hidden_grid_dims
    .group_segment_fixed_size: 0
    .kernarg_segment_align: 8
    .kernarg_segment_size: 3408
    .language:       OpenCL C
    .language_version:
      - 2
      - 0
    .max_flat_workgroup_size: 512
    .name:           _ZN2at6native12_GLOBAL__N_125multi_tensor_apply_kernelINS1_18TensorListMetadataILi2EEENS1_21BinaryOpScalarFunctorIhLi2ELi1ELi1EEEJSt10multipliesIhEhEEEvT_T0_DpT1_
    .private_segment_fixed_size: 0
    .sgpr_count:     27
    .sgpr_spill_count: 0
    .symbol:         _ZN2at6native12_GLOBAL__N_125multi_tensor_apply_kernelINS1_18TensorListMetadataILi2EEENS1_21BinaryOpScalarFunctorIhLi2ELi1ELi1EEEJSt10multipliesIhEhEEEvT_T0_DpT1_.kd
    .uniform_work_group_size: 1
    .uses_dynamic_stack: false
    .vgpr_count:     29
    .vgpr_spill_count: 0
    .wavefront_size: 32
    .workgroup_processor_mode: 1
  - .args:
      - .offset:         0
        .size:           3144
        .value_kind:     by_value
      - .offset:         3144
        .size:           1
        .value_kind:     by_value
      - .offset:         3145
        .size:           1
        .value_kind:     by_value
      - .offset:         3146
        .size:           1
        .value_kind:     by_value
      - .offset:         3152
        .size:           4
        .value_kind:     hidden_block_count_x
      - .offset:         3156
        .size:           4
        .value_kind:     hidden_block_count_y
      - .offset:         3160
        .size:           4
        .value_kind:     hidden_block_count_z
      - .offset:         3164
        .size:           2
        .value_kind:     hidden_group_size_x
      - .offset:         3166
        .size:           2
        .value_kind:     hidden_group_size_y
      - .offset:         3168
        .size:           2
        .value_kind:     hidden_group_size_z
      - .offset:         3170
        .size:           2
        .value_kind:     hidden_remainder_x
      - .offset:         3172
        .size:           2
        .value_kind:     hidden_remainder_y
      - .offset:         3174
        .size:           2
        .value_kind:     hidden_remainder_z
      - .offset:         3192
        .size:           8
        .value_kind:     hidden_global_offset_x
      - .offset:         3200
        .size:           8
        .value_kind:     hidden_global_offset_y
      - .offset:         3208
        .size:           8
        .value_kind:     hidden_global_offset_z
      - .offset:         3216
        .size:           2
        .value_kind:     hidden_grid_dims
    .group_segment_fixed_size: 0
    .kernarg_segment_align: 8
    .kernarg_segment_size: 3408
    .language:       OpenCL C
    .language_version:
      - 2
      - 0
    .max_flat_workgroup_size: 512
    .name:           _ZN2at6native12_GLOBAL__N_125multi_tensor_apply_kernelINS1_18TensorListMetadataILi2EEENS1_21BinaryOpScalarFunctorIaLi2ELi1ELi1EEEJSt10multipliesIaEaEEEvT_T0_DpT1_
    .private_segment_fixed_size: 0
    .sgpr_count:     27
    .sgpr_spill_count: 0
    .symbol:         _ZN2at6native12_GLOBAL__N_125multi_tensor_apply_kernelINS1_18TensorListMetadataILi2EEENS1_21BinaryOpScalarFunctorIaLi2ELi1ELi1EEEJSt10multipliesIaEaEEEvT_T0_DpT1_.kd
    .uniform_work_group_size: 1
    .uses_dynamic_stack: false
    .vgpr_count:     29
    .vgpr_spill_count: 0
    .wavefront_size: 32
    .workgroup_processor_mode: 1
  - .args:
      - .offset:         0
        .size:           3144
        .value_kind:     by_value
      - .offset:         3144
        .size:           1
        .value_kind:     by_value
      - .offset:         3145
        .size:           1
        .value_kind:     by_value
      - .offset:         3148
        .size:           4
        .value_kind:     by_value
      - .offset:         3152
        .size:           4
        .value_kind:     hidden_block_count_x
      - .offset:         3156
        .size:           4
        .value_kind:     hidden_block_count_y
      - .offset:         3160
        .size:           4
        .value_kind:     hidden_block_count_z
      - .offset:         3164
        .size:           2
        .value_kind:     hidden_group_size_x
      - .offset:         3166
        .size:           2
        .value_kind:     hidden_group_size_y
      - .offset:         3168
        .size:           2
        .value_kind:     hidden_group_size_z
      - .offset:         3170
        .size:           2
        .value_kind:     hidden_remainder_x
      - .offset:         3172
        .size:           2
        .value_kind:     hidden_remainder_y
      - .offset:         3174
        .size:           2
        .value_kind:     hidden_remainder_z
      - .offset:         3192
        .size:           8
        .value_kind:     hidden_global_offset_x
      - .offset:         3200
        .size:           8
        .value_kind:     hidden_global_offset_y
      - .offset:         3208
        .size:           8
        .value_kind:     hidden_global_offset_z
      - .offset:         3216
        .size:           2
        .value_kind:     hidden_grid_dims
    .group_segment_fixed_size: 0
    .kernarg_segment_align: 8
    .kernarg_segment_size: 3408
    .language:       OpenCL C
    .language_version:
      - 2
      - 0
    .max_flat_workgroup_size: 512
    .name:           _ZN2at6native12_GLOBAL__N_125multi_tensor_apply_kernelINS1_18TensorListMetadataILi2EEENS1_21BinaryOpScalarFunctorIiLi2ELi1ELi1EEEJSt10multipliesIiEiEEEvT_T0_DpT1_
    .private_segment_fixed_size: 0
    .sgpr_count:     27
    .sgpr_spill_count: 0
    .symbol:         _ZN2at6native12_GLOBAL__N_125multi_tensor_apply_kernelINS1_18TensorListMetadataILi2EEENS1_21BinaryOpScalarFunctorIiLi2ELi1ELi1EEEJSt10multipliesIiEiEEEvT_T0_DpT1_.kd
    .uniform_work_group_size: 1
    .uses_dynamic_stack: false
    .vgpr_count:     29
    .vgpr_spill_count: 0
    .wavefront_size: 32
    .workgroup_processor_mode: 1
  - .args:
      - .offset:         0
        .size:           3144
        .value_kind:     by_value
      - .offset:         3144
        .size:           1
        .value_kind:     by_value
      - .offset:         3145
        .size:           1
        .value_kind:     by_value
      - .offset:         3152
        .size:           8
        .value_kind:     by_value
      - .offset:         3160
        .size:           4
        .value_kind:     hidden_block_count_x
      - .offset:         3164
        .size:           4
        .value_kind:     hidden_block_count_y
      - .offset:         3168
        .size:           4
        .value_kind:     hidden_block_count_z
      - .offset:         3172
        .size:           2
        .value_kind:     hidden_group_size_x
      - .offset:         3174
        .size:           2
        .value_kind:     hidden_group_size_y
      - .offset:         3176
        .size:           2
        .value_kind:     hidden_group_size_z
      - .offset:         3178
        .size:           2
        .value_kind:     hidden_remainder_x
      - .offset:         3180
        .size:           2
        .value_kind:     hidden_remainder_y
      - .offset:         3182
        .size:           2
        .value_kind:     hidden_remainder_z
      - .offset:         3200
        .size:           8
        .value_kind:     hidden_global_offset_x
      - .offset:         3208
        .size:           8
        .value_kind:     hidden_global_offset_y
      - .offset:         3216
        .size:           8
        .value_kind:     hidden_global_offset_z
      - .offset:         3224
        .size:           2
        .value_kind:     hidden_grid_dims
    .group_segment_fixed_size: 0
    .kernarg_segment_align: 8
    .kernarg_segment_size: 3416
    .language:       OpenCL C
    .language_version:
      - 2
      - 0
    .max_flat_workgroup_size: 512
    .name:           _ZN2at6native12_GLOBAL__N_125multi_tensor_apply_kernelINS1_18TensorListMetadataILi2EEENS1_21BinaryOpScalarFunctorIlLi2ELi1ELi1EEEJSt10multipliesIlElEEEvT_T0_DpT1_
    .private_segment_fixed_size: 0
    .sgpr_count:     28
    .sgpr_spill_count: 0
    .symbol:         _ZN2at6native12_GLOBAL__N_125multi_tensor_apply_kernelINS1_18TensorListMetadataILi2EEENS1_21BinaryOpScalarFunctorIlLi2ELi1ELi1EEEJSt10multipliesIlElEEEvT_T0_DpT1_.kd
    .uniform_work_group_size: 1
    .uses_dynamic_stack: false
    .vgpr_count:     35
    .vgpr_spill_count: 0
    .wavefront_size: 32
    .workgroup_processor_mode: 1
  - .args:
      - .offset:         0
        .size:           3144
        .value_kind:     by_value
      - .offset:         3144
        .size:           1
        .value_kind:     by_value
      - .offset:         3145
        .size:           1
        .value_kind:     by_value
      - .offset:         3146
        .size:           2
        .value_kind:     by_value
      - .offset:         3152
        .size:           4
        .value_kind:     hidden_block_count_x
      - .offset:         3156
        .size:           4
        .value_kind:     hidden_block_count_y
      - .offset:         3160
        .size:           4
        .value_kind:     hidden_block_count_z
      - .offset:         3164
        .size:           2
        .value_kind:     hidden_group_size_x
      - .offset:         3166
        .size:           2
        .value_kind:     hidden_group_size_y
      - .offset:         3168
        .size:           2
        .value_kind:     hidden_group_size_z
      - .offset:         3170
        .size:           2
        .value_kind:     hidden_remainder_x
      - .offset:         3172
        .size:           2
        .value_kind:     hidden_remainder_y
      - .offset:         3174
        .size:           2
        .value_kind:     hidden_remainder_z
      - .offset:         3192
        .size:           8
        .value_kind:     hidden_global_offset_x
      - .offset:         3200
        .size:           8
        .value_kind:     hidden_global_offset_y
      - .offset:         3208
        .size:           8
        .value_kind:     hidden_global_offset_z
      - .offset:         3216
        .size:           2
        .value_kind:     hidden_grid_dims
    .group_segment_fixed_size: 0
    .kernarg_segment_align: 8
    .kernarg_segment_size: 3408
    .language:       OpenCL C
    .language_version:
      - 2
      - 0
    .max_flat_workgroup_size: 512
    .name:           _ZN2at6native12_GLOBAL__N_125multi_tensor_apply_kernelINS1_18TensorListMetadataILi2EEENS1_21BinaryOpScalarFunctorIsLi2ELi1ELi1EEEJSt10multipliesIsEsEEEvT_T0_DpT1_
    .private_segment_fixed_size: 0
    .sgpr_count:     27
    .sgpr_spill_count: 0
    .symbol:         _ZN2at6native12_GLOBAL__N_125multi_tensor_apply_kernelINS1_18TensorListMetadataILi2EEENS1_21BinaryOpScalarFunctorIsLi2ELi1ELi1EEEJSt10multipliesIsEsEEEvT_T0_DpT1_.kd
    .uniform_work_group_size: 1
    .uses_dynamic_stack: false
    .vgpr_count:     29
    .vgpr_spill_count: 0
    .wavefront_size: 32
    .workgroup_processor_mode: 1
  - .args:
      - .offset:         0
        .size:           3144
        .value_kind:     by_value
      - .offset:         3144
        .size:           1
        .value_kind:     by_value
      - .offset:         3145
        .size:           1
        .value_kind:     by_value
      - .offset:         3152
        .size:           8
        .value_kind:     by_value
      - .offset:         3160
        .size:           4
        .value_kind:     hidden_block_count_x
      - .offset:         3164
        .size:           4
        .value_kind:     hidden_block_count_y
      - .offset:         3168
        .size:           4
        .value_kind:     hidden_block_count_z
      - .offset:         3172
        .size:           2
        .value_kind:     hidden_group_size_x
      - .offset:         3174
        .size:           2
        .value_kind:     hidden_group_size_y
      - .offset:         3176
        .size:           2
        .value_kind:     hidden_group_size_z
      - .offset:         3178
        .size:           2
        .value_kind:     hidden_remainder_x
      - .offset:         3180
        .size:           2
        .value_kind:     hidden_remainder_y
      - .offset:         3182
        .size:           2
        .value_kind:     hidden_remainder_z
      - .offset:         3200
        .size:           8
        .value_kind:     hidden_global_offset_x
      - .offset:         3208
        .size:           8
        .value_kind:     hidden_global_offset_y
      - .offset:         3216
        .size:           8
        .value_kind:     hidden_global_offset_z
      - .offset:         3224
        .size:           2
        .value_kind:     hidden_grid_dims
    .group_segment_fixed_size: 0
    .kernarg_segment_align: 8
    .kernarg_segment_size: 3416
    .language:       OpenCL C
    .language_version:
      - 2
      - 0
    .max_flat_workgroup_size: 512
    .name:           _ZN2at6native12_GLOBAL__N_125multi_tensor_apply_kernelINS1_18TensorListMetadataILi2EEENS1_21BinaryOpScalarFunctorIdLi2ELi1ELi1EEEJSt10multipliesIdEdEEEvT_T0_DpT1_
    .private_segment_fixed_size: 0
    .sgpr_count:     28
    .sgpr_spill_count: 0
    .symbol:         _ZN2at6native12_GLOBAL__N_125multi_tensor_apply_kernelINS1_18TensorListMetadataILi2EEENS1_21BinaryOpScalarFunctorIdLi2ELi1ELi1EEEJSt10multipliesIdEdEEEvT_T0_DpT1_.kd
    .uniform_work_group_size: 1
    .uses_dynamic_stack: false
    .vgpr_count:     33
    .vgpr_spill_count: 0
    .wavefront_size: 32
    .workgroup_processor_mode: 1
  - .args:
      - .offset:         0
        .size:           3144
        .value_kind:     by_value
      - .offset:         3144
        .size:           1
        .value_kind:     by_value
      - .offset:         3145
        .size:           1
        .value_kind:     by_value
      - .offset:         3148
        .size:           4
        .value_kind:     by_value
      - .offset:         3152
        .size:           4
        .value_kind:     hidden_block_count_x
      - .offset:         3156
        .size:           4
        .value_kind:     hidden_block_count_y
      - .offset:         3160
        .size:           4
        .value_kind:     hidden_block_count_z
      - .offset:         3164
        .size:           2
        .value_kind:     hidden_group_size_x
      - .offset:         3166
        .size:           2
        .value_kind:     hidden_group_size_y
      - .offset:         3168
        .size:           2
        .value_kind:     hidden_group_size_z
      - .offset:         3170
        .size:           2
        .value_kind:     hidden_remainder_x
      - .offset:         3172
        .size:           2
        .value_kind:     hidden_remainder_y
      - .offset:         3174
        .size:           2
        .value_kind:     hidden_remainder_z
      - .offset:         3192
        .size:           8
        .value_kind:     hidden_global_offset_x
      - .offset:         3200
        .size:           8
        .value_kind:     hidden_global_offset_y
      - .offset:         3208
        .size:           8
        .value_kind:     hidden_global_offset_z
      - .offset:         3216
        .size:           2
        .value_kind:     hidden_grid_dims
    .group_segment_fixed_size: 0
    .kernarg_segment_align: 8
    .kernarg_segment_size: 3408
    .language:       OpenCL C
    .language_version:
      - 2
      - 0
    .max_flat_workgroup_size: 512
    .name:           _ZN2at6native12_GLOBAL__N_125multi_tensor_apply_kernelINS1_18TensorListMetadataILi2EEENS1_21BinaryOpScalarFunctorIfLi2ELi1ELi1EEEJSt10multipliesIfEfEEEvT_T0_DpT1_
    .private_segment_fixed_size: 0
    .sgpr_count:     27
    .sgpr_spill_count: 0
    .symbol:         _ZN2at6native12_GLOBAL__N_125multi_tensor_apply_kernelINS1_18TensorListMetadataILi2EEENS1_21BinaryOpScalarFunctorIfLi2ELi1ELi1EEEJSt10multipliesIfEfEEEvT_T0_DpT1_.kd
    .uniform_work_group_size: 1
    .uses_dynamic_stack: false
    .vgpr_count:     29
    .vgpr_spill_count: 0
    .wavefront_size: 32
    .workgroup_processor_mode: 1
  - .args:
      - .offset:         0
        .size:           3144
        .value_kind:     by_value
      - .offset:         3144
        .size:           1
        .value_kind:     by_value
      - .offset:         3145
        .size:           1
        .value_kind:     by_value
      - .offset:         3152
        .size:           16
        .value_kind:     by_value
      - .offset:         3168
        .size:           4
        .value_kind:     hidden_block_count_x
      - .offset:         3172
        .size:           4
        .value_kind:     hidden_block_count_y
      - .offset:         3176
        .size:           4
        .value_kind:     hidden_block_count_z
      - .offset:         3180
        .size:           2
        .value_kind:     hidden_group_size_x
      - .offset:         3182
        .size:           2
        .value_kind:     hidden_group_size_y
      - .offset:         3184
        .size:           2
        .value_kind:     hidden_group_size_z
      - .offset:         3186
        .size:           2
        .value_kind:     hidden_remainder_x
      - .offset:         3188
        .size:           2
        .value_kind:     hidden_remainder_y
      - .offset:         3190
        .size:           2
        .value_kind:     hidden_remainder_z
      - .offset:         3208
        .size:           8
        .value_kind:     hidden_global_offset_x
      - .offset:         3216
        .size:           8
        .value_kind:     hidden_global_offset_y
      - .offset:         3224
        .size:           8
        .value_kind:     hidden_global_offset_z
      - .offset:         3232
        .size:           2
        .value_kind:     hidden_grid_dims
    .group_segment_fixed_size: 0
    .kernarg_segment_align: 16
    .kernarg_segment_size: 3424
    .language:       OpenCL C
    .language_version:
      - 2
      - 0
    .max_flat_workgroup_size: 512
    .name:           _ZN2at6native12_GLOBAL__N_125multi_tensor_apply_kernelINS1_18TensorListMetadataILi2EEENS1_21BinaryOpScalarFunctorIN3c107complexIdEELi2ELi1ELi1EEEJSt10multipliesIS8_ES8_EEEvT_T0_DpT1_
    .private_segment_fixed_size: 0
    .sgpr_count:     30
    .sgpr_spill_count: 0
    .symbol:         _ZN2at6native12_GLOBAL__N_125multi_tensor_apply_kernelINS1_18TensorListMetadataILi2EEENS1_21BinaryOpScalarFunctorIN3c107complexIdEELi2ELi1ELi1EEEJSt10multipliesIS8_ES8_EEEvT_T0_DpT1_.kd
    .uniform_work_group_size: 1
    .uses_dynamic_stack: false
    .vgpr_count:     29
    .vgpr_spill_count: 0
    .wavefront_size: 32
    .workgroup_processor_mode: 1
  - .args:
      - .offset:         0
        .size:           3144
        .value_kind:     by_value
      - .offset:         3144
        .size:           1
        .value_kind:     by_value
      - .offset:         3145
        .size:           1
        .value_kind:     by_value
      - .offset:         3152
        .size:           8
        .value_kind:     by_value
      - .offset:         3160
        .size:           4
        .value_kind:     hidden_block_count_x
      - .offset:         3164
        .size:           4
        .value_kind:     hidden_block_count_y
      - .offset:         3168
        .size:           4
        .value_kind:     hidden_block_count_z
      - .offset:         3172
        .size:           2
        .value_kind:     hidden_group_size_x
      - .offset:         3174
        .size:           2
        .value_kind:     hidden_group_size_y
      - .offset:         3176
        .size:           2
        .value_kind:     hidden_group_size_z
      - .offset:         3178
        .size:           2
        .value_kind:     hidden_remainder_x
      - .offset:         3180
        .size:           2
        .value_kind:     hidden_remainder_y
      - .offset:         3182
        .size:           2
        .value_kind:     hidden_remainder_z
      - .offset:         3200
        .size:           8
        .value_kind:     hidden_global_offset_x
      - .offset:         3208
        .size:           8
        .value_kind:     hidden_global_offset_y
      - .offset:         3216
        .size:           8
        .value_kind:     hidden_global_offset_z
      - .offset:         3224
        .size:           2
        .value_kind:     hidden_grid_dims
    .group_segment_fixed_size: 0
    .kernarg_segment_align: 8
    .kernarg_segment_size: 3416
    .language:       OpenCL C
    .language_version:
      - 2
      - 0
    .max_flat_workgroup_size: 512
    .name:           _ZN2at6native12_GLOBAL__N_125multi_tensor_apply_kernelINS1_18TensorListMetadataILi2EEENS1_21BinaryOpScalarFunctorIN3c107complexIfEELi2ELi1ELi1EEEJSt10multipliesIS8_ES8_EEEvT_T0_DpT1_
    .private_segment_fixed_size: 16
    .sgpr_count:     28
    .sgpr_spill_count: 0
    .symbol:         _ZN2at6native12_GLOBAL__N_125multi_tensor_apply_kernelINS1_18TensorListMetadataILi2EEENS1_21BinaryOpScalarFunctorIN3c107complexIfEELi2ELi1ELi1EEEJSt10multipliesIS8_ES8_EEEvT_T0_DpT1_.kd
    .uniform_work_group_size: 1
    .uses_dynamic_stack: false
    .vgpr_count:     21
    .vgpr_spill_count: 0
    .wavefront_size: 32
    .workgroup_processor_mode: 1
  - .args:
      - .offset:         0
        .size:           3144
        .value_kind:     by_value
      - .offset:         3144
        .size:           1
        .value_kind:     by_value
      - .offset:         3145
        .size:           1
        .value_kind:     by_value
      - .offset:         3146
        .size:           1
        .value_kind:     by_value
      - .offset:         3152
        .size:           4
        .value_kind:     hidden_block_count_x
      - .offset:         3156
        .size:           4
        .value_kind:     hidden_block_count_y
      - .offset:         3160
        .size:           4
        .value_kind:     hidden_block_count_z
      - .offset:         3164
        .size:           2
        .value_kind:     hidden_group_size_x
      - .offset:         3166
        .size:           2
        .value_kind:     hidden_group_size_y
      - .offset:         3168
        .size:           2
        .value_kind:     hidden_group_size_z
      - .offset:         3170
        .size:           2
        .value_kind:     hidden_remainder_x
      - .offset:         3172
        .size:           2
        .value_kind:     hidden_remainder_y
      - .offset:         3174
        .size:           2
        .value_kind:     hidden_remainder_z
      - .offset:         3192
        .size:           8
        .value_kind:     hidden_global_offset_x
      - .offset:         3200
        .size:           8
        .value_kind:     hidden_global_offset_y
      - .offset:         3208
        .size:           8
        .value_kind:     hidden_global_offset_z
      - .offset:         3216
        .size:           2
        .value_kind:     hidden_grid_dims
    .group_segment_fixed_size: 0
    .kernarg_segment_align: 8
    .kernarg_segment_size: 3408
    .language:       OpenCL C
    .language_version:
      - 2
      - 0
    .max_flat_workgroup_size: 512
    .name:           _ZN2at6native12_GLOBAL__N_125multi_tensor_apply_kernelINS1_18TensorListMetadataILi2EEENS1_21BinaryOpScalarFunctorIbLi2ELi1ELi1EEEJSt10multipliesIbEbEEEvT_T0_DpT1_
    .private_segment_fixed_size: 0
    .sgpr_count:     29
    .sgpr_spill_count: 0
    .symbol:         _ZN2at6native12_GLOBAL__N_125multi_tensor_apply_kernelINS1_18TensorListMetadataILi2EEENS1_21BinaryOpScalarFunctorIbLi2ELi1ELi1EEEJSt10multipliesIbEbEEEvT_T0_DpT1_.kd
    .uniform_work_group_size: 1
    .uses_dynamic_stack: false
    .vgpr_count:     26
    .vgpr_spill_count: 0
    .wavefront_size: 32
    .workgroup_processor_mode: 1
  - .args:
      - .offset:         0
        .size:           3144
        .value_kind:     by_value
      - .offset:         3144
        .size:           1
        .value_kind:     by_value
      - .offset:         3145
        .size:           1
        .value_kind:     by_value
      - .offset:         3148
        .size:           4
        .value_kind:     by_value
      - .offset:         3152
        .size:           4
        .value_kind:     hidden_block_count_x
      - .offset:         3156
        .size:           4
        .value_kind:     hidden_block_count_y
      - .offset:         3160
        .size:           4
        .value_kind:     hidden_block_count_z
      - .offset:         3164
        .size:           2
        .value_kind:     hidden_group_size_x
      - .offset:         3166
        .size:           2
        .value_kind:     hidden_group_size_y
      - .offset:         3168
        .size:           2
        .value_kind:     hidden_group_size_z
      - .offset:         3170
        .size:           2
        .value_kind:     hidden_remainder_x
      - .offset:         3172
        .size:           2
        .value_kind:     hidden_remainder_y
      - .offset:         3174
        .size:           2
        .value_kind:     hidden_remainder_z
      - .offset:         3192
        .size:           8
        .value_kind:     hidden_global_offset_x
      - .offset:         3200
        .size:           8
        .value_kind:     hidden_global_offset_y
      - .offset:         3208
        .size:           8
        .value_kind:     hidden_global_offset_z
      - .offset:         3216
        .size:           2
        .value_kind:     hidden_grid_dims
    .group_segment_fixed_size: 0
    .kernarg_segment_align: 8
    .kernarg_segment_size: 3408
    .language:       OpenCL C
    .language_version:
      - 2
      - 0
    .max_flat_workgroup_size: 512
    .name:           _ZN2at6native12_GLOBAL__N_125multi_tensor_apply_kernelINS1_18TensorListMetadataILi2EEENS1_21BinaryOpScalarFunctorIN3c104HalfELi2ELi1ELi1EEEJSt10multipliesIfEfEEEvT_T0_DpT1_
    .private_segment_fixed_size: 0
    .sgpr_count:     27
    .sgpr_spill_count: 0
    .symbol:         _ZN2at6native12_GLOBAL__N_125multi_tensor_apply_kernelINS1_18TensorListMetadataILi2EEENS1_21BinaryOpScalarFunctorIN3c104HalfELi2ELi1ELi1EEEJSt10multipliesIfEfEEEvT_T0_DpT1_.kd
    .uniform_work_group_size: 1
    .uses_dynamic_stack: false
    .vgpr_count:     29
    .vgpr_spill_count: 0
    .wavefront_size: 32
    .workgroup_processor_mode: 1
  - .args:
      - .offset:         0
        .size:           3144
        .value_kind:     by_value
      - .offset:         3144
        .size:           1
        .value_kind:     by_value
      - .offset:         3145
        .size:           1
        .value_kind:     by_value
      - .offset:         3148
        .size:           4
        .value_kind:     by_value
      - .offset:         3152
        .size:           4
        .value_kind:     hidden_block_count_x
      - .offset:         3156
        .size:           4
        .value_kind:     hidden_block_count_y
      - .offset:         3160
        .size:           4
        .value_kind:     hidden_block_count_z
      - .offset:         3164
        .size:           2
        .value_kind:     hidden_group_size_x
      - .offset:         3166
        .size:           2
        .value_kind:     hidden_group_size_y
      - .offset:         3168
        .size:           2
        .value_kind:     hidden_group_size_z
      - .offset:         3170
        .size:           2
        .value_kind:     hidden_remainder_x
      - .offset:         3172
        .size:           2
        .value_kind:     hidden_remainder_y
      - .offset:         3174
        .size:           2
        .value_kind:     hidden_remainder_z
      - .offset:         3192
        .size:           8
        .value_kind:     hidden_global_offset_x
      - .offset:         3200
        .size:           8
        .value_kind:     hidden_global_offset_y
      - .offset:         3208
        .size:           8
        .value_kind:     hidden_global_offset_z
      - .offset:         3216
        .size:           2
        .value_kind:     hidden_grid_dims
    .group_segment_fixed_size: 0
    .kernarg_segment_align: 8
    .kernarg_segment_size: 3408
    .language:       OpenCL C
    .language_version:
      - 2
      - 0
    .max_flat_workgroup_size: 512
    .name:           _ZN2at6native12_GLOBAL__N_125multi_tensor_apply_kernelINS1_18TensorListMetadataILi2EEENS1_21BinaryOpScalarFunctorIN3c108BFloat16ELi2ELi1ELi1EEEJSt10multipliesIfEfEEEvT_T0_DpT1_
    .private_segment_fixed_size: 0
    .sgpr_count:     27
    .sgpr_spill_count: 0
    .symbol:         _ZN2at6native12_GLOBAL__N_125multi_tensor_apply_kernelINS1_18TensorListMetadataILi2EEENS1_21BinaryOpScalarFunctorIN3c108BFloat16ELi2ELi1ELi1EEEJSt10multipliesIfEfEEEvT_T0_DpT1_.kd
    .uniform_work_group_size: 1
    .uses_dynamic_stack: false
    .vgpr_count:     30
    .vgpr_spill_count: 0
    .wavefront_size: 32
    .workgroup_processor_mode: 1
  - .args:
      - .offset:         0
        .size:           3368
        .value_kind:     by_value
      - .offset:         3368
        .size:           1
        .value_kind:     by_value
      - .offset:         3369
        .size:           1
        .value_kind:     by_value
      - .offset:         3370
        .size:           1
        .value_kind:     by_value
      - .offset:         3376
        .size:           4
        .value_kind:     hidden_block_count_x
      - .offset:         3380
        .size:           4
        .value_kind:     hidden_block_count_y
      - .offset:         3384
        .size:           4
        .value_kind:     hidden_block_count_z
      - .offset:         3388
        .size:           2
        .value_kind:     hidden_group_size_x
      - .offset:         3390
        .size:           2
        .value_kind:     hidden_group_size_y
      - .offset:         3392
        .size:           2
        .value_kind:     hidden_group_size_z
      - .offset:         3394
        .size:           2
        .value_kind:     hidden_remainder_x
      - .offset:         3396
        .size:           2
        .value_kind:     hidden_remainder_y
      - .offset:         3398
        .size:           2
        .value_kind:     hidden_remainder_z
      - .offset:         3416
        .size:           8
        .value_kind:     hidden_global_offset_x
      - .offset:         3424
        .size:           8
        .value_kind:     hidden_global_offset_y
      - .offset:         3432
        .size:           8
        .value_kind:     hidden_global_offset_z
      - .offset:         3440
        .size:           2
        .value_kind:     hidden_grid_dims
    .group_segment_fixed_size: 0
    .kernarg_segment_align: 8
    .kernarg_segment_size: 3632
    .language:       OpenCL C
    .language_version:
      - 2
      - 0
    .max_flat_workgroup_size: 512
    .name:           _ZN2at6native12_GLOBAL__N_125multi_tensor_apply_kernelINS1_18TensorListMetadataILi1EEENS1_21BinaryOpScalarFunctorIhLi1ELi1ELi0EEEJNS1_13power_functorIhEEhEEEvT_T0_DpT1_
    .private_segment_fixed_size: 0
    .sgpr_count:     28
    .sgpr_spill_count: 0
    .symbol:         _ZN2at6native12_GLOBAL__N_125multi_tensor_apply_kernelINS1_18TensorListMetadataILi1EEENS1_21BinaryOpScalarFunctorIhLi1ELi1ELi0EEEJNS1_13power_functorIhEEhEEEvT_T0_DpT1_.kd
    .uniform_work_group_size: 1
    .uses_dynamic_stack: false
    .vgpr_count:     16
    .vgpr_spill_count: 0
    .wavefront_size: 32
    .workgroup_processor_mode: 1
  - .args:
      - .offset:         0
        .size:           3368
        .value_kind:     by_value
      - .offset:         3368
        .size:           1
        .value_kind:     by_value
      - .offset:         3369
        .size:           1
        .value_kind:     by_value
      - .offset:         3370
        .size:           1
        .value_kind:     by_value
      - .offset:         3376
        .size:           4
        .value_kind:     hidden_block_count_x
      - .offset:         3380
        .size:           4
        .value_kind:     hidden_block_count_y
      - .offset:         3384
        .size:           4
        .value_kind:     hidden_block_count_z
      - .offset:         3388
        .size:           2
        .value_kind:     hidden_group_size_x
      - .offset:         3390
        .size:           2
        .value_kind:     hidden_group_size_y
      - .offset:         3392
        .size:           2
        .value_kind:     hidden_group_size_z
      - .offset:         3394
        .size:           2
        .value_kind:     hidden_remainder_x
      - .offset:         3396
        .size:           2
        .value_kind:     hidden_remainder_y
      - .offset:         3398
        .size:           2
        .value_kind:     hidden_remainder_z
      - .offset:         3416
        .size:           8
        .value_kind:     hidden_global_offset_x
      - .offset:         3424
        .size:           8
        .value_kind:     hidden_global_offset_y
      - .offset:         3432
        .size:           8
        .value_kind:     hidden_global_offset_z
      - .offset:         3440
        .size:           2
        .value_kind:     hidden_grid_dims
    .group_segment_fixed_size: 0
    .kernarg_segment_align: 8
    .kernarg_segment_size: 3632
    .language:       OpenCL C
    .language_version:
      - 2
      - 0
    .max_flat_workgroup_size: 512
    .name:           _ZN2at6native12_GLOBAL__N_125multi_tensor_apply_kernelINS1_18TensorListMetadataILi1EEENS1_21BinaryOpScalarFunctorIaLi1ELi1ELi0EEEJNS1_13power_functorIaEEaEEEvT_T0_DpT1_
    .private_segment_fixed_size: 0
    .sgpr_count:     30
    .sgpr_spill_count: 0
    .symbol:         _ZN2at6native12_GLOBAL__N_125multi_tensor_apply_kernelINS1_18TensorListMetadataILi1EEENS1_21BinaryOpScalarFunctorIaLi1ELi1ELi0EEEJNS1_13power_functorIaEEaEEEvT_T0_DpT1_.kd
    .uniform_work_group_size: 1
    .uses_dynamic_stack: false
    .vgpr_count:     17
    .vgpr_spill_count: 0
    .wavefront_size: 32
    .workgroup_processor_mode: 1
  - .args:
      - .offset:         0
        .size:           3368
        .value_kind:     by_value
      - .offset:         3368
        .size:           1
        .value_kind:     by_value
      - .offset:         3369
        .size:           1
        .value_kind:     by_value
      - .offset:         3372
        .size:           4
        .value_kind:     by_value
      - .offset:         3376
        .size:           4
        .value_kind:     hidden_block_count_x
      - .offset:         3380
        .size:           4
        .value_kind:     hidden_block_count_y
      - .offset:         3384
        .size:           4
        .value_kind:     hidden_block_count_z
      - .offset:         3388
        .size:           2
        .value_kind:     hidden_group_size_x
      - .offset:         3390
        .size:           2
        .value_kind:     hidden_group_size_y
      - .offset:         3392
        .size:           2
        .value_kind:     hidden_group_size_z
      - .offset:         3394
        .size:           2
        .value_kind:     hidden_remainder_x
      - .offset:         3396
        .size:           2
        .value_kind:     hidden_remainder_y
      - .offset:         3398
        .size:           2
        .value_kind:     hidden_remainder_z
      - .offset:         3416
        .size:           8
        .value_kind:     hidden_global_offset_x
      - .offset:         3424
        .size:           8
        .value_kind:     hidden_global_offset_y
      - .offset:         3432
        .size:           8
        .value_kind:     hidden_global_offset_z
      - .offset:         3440
        .size:           2
        .value_kind:     hidden_grid_dims
    .group_segment_fixed_size: 0
    .kernarg_segment_align: 8
    .kernarg_segment_size: 3632
    .language:       OpenCL C
    .language_version:
      - 2
      - 0
    .max_flat_workgroup_size: 512
    .name:           _ZN2at6native12_GLOBAL__N_125multi_tensor_apply_kernelINS1_18TensorListMetadataILi1EEENS1_21BinaryOpScalarFunctorIiLi1ELi1ELi0EEEJNS1_13power_functorIiEEiEEEvT_T0_DpT1_
    .private_segment_fixed_size: 0
    .sgpr_count:     31
    .sgpr_spill_count: 0
    .symbol:         _ZN2at6native12_GLOBAL__N_125multi_tensor_apply_kernelINS1_18TensorListMetadataILi1EEENS1_21BinaryOpScalarFunctorIiLi1ELi1ELi0EEEJNS1_13power_functorIiEEiEEEvT_T0_DpT1_.kd
    .uniform_work_group_size: 1
    .uses_dynamic_stack: false
    .vgpr_count:     17
    .vgpr_spill_count: 0
    .wavefront_size: 32
    .workgroup_processor_mode: 1
  - .args:
      - .offset:         0
        .size:           3368
        .value_kind:     by_value
      - .offset:         3368
        .size:           1
        .value_kind:     by_value
      - .offset:         3369
        .size:           1
        .value_kind:     by_value
      - .offset:         3376
        .size:           8
        .value_kind:     by_value
      - .offset:         3384
        .size:           4
        .value_kind:     hidden_block_count_x
      - .offset:         3388
        .size:           4
        .value_kind:     hidden_block_count_y
      - .offset:         3392
        .size:           4
        .value_kind:     hidden_block_count_z
      - .offset:         3396
        .size:           2
        .value_kind:     hidden_group_size_x
      - .offset:         3398
        .size:           2
        .value_kind:     hidden_group_size_y
      - .offset:         3400
        .size:           2
        .value_kind:     hidden_group_size_z
      - .offset:         3402
        .size:           2
        .value_kind:     hidden_remainder_x
      - .offset:         3404
        .size:           2
        .value_kind:     hidden_remainder_y
      - .offset:         3406
        .size:           2
        .value_kind:     hidden_remainder_z
      - .offset:         3424
        .size:           8
        .value_kind:     hidden_global_offset_x
      - .offset:         3432
        .size:           8
        .value_kind:     hidden_global_offset_y
      - .offset:         3440
        .size:           8
        .value_kind:     hidden_global_offset_z
      - .offset:         3448
        .size:           2
        .value_kind:     hidden_grid_dims
    .group_segment_fixed_size: 0
    .kernarg_segment_align: 8
    .kernarg_segment_size: 3640
    .language:       OpenCL C
    .language_version:
      - 2
      - 0
    .max_flat_workgroup_size: 512
    .name:           _ZN2at6native12_GLOBAL__N_125multi_tensor_apply_kernelINS1_18TensorListMetadataILi1EEENS1_21BinaryOpScalarFunctorIlLi1ELi1ELi0EEEJNS1_13power_functorIlEElEEEvT_T0_DpT1_
    .private_segment_fixed_size: 0
    .sgpr_count:     33
    .sgpr_spill_count: 0
    .symbol:         _ZN2at6native12_GLOBAL__N_125multi_tensor_apply_kernelINS1_18TensorListMetadataILi1EEENS1_21BinaryOpScalarFunctorIlLi1ELi1ELi0EEEJNS1_13power_functorIlEElEEEvT_T0_DpT1_.kd
    .uniform_work_group_size: 1
    .uses_dynamic_stack: false
    .vgpr_count:     26
    .vgpr_spill_count: 0
    .wavefront_size: 32
    .workgroup_processor_mode: 1
  - .args:
      - .offset:         0
        .size:           3368
        .value_kind:     by_value
      - .offset:         3368
        .size:           1
        .value_kind:     by_value
      - .offset:         3369
        .size:           1
        .value_kind:     by_value
      - .offset:         3370
        .size:           2
        .value_kind:     by_value
      - .offset:         3376
        .size:           4
        .value_kind:     hidden_block_count_x
      - .offset:         3380
        .size:           4
        .value_kind:     hidden_block_count_y
      - .offset:         3384
        .size:           4
        .value_kind:     hidden_block_count_z
      - .offset:         3388
        .size:           2
        .value_kind:     hidden_group_size_x
      - .offset:         3390
        .size:           2
        .value_kind:     hidden_group_size_y
      - .offset:         3392
        .size:           2
        .value_kind:     hidden_group_size_z
      - .offset:         3394
        .size:           2
        .value_kind:     hidden_remainder_x
      - .offset:         3396
        .size:           2
        .value_kind:     hidden_remainder_y
      - .offset:         3398
        .size:           2
        .value_kind:     hidden_remainder_z
      - .offset:         3416
        .size:           8
        .value_kind:     hidden_global_offset_x
      - .offset:         3424
        .size:           8
        .value_kind:     hidden_global_offset_y
      - .offset:         3432
        .size:           8
        .value_kind:     hidden_global_offset_z
      - .offset:         3440
        .size:           2
        .value_kind:     hidden_grid_dims
    .group_segment_fixed_size: 0
    .kernarg_segment_align: 8
    .kernarg_segment_size: 3632
    .language:       OpenCL C
    .language_version:
      - 2
      - 0
    .max_flat_workgroup_size: 512
    .name:           _ZN2at6native12_GLOBAL__N_125multi_tensor_apply_kernelINS1_18TensorListMetadataILi1EEENS1_21BinaryOpScalarFunctorIsLi1ELi1ELi0EEEJNS1_13power_functorIsEEsEEEvT_T0_DpT1_
    .private_segment_fixed_size: 0
    .sgpr_count:     31
    .sgpr_spill_count: 0
    .symbol:         _ZN2at6native12_GLOBAL__N_125multi_tensor_apply_kernelINS1_18TensorListMetadataILi1EEENS1_21BinaryOpScalarFunctorIsLi1ELi1ELi0EEEJNS1_13power_functorIsEEsEEEvT_T0_DpT1_.kd
    .uniform_work_group_size: 1
    .uses_dynamic_stack: false
    .vgpr_count:     17
    .vgpr_spill_count: 0
    .wavefront_size: 32
    .workgroup_processor_mode: 1
  - .args:
      - .offset:         0
        .size:           3368
        .value_kind:     by_value
      - .offset:         3368
        .size:           1
        .value_kind:     by_value
      - .offset:         3369
        .size:           1
        .value_kind:     by_value
      - .offset:         3376
        .size:           8
        .value_kind:     by_value
      - .offset:         3384
        .size:           4
        .value_kind:     hidden_block_count_x
      - .offset:         3388
        .size:           4
        .value_kind:     hidden_block_count_y
      - .offset:         3392
        .size:           4
        .value_kind:     hidden_block_count_z
      - .offset:         3396
        .size:           2
        .value_kind:     hidden_group_size_x
      - .offset:         3398
        .size:           2
        .value_kind:     hidden_group_size_y
      - .offset:         3400
        .size:           2
        .value_kind:     hidden_group_size_z
      - .offset:         3402
        .size:           2
        .value_kind:     hidden_remainder_x
      - .offset:         3404
        .size:           2
        .value_kind:     hidden_remainder_y
      - .offset:         3406
        .size:           2
        .value_kind:     hidden_remainder_z
      - .offset:         3424
        .size:           8
        .value_kind:     hidden_global_offset_x
      - .offset:         3432
        .size:           8
        .value_kind:     hidden_global_offset_y
      - .offset:         3440
        .size:           8
        .value_kind:     hidden_global_offset_z
      - .offset:         3448
        .size:           2
        .value_kind:     hidden_grid_dims
    .group_segment_fixed_size: 0
    .kernarg_segment_align: 8
    .kernarg_segment_size: 3640
    .language:       OpenCL C
    .language_version:
      - 2
      - 0
    .max_flat_workgroup_size: 512
    .name:           _ZN2at6native12_GLOBAL__N_125multi_tensor_apply_kernelINS1_18TensorListMetadataILi1EEENS1_21BinaryOpScalarFunctorIdLi1ELi1ELi0EEEJNS1_13power_functorIdEEdEEEvT_T0_DpT1_
    .private_segment_fixed_size: 0
    .sgpr_count:     91
    .sgpr_spill_count: 0
    .symbol:         _ZN2at6native12_GLOBAL__N_125multi_tensor_apply_kernelINS1_18TensorListMetadataILi1EEENS1_21BinaryOpScalarFunctorIdLi1ELi1ELi0EEEJNS1_13power_functorIdEEdEEEvT_T0_DpT1_.kd
    .uniform_work_group_size: 1
    .uses_dynamic_stack: false
    .vgpr_count:     91
    .vgpr_spill_count: 0
    .wavefront_size: 32
    .workgroup_processor_mode: 1
  - .args:
      - .offset:         0
        .size:           3368
        .value_kind:     by_value
      - .offset:         3368
        .size:           1
        .value_kind:     by_value
      - .offset:         3369
        .size:           1
        .value_kind:     by_value
      - .offset:         3372
        .size:           4
        .value_kind:     by_value
      - .offset:         3376
        .size:           4
        .value_kind:     hidden_block_count_x
      - .offset:         3380
        .size:           4
        .value_kind:     hidden_block_count_y
      - .offset:         3384
        .size:           4
        .value_kind:     hidden_block_count_z
      - .offset:         3388
        .size:           2
        .value_kind:     hidden_group_size_x
      - .offset:         3390
        .size:           2
        .value_kind:     hidden_group_size_y
      - .offset:         3392
        .size:           2
        .value_kind:     hidden_group_size_z
      - .offset:         3394
        .size:           2
        .value_kind:     hidden_remainder_x
      - .offset:         3396
        .size:           2
        .value_kind:     hidden_remainder_y
      - .offset:         3398
        .size:           2
        .value_kind:     hidden_remainder_z
      - .offset:         3416
        .size:           8
        .value_kind:     hidden_global_offset_x
      - .offset:         3424
        .size:           8
        .value_kind:     hidden_global_offset_y
      - .offset:         3432
        .size:           8
        .value_kind:     hidden_global_offset_z
      - .offset:         3440
        .size:           2
        .value_kind:     hidden_grid_dims
    .group_segment_fixed_size: 0
    .kernarg_segment_align: 8
    .kernarg_segment_size: 3632
    .language:       OpenCL C
    .language_version:
      - 2
      - 0
    .max_flat_workgroup_size: 512
    .name:           _ZN2at6native12_GLOBAL__N_125multi_tensor_apply_kernelINS1_18TensorListMetadataILi1EEENS1_21BinaryOpScalarFunctorIfLi1ELi1ELi0EEEJNS1_13power_functorIfEEfEEEvT_T0_DpT1_
    .private_segment_fixed_size: 0
    .sgpr_count:     34
    .sgpr_spill_count: 0
    .symbol:         _ZN2at6native12_GLOBAL__N_125multi_tensor_apply_kernelINS1_18TensorListMetadataILi1EEENS1_21BinaryOpScalarFunctorIfLi1ELi1ELi0EEEJNS1_13power_functorIfEEfEEEvT_T0_DpT1_.kd
    .uniform_work_group_size: 1
    .uses_dynamic_stack: false
    .vgpr_count:     75
    .vgpr_spill_count: 0
    .wavefront_size: 32
    .workgroup_processor_mode: 1
  - .args:
      - .offset:         0
        .size:           3368
        .value_kind:     by_value
      - .offset:         3368
        .size:           1
        .value_kind:     by_value
      - .offset:         3369
        .size:           1
        .value_kind:     by_value
      - .offset:         3376
        .size:           16
        .value_kind:     by_value
      - .offset:         3392
        .size:           4
        .value_kind:     hidden_block_count_x
      - .offset:         3396
        .size:           4
        .value_kind:     hidden_block_count_y
      - .offset:         3400
        .size:           4
        .value_kind:     hidden_block_count_z
      - .offset:         3404
        .size:           2
        .value_kind:     hidden_group_size_x
      - .offset:         3406
        .size:           2
        .value_kind:     hidden_group_size_y
      - .offset:         3408
        .size:           2
        .value_kind:     hidden_group_size_z
      - .offset:         3410
        .size:           2
        .value_kind:     hidden_remainder_x
      - .offset:         3412
        .size:           2
        .value_kind:     hidden_remainder_y
      - .offset:         3414
        .size:           2
        .value_kind:     hidden_remainder_z
      - .offset:         3432
        .size:           8
        .value_kind:     hidden_global_offset_x
      - .offset:         3440
        .size:           8
        .value_kind:     hidden_global_offset_y
      - .offset:         3448
        .size:           8
        .value_kind:     hidden_global_offset_z
      - .offset:         3456
        .size:           2
        .value_kind:     hidden_grid_dims
    .group_segment_fixed_size: 0
    .kernarg_segment_align: 16
    .kernarg_segment_size: 3648
    .language:       OpenCL C
    .language_version:
      - 2
      - 0
    .max_flat_workgroup_size: 512
    .name:           _ZN2at6native12_GLOBAL__N_125multi_tensor_apply_kernelINS1_18TensorListMetadataILi1EEENS1_21BinaryOpScalarFunctorIN3c107complexIdEELi1ELi1ELi0EEEJNS1_13power_functorIS8_EES8_EEEvT_T0_DpT1_
    .private_segment_fixed_size: 0
    .sgpr_count:     52
    .sgpr_spill_count: 0
    .symbol:         _ZN2at6native12_GLOBAL__N_125multi_tensor_apply_kernelINS1_18TensorListMetadataILi1EEENS1_21BinaryOpScalarFunctorIN3c107complexIdEELi1ELi1ELi0EEEJNS1_13power_functorIS8_EES8_EEEvT_T0_DpT1_.kd
    .uniform_work_group_size: 1
    .uses_dynamic_stack: false
    .vgpr_count:     77
    .vgpr_spill_count: 0
    .wavefront_size: 32
    .workgroup_processor_mode: 1
  - .args:
      - .offset:         0
        .size:           3368
        .value_kind:     by_value
      - .offset:         3368
        .size:           1
        .value_kind:     by_value
      - .offset:         3369
        .size:           1
        .value_kind:     by_value
      - .offset:         3376
        .size:           8
        .value_kind:     by_value
      - .offset:         3384
        .size:           4
        .value_kind:     hidden_block_count_x
      - .offset:         3388
        .size:           4
        .value_kind:     hidden_block_count_y
      - .offset:         3392
        .size:           4
        .value_kind:     hidden_block_count_z
      - .offset:         3396
        .size:           2
        .value_kind:     hidden_group_size_x
      - .offset:         3398
        .size:           2
        .value_kind:     hidden_group_size_y
      - .offset:         3400
        .size:           2
        .value_kind:     hidden_group_size_z
      - .offset:         3402
        .size:           2
        .value_kind:     hidden_remainder_x
      - .offset:         3404
        .size:           2
        .value_kind:     hidden_remainder_y
      - .offset:         3406
        .size:           2
        .value_kind:     hidden_remainder_z
      - .offset:         3424
        .size:           8
        .value_kind:     hidden_global_offset_x
      - .offset:         3432
        .size:           8
        .value_kind:     hidden_global_offset_y
      - .offset:         3440
        .size:           8
        .value_kind:     hidden_global_offset_z
      - .offset:         3448
        .size:           2
        .value_kind:     hidden_grid_dims
    .group_segment_fixed_size: 0
    .kernarg_segment_align: 8
    .kernarg_segment_size: 3640
    .language:       OpenCL C
    .language_version:
      - 2
      - 0
    .max_flat_workgroup_size: 512
    .name:           _ZN2at6native12_GLOBAL__N_125multi_tensor_apply_kernelINS1_18TensorListMetadataILi1EEENS1_21BinaryOpScalarFunctorIN3c107complexIfEELi1ELi1ELi0EEEJNS1_13power_functorIS8_EES8_EEEvT_T0_DpT1_
    .private_segment_fixed_size: 16
    .sgpr_count:     48
    .sgpr_spill_count: 0
    .symbol:         _ZN2at6native12_GLOBAL__N_125multi_tensor_apply_kernelINS1_18TensorListMetadataILi1EEENS1_21BinaryOpScalarFunctorIN3c107complexIfEELi1ELi1ELi0EEEJNS1_13power_functorIS8_EES8_EEEvT_T0_DpT1_.kd
    .uniform_work_group_size: 1
    .uses_dynamic_stack: false
    .vgpr_count:     40
    .vgpr_spill_count: 0
    .wavefront_size: 32
    .workgroup_processor_mode: 1
  - .args:
      - .offset:         0
        .size:           3368
        .value_kind:     by_value
      - .offset:         3368
        .size:           1
        .value_kind:     by_value
      - .offset:         3369
        .size:           1
        .value_kind:     by_value
      - .offset:         3372
        .size:           4
        .value_kind:     by_value
      - .offset:         3376
        .size:           4
        .value_kind:     hidden_block_count_x
      - .offset:         3380
        .size:           4
        .value_kind:     hidden_block_count_y
      - .offset:         3384
        .size:           4
        .value_kind:     hidden_block_count_z
      - .offset:         3388
        .size:           2
        .value_kind:     hidden_group_size_x
      - .offset:         3390
        .size:           2
        .value_kind:     hidden_group_size_y
      - .offset:         3392
        .size:           2
        .value_kind:     hidden_group_size_z
      - .offset:         3394
        .size:           2
        .value_kind:     hidden_remainder_x
      - .offset:         3396
        .size:           2
        .value_kind:     hidden_remainder_y
      - .offset:         3398
        .size:           2
        .value_kind:     hidden_remainder_z
      - .offset:         3416
        .size:           8
        .value_kind:     hidden_global_offset_x
      - .offset:         3424
        .size:           8
        .value_kind:     hidden_global_offset_y
      - .offset:         3432
        .size:           8
        .value_kind:     hidden_global_offset_z
      - .offset:         3440
        .size:           2
        .value_kind:     hidden_grid_dims
    .group_segment_fixed_size: 0
    .kernarg_segment_align: 8
    .kernarg_segment_size: 3632
    .language:       OpenCL C
    .language_version:
      - 2
      - 0
    .max_flat_workgroup_size: 512
    .name:           _ZN2at6native12_GLOBAL__N_125multi_tensor_apply_kernelINS1_18TensorListMetadataILi1EEENS1_21BinaryOpScalarFunctorIN3c104HalfELi1ELi1ELi0EEEJNS1_13power_functorIfEEfEEEvT_T0_DpT1_
    .private_segment_fixed_size: 0
    .sgpr_count:     32
    .sgpr_spill_count: 0
    .symbol:         _ZN2at6native12_GLOBAL__N_125multi_tensor_apply_kernelINS1_18TensorListMetadataILi1EEENS1_21BinaryOpScalarFunctorIN3c104HalfELi1ELi1ELi0EEEJNS1_13power_functorIfEEfEEEvT_T0_DpT1_.kd
    .uniform_work_group_size: 1
    .uses_dynamic_stack: false
    .vgpr_count:     71
    .vgpr_spill_count: 0
    .wavefront_size: 32
    .workgroup_processor_mode: 1
  - .args:
      - .offset:         0
        .size:           3368
        .value_kind:     by_value
      - .offset:         3368
        .size:           1
        .value_kind:     by_value
      - .offset:         3369
        .size:           1
        .value_kind:     by_value
      - .offset:         3372
        .size:           4
        .value_kind:     by_value
      - .offset:         3376
        .size:           4
        .value_kind:     hidden_block_count_x
      - .offset:         3380
        .size:           4
        .value_kind:     hidden_block_count_y
      - .offset:         3384
        .size:           4
        .value_kind:     hidden_block_count_z
      - .offset:         3388
        .size:           2
        .value_kind:     hidden_group_size_x
      - .offset:         3390
        .size:           2
        .value_kind:     hidden_group_size_y
      - .offset:         3392
        .size:           2
        .value_kind:     hidden_group_size_z
      - .offset:         3394
        .size:           2
        .value_kind:     hidden_remainder_x
      - .offset:         3396
        .size:           2
        .value_kind:     hidden_remainder_y
      - .offset:         3398
        .size:           2
        .value_kind:     hidden_remainder_z
      - .offset:         3416
        .size:           8
        .value_kind:     hidden_global_offset_x
      - .offset:         3424
        .size:           8
        .value_kind:     hidden_global_offset_y
      - .offset:         3432
        .size:           8
        .value_kind:     hidden_global_offset_z
      - .offset:         3440
        .size:           2
        .value_kind:     hidden_grid_dims
    .group_segment_fixed_size: 0
    .kernarg_segment_align: 8
    .kernarg_segment_size: 3632
    .language:       OpenCL C
    .language_version:
      - 2
      - 0
    .max_flat_workgroup_size: 512
    .name:           _ZN2at6native12_GLOBAL__N_125multi_tensor_apply_kernelINS1_18TensorListMetadataILi1EEENS1_21BinaryOpScalarFunctorIN3c108BFloat16ELi1ELi1ELi0EEEJNS1_13power_functorIfEEfEEEvT_T0_DpT1_
    .private_segment_fixed_size: 0
    .sgpr_count:     32
    .sgpr_spill_count: 0
    .symbol:         _ZN2at6native12_GLOBAL__N_125multi_tensor_apply_kernelINS1_18TensorListMetadataILi1EEENS1_21BinaryOpScalarFunctorIN3c108BFloat16ELi1ELi1ELi0EEEJNS1_13power_functorIfEEfEEEvT_T0_DpT1_.kd
    .uniform_work_group_size: 1
    .uses_dynamic_stack: false
    .vgpr_count:     71
    .vgpr_spill_count: 0
    .wavefront_size: 32
    .workgroup_processor_mode: 1
  - .args:
      - .offset:         0
        .size:           3144
        .value_kind:     by_value
      - .offset:         3144
        .size:           1
        .value_kind:     by_value
      - .offset:         3145
        .size:           1
        .value_kind:     by_value
      - .offset:         3146
        .size:           1
        .value_kind:     by_value
      - .offset:         3152
        .size:           4
        .value_kind:     hidden_block_count_x
      - .offset:         3156
        .size:           4
        .value_kind:     hidden_block_count_y
      - .offset:         3160
        .size:           4
        .value_kind:     hidden_block_count_z
      - .offset:         3164
        .size:           2
        .value_kind:     hidden_group_size_x
      - .offset:         3166
        .size:           2
        .value_kind:     hidden_group_size_y
      - .offset:         3168
        .size:           2
        .value_kind:     hidden_group_size_z
      - .offset:         3170
        .size:           2
        .value_kind:     hidden_remainder_x
      - .offset:         3172
        .size:           2
        .value_kind:     hidden_remainder_y
      - .offset:         3174
        .size:           2
        .value_kind:     hidden_remainder_z
      - .offset:         3192
        .size:           8
        .value_kind:     hidden_global_offset_x
      - .offset:         3200
        .size:           8
        .value_kind:     hidden_global_offset_y
      - .offset:         3208
        .size:           8
        .value_kind:     hidden_global_offset_z
      - .offset:         3216
        .size:           2
        .value_kind:     hidden_grid_dims
    .group_segment_fixed_size: 0
    .kernarg_segment_align: 8
    .kernarg_segment_size: 3408
    .language:       OpenCL C
    .language_version:
      - 2
      - 0
    .max_flat_workgroup_size: 512
    .name:           _ZN2at6native12_GLOBAL__N_125multi_tensor_apply_kernelINS1_18TensorListMetadataILi2EEENS1_21BinaryOpScalarFunctorIhLi2ELi1ELi1EEEJNS1_13power_functorIhEEhEEEvT_T0_DpT1_
    .private_segment_fixed_size: 0
    .sgpr_count:     30
    .sgpr_spill_count: 0
    .symbol:         _ZN2at6native12_GLOBAL__N_125multi_tensor_apply_kernelINS1_18TensorListMetadataILi2EEENS1_21BinaryOpScalarFunctorIhLi2ELi1ELi1EEEJNS1_13power_functorIhEEhEEEvT_T0_DpT1_.kd
    .uniform_work_group_size: 1
    .uses_dynamic_stack: false
    .vgpr_count:     16
    .vgpr_spill_count: 0
    .wavefront_size: 32
    .workgroup_processor_mode: 1
  - .args:
      - .offset:         0
        .size:           3144
        .value_kind:     by_value
      - .offset:         3144
        .size:           1
        .value_kind:     by_value
      - .offset:         3145
        .size:           1
        .value_kind:     by_value
      - .offset:         3146
        .size:           1
        .value_kind:     by_value
      - .offset:         3152
        .size:           4
        .value_kind:     hidden_block_count_x
      - .offset:         3156
        .size:           4
        .value_kind:     hidden_block_count_y
      - .offset:         3160
        .size:           4
        .value_kind:     hidden_block_count_z
      - .offset:         3164
        .size:           2
        .value_kind:     hidden_group_size_x
      - .offset:         3166
        .size:           2
        .value_kind:     hidden_group_size_y
      - .offset:         3168
        .size:           2
        .value_kind:     hidden_group_size_z
      - .offset:         3170
        .size:           2
        .value_kind:     hidden_remainder_x
      - .offset:         3172
        .size:           2
        .value_kind:     hidden_remainder_y
      - .offset:         3174
        .size:           2
        .value_kind:     hidden_remainder_z
      - .offset:         3192
        .size:           8
        .value_kind:     hidden_global_offset_x
      - .offset:         3200
        .size:           8
        .value_kind:     hidden_global_offset_y
      - .offset:         3208
        .size:           8
        .value_kind:     hidden_global_offset_z
      - .offset:         3216
        .size:           2
        .value_kind:     hidden_grid_dims
    .group_segment_fixed_size: 0
    .kernarg_segment_align: 8
    .kernarg_segment_size: 3408
    .language:       OpenCL C
    .language_version:
      - 2
      - 0
    .max_flat_workgroup_size: 512
    .name:           _ZN2at6native12_GLOBAL__N_125multi_tensor_apply_kernelINS1_18TensorListMetadataILi2EEENS1_21BinaryOpScalarFunctorIaLi2ELi1ELi1EEEJNS1_13power_functorIaEEaEEEvT_T0_DpT1_
    .private_segment_fixed_size: 0
    .sgpr_count:     32
    .sgpr_spill_count: 0
    .symbol:         _ZN2at6native12_GLOBAL__N_125multi_tensor_apply_kernelINS1_18TensorListMetadataILi2EEENS1_21BinaryOpScalarFunctorIaLi2ELi1ELi1EEEJNS1_13power_functorIaEEaEEEvT_T0_DpT1_.kd
    .uniform_work_group_size: 1
    .uses_dynamic_stack: false
    .vgpr_count:     17
    .vgpr_spill_count: 0
    .wavefront_size: 32
    .workgroup_processor_mode: 1
  - .args:
      - .offset:         0
        .size:           3144
        .value_kind:     by_value
      - .offset:         3144
        .size:           1
        .value_kind:     by_value
      - .offset:         3145
        .size:           1
        .value_kind:     by_value
      - .offset:         3148
        .size:           4
        .value_kind:     by_value
      - .offset:         3152
        .size:           4
        .value_kind:     hidden_block_count_x
      - .offset:         3156
        .size:           4
        .value_kind:     hidden_block_count_y
      - .offset:         3160
        .size:           4
        .value_kind:     hidden_block_count_z
      - .offset:         3164
        .size:           2
        .value_kind:     hidden_group_size_x
      - .offset:         3166
        .size:           2
        .value_kind:     hidden_group_size_y
      - .offset:         3168
        .size:           2
        .value_kind:     hidden_group_size_z
      - .offset:         3170
        .size:           2
        .value_kind:     hidden_remainder_x
      - .offset:         3172
        .size:           2
        .value_kind:     hidden_remainder_y
      - .offset:         3174
        .size:           2
        .value_kind:     hidden_remainder_z
      - .offset:         3192
        .size:           8
        .value_kind:     hidden_global_offset_x
      - .offset:         3200
        .size:           8
        .value_kind:     hidden_global_offset_y
      - .offset:         3208
        .size:           8
        .value_kind:     hidden_global_offset_z
      - .offset:         3216
        .size:           2
        .value_kind:     hidden_grid_dims
    .group_segment_fixed_size: 0
    .kernarg_segment_align: 8
    .kernarg_segment_size: 3408
    .language:       OpenCL C
    .language_version:
      - 2
      - 0
    .max_flat_workgroup_size: 512
    .name:           _ZN2at6native12_GLOBAL__N_125multi_tensor_apply_kernelINS1_18TensorListMetadataILi2EEENS1_21BinaryOpScalarFunctorIiLi2ELi1ELi1EEEJNS1_13power_functorIiEEiEEEvT_T0_DpT1_
    .private_segment_fixed_size: 0
    .sgpr_count:     33
    .sgpr_spill_count: 0
    .symbol:         _ZN2at6native12_GLOBAL__N_125multi_tensor_apply_kernelINS1_18TensorListMetadataILi2EEENS1_21BinaryOpScalarFunctorIiLi2ELi1ELi1EEEJNS1_13power_functorIiEEiEEEvT_T0_DpT1_.kd
    .uniform_work_group_size: 1
    .uses_dynamic_stack: false
    .vgpr_count:     17
    .vgpr_spill_count: 0
    .wavefront_size: 32
    .workgroup_processor_mode: 1
  - .args:
      - .offset:         0
        .size:           3144
        .value_kind:     by_value
      - .offset:         3144
        .size:           1
        .value_kind:     by_value
      - .offset:         3145
        .size:           1
        .value_kind:     by_value
      - .offset:         3152
        .size:           8
        .value_kind:     by_value
      - .offset:         3160
        .size:           4
        .value_kind:     hidden_block_count_x
      - .offset:         3164
        .size:           4
        .value_kind:     hidden_block_count_y
      - .offset:         3168
        .size:           4
        .value_kind:     hidden_block_count_z
      - .offset:         3172
        .size:           2
        .value_kind:     hidden_group_size_x
      - .offset:         3174
        .size:           2
        .value_kind:     hidden_group_size_y
      - .offset:         3176
        .size:           2
        .value_kind:     hidden_group_size_z
      - .offset:         3178
        .size:           2
        .value_kind:     hidden_remainder_x
      - .offset:         3180
        .size:           2
        .value_kind:     hidden_remainder_y
      - .offset:         3182
        .size:           2
        .value_kind:     hidden_remainder_z
      - .offset:         3200
        .size:           8
        .value_kind:     hidden_global_offset_x
      - .offset:         3208
        .size:           8
        .value_kind:     hidden_global_offset_y
      - .offset:         3216
        .size:           8
        .value_kind:     hidden_global_offset_z
      - .offset:         3224
        .size:           2
        .value_kind:     hidden_grid_dims
    .group_segment_fixed_size: 0
    .kernarg_segment_align: 8
    .kernarg_segment_size: 3416
    .language:       OpenCL C
    .language_version:
      - 2
      - 0
    .max_flat_workgroup_size: 512
    .name:           _ZN2at6native12_GLOBAL__N_125multi_tensor_apply_kernelINS1_18TensorListMetadataILi2EEENS1_21BinaryOpScalarFunctorIlLi2ELi1ELi1EEEJNS1_13power_functorIlEElEEEvT_T0_DpT1_
    .private_segment_fixed_size: 0
    .sgpr_count:     36
    .sgpr_spill_count: 0
    .symbol:         _ZN2at6native12_GLOBAL__N_125multi_tensor_apply_kernelINS1_18TensorListMetadataILi2EEENS1_21BinaryOpScalarFunctorIlLi2ELi1ELi1EEEJNS1_13power_functorIlEElEEEvT_T0_DpT1_.kd
    .uniform_work_group_size: 1
    .uses_dynamic_stack: false
    .vgpr_count:     26
    .vgpr_spill_count: 0
    .wavefront_size: 32
    .workgroup_processor_mode: 1
  - .args:
      - .offset:         0
        .size:           3144
        .value_kind:     by_value
      - .offset:         3144
        .size:           1
        .value_kind:     by_value
      - .offset:         3145
        .size:           1
        .value_kind:     by_value
      - .offset:         3146
        .size:           2
        .value_kind:     by_value
      - .offset:         3152
        .size:           4
        .value_kind:     hidden_block_count_x
      - .offset:         3156
        .size:           4
        .value_kind:     hidden_block_count_y
      - .offset:         3160
        .size:           4
        .value_kind:     hidden_block_count_z
      - .offset:         3164
        .size:           2
        .value_kind:     hidden_group_size_x
      - .offset:         3166
        .size:           2
        .value_kind:     hidden_group_size_y
      - .offset:         3168
        .size:           2
        .value_kind:     hidden_group_size_z
      - .offset:         3170
        .size:           2
        .value_kind:     hidden_remainder_x
      - .offset:         3172
        .size:           2
        .value_kind:     hidden_remainder_y
      - .offset:         3174
        .size:           2
        .value_kind:     hidden_remainder_z
      - .offset:         3192
        .size:           8
        .value_kind:     hidden_global_offset_x
      - .offset:         3200
        .size:           8
        .value_kind:     hidden_global_offset_y
      - .offset:         3208
        .size:           8
        .value_kind:     hidden_global_offset_z
      - .offset:         3216
        .size:           2
        .value_kind:     hidden_grid_dims
    .group_segment_fixed_size: 0
    .kernarg_segment_align: 8
    .kernarg_segment_size: 3408
    .language:       OpenCL C
    .language_version:
      - 2
      - 0
    .max_flat_workgroup_size: 512
    .name:           _ZN2at6native12_GLOBAL__N_125multi_tensor_apply_kernelINS1_18TensorListMetadataILi2EEENS1_21BinaryOpScalarFunctorIsLi2ELi1ELi1EEEJNS1_13power_functorIsEEsEEEvT_T0_DpT1_
    .private_segment_fixed_size: 0
    .sgpr_count:     33
    .sgpr_spill_count: 0
    .symbol:         _ZN2at6native12_GLOBAL__N_125multi_tensor_apply_kernelINS1_18TensorListMetadataILi2EEENS1_21BinaryOpScalarFunctorIsLi2ELi1ELi1EEEJNS1_13power_functorIsEEsEEEvT_T0_DpT1_.kd
    .uniform_work_group_size: 1
    .uses_dynamic_stack: false
    .vgpr_count:     17
    .vgpr_spill_count: 0
    .wavefront_size: 32
    .workgroup_processor_mode: 1
  - .args:
      - .offset:         0
        .size:           3144
        .value_kind:     by_value
      - .offset:         3144
        .size:           1
        .value_kind:     by_value
      - .offset:         3145
        .size:           1
        .value_kind:     by_value
      - .offset:         3152
        .size:           8
        .value_kind:     by_value
      - .offset:         3160
        .size:           4
        .value_kind:     hidden_block_count_x
      - .offset:         3164
        .size:           4
        .value_kind:     hidden_block_count_y
      - .offset:         3168
        .size:           4
        .value_kind:     hidden_block_count_z
      - .offset:         3172
        .size:           2
        .value_kind:     hidden_group_size_x
      - .offset:         3174
        .size:           2
        .value_kind:     hidden_group_size_y
      - .offset:         3176
        .size:           2
        .value_kind:     hidden_group_size_z
      - .offset:         3178
        .size:           2
        .value_kind:     hidden_remainder_x
      - .offset:         3180
        .size:           2
        .value_kind:     hidden_remainder_y
      - .offset:         3182
        .size:           2
        .value_kind:     hidden_remainder_z
      - .offset:         3200
        .size:           8
        .value_kind:     hidden_global_offset_x
      - .offset:         3208
        .size:           8
        .value_kind:     hidden_global_offset_y
      - .offset:         3216
        .size:           8
        .value_kind:     hidden_global_offset_z
      - .offset:         3224
        .size:           2
        .value_kind:     hidden_grid_dims
    .group_segment_fixed_size: 0
    .kernarg_segment_align: 8
    .kernarg_segment_size: 3416
    .language:       OpenCL C
    .language_version:
      - 2
      - 0
    .max_flat_workgroup_size: 512
    .name:           _ZN2at6native12_GLOBAL__N_125multi_tensor_apply_kernelINS1_18TensorListMetadataILi2EEENS1_21BinaryOpScalarFunctorIdLi2ELi1ELi1EEEJNS1_13power_functorIdEEdEEEvT_T0_DpT1_
    .private_segment_fixed_size: 0
    .sgpr_count:     102
    .sgpr_spill_count: 0
    .symbol:         _ZN2at6native12_GLOBAL__N_125multi_tensor_apply_kernelINS1_18TensorListMetadataILi2EEENS1_21BinaryOpScalarFunctorIdLi2ELi1ELi1EEEJNS1_13power_functorIdEEdEEEvT_T0_DpT1_.kd
    .uniform_work_group_size: 1
    .uses_dynamic_stack: false
    .vgpr_count:     95
    .vgpr_spill_count: 0
    .wavefront_size: 32
    .workgroup_processor_mode: 1
  - .args:
      - .offset:         0
        .size:           3144
        .value_kind:     by_value
      - .offset:         3144
        .size:           1
        .value_kind:     by_value
      - .offset:         3145
        .size:           1
        .value_kind:     by_value
      - .offset:         3148
        .size:           4
        .value_kind:     by_value
      - .offset:         3152
        .size:           4
        .value_kind:     hidden_block_count_x
      - .offset:         3156
        .size:           4
        .value_kind:     hidden_block_count_y
      - .offset:         3160
        .size:           4
        .value_kind:     hidden_block_count_z
      - .offset:         3164
        .size:           2
        .value_kind:     hidden_group_size_x
      - .offset:         3166
        .size:           2
        .value_kind:     hidden_group_size_y
      - .offset:         3168
        .size:           2
        .value_kind:     hidden_group_size_z
      - .offset:         3170
        .size:           2
        .value_kind:     hidden_remainder_x
      - .offset:         3172
        .size:           2
        .value_kind:     hidden_remainder_y
      - .offset:         3174
        .size:           2
        .value_kind:     hidden_remainder_z
      - .offset:         3192
        .size:           8
        .value_kind:     hidden_global_offset_x
      - .offset:         3200
        .size:           8
        .value_kind:     hidden_global_offset_y
      - .offset:         3208
        .size:           8
        .value_kind:     hidden_global_offset_z
      - .offset:         3216
        .size:           2
        .value_kind:     hidden_grid_dims
    .group_segment_fixed_size: 0
    .kernarg_segment_align: 8
    .kernarg_segment_size: 3408
    .language:       OpenCL C
    .language_version:
      - 2
      - 0
    .max_flat_workgroup_size: 512
    .name:           _ZN2at6native12_GLOBAL__N_125multi_tensor_apply_kernelINS1_18TensorListMetadataILi2EEENS1_21BinaryOpScalarFunctorIfLi2ELi1ELi1EEEJNS1_13power_functorIfEEfEEEvT_T0_DpT1_
    .private_segment_fixed_size: 0
    .sgpr_count:     41
    .sgpr_spill_count: 0
    .symbol:         _ZN2at6native12_GLOBAL__N_125multi_tensor_apply_kernelINS1_18TensorListMetadataILi2EEENS1_21BinaryOpScalarFunctorIfLi2ELi1ELi1EEEJNS1_13power_functorIfEEfEEEvT_T0_DpT1_.kd
    .uniform_work_group_size: 1
    .uses_dynamic_stack: false
    .vgpr_count:     70
    .vgpr_spill_count: 0
    .wavefront_size: 32
    .workgroup_processor_mode: 1
  - .args:
      - .offset:         0
        .size:           3144
        .value_kind:     by_value
      - .offset:         3144
        .size:           1
        .value_kind:     by_value
      - .offset:         3145
        .size:           1
        .value_kind:     by_value
      - .offset:         3152
        .size:           16
        .value_kind:     by_value
      - .offset:         3168
        .size:           4
        .value_kind:     hidden_block_count_x
      - .offset:         3172
        .size:           4
        .value_kind:     hidden_block_count_y
      - .offset:         3176
        .size:           4
        .value_kind:     hidden_block_count_z
      - .offset:         3180
        .size:           2
        .value_kind:     hidden_group_size_x
      - .offset:         3182
        .size:           2
        .value_kind:     hidden_group_size_y
      - .offset:         3184
        .size:           2
        .value_kind:     hidden_group_size_z
      - .offset:         3186
        .size:           2
        .value_kind:     hidden_remainder_x
      - .offset:         3188
        .size:           2
        .value_kind:     hidden_remainder_y
      - .offset:         3190
        .size:           2
        .value_kind:     hidden_remainder_z
      - .offset:         3208
        .size:           8
        .value_kind:     hidden_global_offset_x
      - .offset:         3216
        .size:           8
        .value_kind:     hidden_global_offset_y
      - .offset:         3224
        .size:           8
        .value_kind:     hidden_global_offset_z
      - .offset:         3232
        .size:           2
        .value_kind:     hidden_grid_dims
    .group_segment_fixed_size: 0
    .kernarg_segment_align: 16
    .kernarg_segment_size: 3424
    .language:       OpenCL C
    .language_version:
      - 2
      - 0
    .max_flat_workgroup_size: 512
    .name:           _ZN2at6native12_GLOBAL__N_125multi_tensor_apply_kernelINS1_18TensorListMetadataILi2EEENS1_21BinaryOpScalarFunctorIN3c107complexIdEELi2ELi1ELi1EEEJNS1_13power_functorIS8_EES8_EEEvT_T0_DpT1_
    .private_segment_fixed_size: 0
    .sgpr_count:     50
    .sgpr_spill_count: 0
    .symbol:         _ZN2at6native12_GLOBAL__N_125multi_tensor_apply_kernelINS1_18TensorListMetadataILi2EEENS1_21BinaryOpScalarFunctorIN3c107complexIdEELi2ELi1ELi1EEEJNS1_13power_functorIS8_EES8_EEEvT_T0_DpT1_.kd
    .uniform_work_group_size: 1
    .uses_dynamic_stack: false
    .vgpr_count:     74
    .vgpr_spill_count: 0
    .wavefront_size: 32
    .workgroup_processor_mode: 1
  - .args:
      - .offset:         0
        .size:           3144
        .value_kind:     by_value
      - .offset:         3144
        .size:           1
        .value_kind:     by_value
      - .offset:         3145
        .size:           1
        .value_kind:     by_value
      - .offset:         3152
        .size:           8
        .value_kind:     by_value
      - .offset:         3160
        .size:           4
        .value_kind:     hidden_block_count_x
      - .offset:         3164
        .size:           4
        .value_kind:     hidden_block_count_y
      - .offset:         3168
        .size:           4
        .value_kind:     hidden_block_count_z
      - .offset:         3172
        .size:           2
        .value_kind:     hidden_group_size_x
      - .offset:         3174
        .size:           2
        .value_kind:     hidden_group_size_y
      - .offset:         3176
        .size:           2
        .value_kind:     hidden_group_size_z
      - .offset:         3178
        .size:           2
        .value_kind:     hidden_remainder_x
      - .offset:         3180
        .size:           2
        .value_kind:     hidden_remainder_y
      - .offset:         3182
        .size:           2
        .value_kind:     hidden_remainder_z
      - .offset:         3200
        .size:           8
        .value_kind:     hidden_global_offset_x
      - .offset:         3208
        .size:           8
        .value_kind:     hidden_global_offset_y
      - .offset:         3216
        .size:           8
        .value_kind:     hidden_global_offset_z
      - .offset:         3224
        .size:           2
        .value_kind:     hidden_grid_dims
    .group_segment_fixed_size: 0
    .kernarg_segment_align: 8
    .kernarg_segment_size: 3416
    .language:       OpenCL C
    .language_version:
      - 2
      - 0
    .max_flat_workgroup_size: 512
    .name:           _ZN2at6native12_GLOBAL__N_125multi_tensor_apply_kernelINS1_18TensorListMetadataILi2EEENS1_21BinaryOpScalarFunctorIN3c107complexIfEELi2ELi1ELi1EEEJNS1_13power_functorIS8_EES8_EEEvT_T0_DpT1_
    .private_segment_fixed_size: 16
    .sgpr_count:     50
    .sgpr_spill_count: 0
    .symbol:         _ZN2at6native12_GLOBAL__N_125multi_tensor_apply_kernelINS1_18TensorListMetadataILi2EEENS1_21BinaryOpScalarFunctorIN3c107complexIfEELi2ELi1ELi1EEEJNS1_13power_functorIS8_EES8_EEEvT_T0_DpT1_.kd
    .uniform_work_group_size: 1
    .uses_dynamic_stack: false
    .vgpr_count:     40
    .vgpr_spill_count: 0
    .wavefront_size: 32
    .workgroup_processor_mode: 1
  - .args:
      - .offset:         0
        .size:           3144
        .value_kind:     by_value
      - .offset:         3144
        .size:           1
        .value_kind:     by_value
      - .offset:         3145
        .size:           1
        .value_kind:     by_value
      - .offset:         3148
        .size:           4
        .value_kind:     by_value
      - .offset:         3152
        .size:           4
        .value_kind:     hidden_block_count_x
      - .offset:         3156
        .size:           4
        .value_kind:     hidden_block_count_y
      - .offset:         3160
        .size:           4
        .value_kind:     hidden_block_count_z
      - .offset:         3164
        .size:           2
        .value_kind:     hidden_group_size_x
      - .offset:         3166
        .size:           2
        .value_kind:     hidden_group_size_y
      - .offset:         3168
        .size:           2
        .value_kind:     hidden_group_size_z
      - .offset:         3170
        .size:           2
        .value_kind:     hidden_remainder_x
      - .offset:         3172
        .size:           2
        .value_kind:     hidden_remainder_y
      - .offset:         3174
        .size:           2
        .value_kind:     hidden_remainder_z
      - .offset:         3192
        .size:           8
        .value_kind:     hidden_global_offset_x
      - .offset:         3200
        .size:           8
        .value_kind:     hidden_global_offset_y
      - .offset:         3208
        .size:           8
        .value_kind:     hidden_global_offset_z
      - .offset:         3216
        .size:           2
        .value_kind:     hidden_grid_dims
    .group_segment_fixed_size: 0
    .kernarg_segment_align: 8
    .kernarg_segment_size: 3408
    .language:       OpenCL C
    .language_version:
      - 2
      - 0
    .max_flat_workgroup_size: 512
    .name:           _ZN2at6native12_GLOBAL__N_125multi_tensor_apply_kernelINS1_18TensorListMetadataILi2EEENS1_21BinaryOpScalarFunctorIN3c104HalfELi2ELi1ELi1EEEJNS1_13power_functorIfEEfEEEvT_T0_DpT1_
    .private_segment_fixed_size: 0
    .sgpr_count:     41
    .sgpr_spill_count: 0
    .symbol:         _ZN2at6native12_GLOBAL__N_125multi_tensor_apply_kernelINS1_18TensorListMetadataILi2EEENS1_21BinaryOpScalarFunctorIN3c104HalfELi2ELi1ELi1EEEJNS1_13power_functorIfEEfEEEvT_T0_DpT1_.kd
    .uniform_work_group_size: 1
    .uses_dynamic_stack: false
    .vgpr_count:     68
    .vgpr_spill_count: 0
    .wavefront_size: 32
    .workgroup_processor_mode: 1
  - .args:
      - .offset:         0
        .size:           3144
        .value_kind:     by_value
      - .offset:         3144
        .size:           1
        .value_kind:     by_value
      - .offset:         3145
        .size:           1
        .value_kind:     by_value
      - .offset:         3148
        .size:           4
        .value_kind:     by_value
      - .offset:         3152
        .size:           4
        .value_kind:     hidden_block_count_x
      - .offset:         3156
        .size:           4
        .value_kind:     hidden_block_count_y
      - .offset:         3160
        .size:           4
        .value_kind:     hidden_block_count_z
      - .offset:         3164
        .size:           2
        .value_kind:     hidden_group_size_x
      - .offset:         3166
        .size:           2
        .value_kind:     hidden_group_size_y
      - .offset:         3168
        .size:           2
        .value_kind:     hidden_group_size_z
      - .offset:         3170
        .size:           2
        .value_kind:     hidden_remainder_x
      - .offset:         3172
        .size:           2
        .value_kind:     hidden_remainder_y
      - .offset:         3174
        .size:           2
        .value_kind:     hidden_remainder_z
      - .offset:         3192
        .size:           8
        .value_kind:     hidden_global_offset_x
      - .offset:         3200
        .size:           8
        .value_kind:     hidden_global_offset_y
      - .offset:         3208
        .size:           8
        .value_kind:     hidden_global_offset_z
      - .offset:         3216
        .size:           2
        .value_kind:     hidden_grid_dims
    .group_segment_fixed_size: 0
    .kernarg_segment_align: 8
    .kernarg_segment_size: 3408
    .language:       OpenCL C
    .language_version:
      - 2
      - 0
    .max_flat_workgroup_size: 512
    .name:           _ZN2at6native12_GLOBAL__N_125multi_tensor_apply_kernelINS1_18TensorListMetadataILi2EEENS1_21BinaryOpScalarFunctorIN3c108BFloat16ELi2ELi1ELi1EEEJNS1_13power_functorIfEEfEEEvT_T0_DpT1_
    .private_segment_fixed_size: 0
    .sgpr_count:     39
    .sgpr_spill_count: 0
    .symbol:         _ZN2at6native12_GLOBAL__N_125multi_tensor_apply_kernelINS1_18TensorListMetadataILi2EEENS1_21BinaryOpScalarFunctorIN3c108BFloat16ELi2ELi1ELi1EEEJNS1_13power_functorIfEEfEEEvT_T0_DpT1_.kd
    .uniform_work_group_size: 1
    .uses_dynamic_stack: false
    .vgpr_count:     72
    .vgpr_spill_count: 0
    .wavefront_size: 32
    .workgroup_processor_mode: 1
  - .args:
      - .offset:         0
        .size:           3144
        .value_kind:     by_value
      - .offset:         3144
        .size:           1
        .value_kind:     by_value
      - .offset:         3145
        .size:           1
        .value_kind:     by_value
      - .offset:         3146
        .size:           1
        .value_kind:     by_value
      - .offset:         3152
        .size:           4
        .value_kind:     hidden_block_count_x
      - .offset:         3156
        .size:           4
        .value_kind:     hidden_block_count_y
      - .offset:         3160
        .size:           4
        .value_kind:     hidden_block_count_z
      - .offset:         3164
        .size:           2
        .value_kind:     hidden_group_size_x
      - .offset:         3166
        .size:           2
        .value_kind:     hidden_group_size_y
      - .offset:         3168
        .size:           2
        .value_kind:     hidden_group_size_z
      - .offset:         3170
        .size:           2
        .value_kind:     hidden_remainder_x
      - .offset:         3172
        .size:           2
        .value_kind:     hidden_remainder_y
      - .offset:         3174
        .size:           2
        .value_kind:     hidden_remainder_z
      - .offset:         3192
        .size:           8
        .value_kind:     hidden_global_offset_x
      - .offset:         3200
        .size:           8
        .value_kind:     hidden_global_offset_y
      - .offset:         3208
        .size:           8
        .value_kind:     hidden_global_offset_z
      - .offset:         3216
        .size:           2
        .value_kind:     hidden_grid_dims
    .group_segment_fixed_size: 0
    .kernarg_segment_align: 8
    .kernarg_segment_size: 3408
    .language:       OpenCL C
    .language_version:
      - 2
      - 0
    .max_flat_workgroup_size: 512
    .name:           _ZN2at6native12_GLOBAL__N_125multi_tensor_apply_kernelINS1_18TensorListMetadataILi2EEENS1_21BinaryOpScalarFunctorIhLi2ELi1ELi1EEEJNS1_21reverse_power_functorIhEEhEEEvT_T0_DpT1_
    .private_segment_fixed_size: 0
    .sgpr_count:     29
    .sgpr_spill_count: 0
    .symbol:         _ZN2at6native12_GLOBAL__N_125multi_tensor_apply_kernelINS1_18TensorListMetadataILi2EEENS1_21BinaryOpScalarFunctorIhLi2ELi1ELi1EEEJNS1_21reverse_power_functorIhEEhEEEvT_T0_DpT1_.kd
    .uniform_work_group_size: 1
    .uses_dynamic_stack: false
    .vgpr_count:     15
    .vgpr_spill_count: 0
    .wavefront_size: 32
    .workgroup_processor_mode: 1
  - .args:
      - .offset:         0
        .size:           3144
        .value_kind:     by_value
      - .offset:         3144
        .size:           1
        .value_kind:     by_value
      - .offset:         3145
        .size:           1
        .value_kind:     by_value
      - .offset:         3146
        .size:           1
        .value_kind:     by_value
      - .offset:         3152
        .size:           4
        .value_kind:     hidden_block_count_x
      - .offset:         3156
        .size:           4
        .value_kind:     hidden_block_count_y
      - .offset:         3160
        .size:           4
        .value_kind:     hidden_block_count_z
      - .offset:         3164
        .size:           2
        .value_kind:     hidden_group_size_x
      - .offset:         3166
        .size:           2
        .value_kind:     hidden_group_size_y
      - .offset:         3168
        .size:           2
        .value_kind:     hidden_group_size_z
      - .offset:         3170
        .size:           2
        .value_kind:     hidden_remainder_x
      - .offset:         3172
        .size:           2
        .value_kind:     hidden_remainder_y
      - .offset:         3174
        .size:           2
        .value_kind:     hidden_remainder_z
      - .offset:         3192
        .size:           8
        .value_kind:     hidden_global_offset_x
      - .offset:         3200
        .size:           8
        .value_kind:     hidden_global_offset_y
      - .offset:         3208
        .size:           8
        .value_kind:     hidden_global_offset_z
      - .offset:         3216
        .size:           2
        .value_kind:     hidden_grid_dims
    .group_segment_fixed_size: 0
    .kernarg_segment_align: 8
    .kernarg_segment_size: 3408
    .language:       OpenCL C
    .language_version:
      - 2
      - 0
    .max_flat_workgroup_size: 512
    .name:           _ZN2at6native12_GLOBAL__N_125multi_tensor_apply_kernelINS1_18TensorListMetadataILi2EEENS1_21BinaryOpScalarFunctorIaLi2ELi1ELi1EEEJNS1_21reverse_power_functorIaEEaEEEvT_T0_DpT1_
    .private_segment_fixed_size: 0
    .sgpr_count:     32
    .sgpr_spill_count: 0
    .symbol:         _ZN2at6native12_GLOBAL__N_125multi_tensor_apply_kernelINS1_18TensorListMetadataILi2EEENS1_21BinaryOpScalarFunctorIaLi2ELi1ELi1EEEJNS1_21reverse_power_functorIaEEaEEEvT_T0_DpT1_.kd
    .uniform_work_group_size: 1
    .uses_dynamic_stack: false
    .vgpr_count:     16
    .vgpr_spill_count: 0
    .wavefront_size: 32
    .workgroup_processor_mode: 1
  - .args:
      - .offset:         0
        .size:           3144
        .value_kind:     by_value
      - .offset:         3144
        .size:           1
        .value_kind:     by_value
      - .offset:         3145
        .size:           1
        .value_kind:     by_value
      - .offset:         3148
        .size:           4
        .value_kind:     by_value
      - .offset:         3152
        .size:           4
        .value_kind:     hidden_block_count_x
      - .offset:         3156
        .size:           4
        .value_kind:     hidden_block_count_y
      - .offset:         3160
        .size:           4
        .value_kind:     hidden_block_count_z
      - .offset:         3164
        .size:           2
        .value_kind:     hidden_group_size_x
      - .offset:         3166
        .size:           2
        .value_kind:     hidden_group_size_y
      - .offset:         3168
        .size:           2
        .value_kind:     hidden_group_size_z
      - .offset:         3170
        .size:           2
        .value_kind:     hidden_remainder_x
      - .offset:         3172
        .size:           2
        .value_kind:     hidden_remainder_y
      - .offset:         3174
        .size:           2
        .value_kind:     hidden_remainder_z
      - .offset:         3192
        .size:           8
        .value_kind:     hidden_global_offset_x
      - .offset:         3200
        .size:           8
        .value_kind:     hidden_global_offset_y
      - .offset:         3208
        .size:           8
        .value_kind:     hidden_global_offset_z
      - .offset:         3216
        .size:           2
        .value_kind:     hidden_grid_dims
    .group_segment_fixed_size: 0
    .kernarg_segment_align: 8
    .kernarg_segment_size: 3408
    .language:       OpenCL C
    .language_version:
      - 2
      - 0
    .max_flat_workgroup_size: 512
    .name:           _ZN2at6native12_GLOBAL__N_125multi_tensor_apply_kernelINS1_18TensorListMetadataILi2EEENS1_21BinaryOpScalarFunctorIiLi2ELi1ELi1EEEJNS1_21reverse_power_functorIiEEiEEEvT_T0_DpT1_
    .private_segment_fixed_size: 0
    .sgpr_count:     30
    .sgpr_spill_count: 0
    .symbol:         _ZN2at6native12_GLOBAL__N_125multi_tensor_apply_kernelINS1_18TensorListMetadataILi2EEENS1_21BinaryOpScalarFunctorIiLi2ELi1ELi1EEEJNS1_21reverse_power_functorIiEEiEEEvT_T0_DpT1_.kd
    .uniform_work_group_size: 1
    .uses_dynamic_stack: false
    .vgpr_count:     16
    .vgpr_spill_count: 0
    .wavefront_size: 32
    .workgroup_processor_mode: 1
  - .args:
      - .offset:         0
        .size:           3144
        .value_kind:     by_value
      - .offset:         3144
        .size:           1
        .value_kind:     by_value
      - .offset:         3145
        .size:           1
        .value_kind:     by_value
      - .offset:         3152
        .size:           8
        .value_kind:     by_value
      - .offset:         3160
        .size:           4
        .value_kind:     hidden_block_count_x
      - .offset:         3164
        .size:           4
        .value_kind:     hidden_block_count_y
      - .offset:         3168
        .size:           4
        .value_kind:     hidden_block_count_z
      - .offset:         3172
        .size:           2
        .value_kind:     hidden_group_size_x
      - .offset:         3174
        .size:           2
        .value_kind:     hidden_group_size_y
      - .offset:         3176
        .size:           2
        .value_kind:     hidden_group_size_z
      - .offset:         3178
        .size:           2
        .value_kind:     hidden_remainder_x
      - .offset:         3180
        .size:           2
        .value_kind:     hidden_remainder_y
      - .offset:         3182
        .size:           2
        .value_kind:     hidden_remainder_z
      - .offset:         3200
        .size:           8
        .value_kind:     hidden_global_offset_x
      - .offset:         3208
        .size:           8
        .value_kind:     hidden_global_offset_y
      - .offset:         3216
        .size:           8
        .value_kind:     hidden_global_offset_z
      - .offset:         3224
        .size:           2
        .value_kind:     hidden_grid_dims
    .group_segment_fixed_size: 0
    .kernarg_segment_align: 8
    .kernarg_segment_size: 3416
    .language:       OpenCL C
    .language_version:
      - 2
      - 0
    .max_flat_workgroup_size: 512
    .name:           _ZN2at6native12_GLOBAL__N_125multi_tensor_apply_kernelINS1_18TensorListMetadataILi2EEENS1_21BinaryOpScalarFunctorIlLi2ELi1ELi1EEEJNS1_21reverse_power_functorIlEElEEEvT_T0_DpT1_
    .private_segment_fixed_size: 0
    .sgpr_count:     32
    .sgpr_spill_count: 0
    .symbol:         _ZN2at6native12_GLOBAL__N_125multi_tensor_apply_kernelINS1_18TensorListMetadataILi2EEENS1_21BinaryOpScalarFunctorIlLi2ELi1ELi1EEEJNS1_21reverse_power_functorIlEElEEEvT_T0_DpT1_.kd
    .uniform_work_group_size: 1
    .uses_dynamic_stack: false
    .vgpr_count:     25
    .vgpr_spill_count: 0
    .wavefront_size: 32
    .workgroup_processor_mode: 1
  - .args:
      - .offset:         0
        .size:           3144
        .value_kind:     by_value
      - .offset:         3144
        .size:           1
        .value_kind:     by_value
      - .offset:         3145
        .size:           1
        .value_kind:     by_value
      - .offset:         3146
        .size:           2
        .value_kind:     by_value
      - .offset:         3152
        .size:           4
        .value_kind:     hidden_block_count_x
      - .offset:         3156
        .size:           4
        .value_kind:     hidden_block_count_y
      - .offset:         3160
        .size:           4
        .value_kind:     hidden_block_count_z
      - .offset:         3164
        .size:           2
        .value_kind:     hidden_group_size_x
      - .offset:         3166
        .size:           2
        .value_kind:     hidden_group_size_y
      - .offset:         3168
        .size:           2
        .value_kind:     hidden_group_size_z
      - .offset:         3170
        .size:           2
        .value_kind:     hidden_remainder_x
      - .offset:         3172
        .size:           2
        .value_kind:     hidden_remainder_y
      - .offset:         3174
        .size:           2
        .value_kind:     hidden_remainder_z
      - .offset:         3192
        .size:           8
        .value_kind:     hidden_global_offset_x
      - .offset:         3200
        .size:           8
        .value_kind:     hidden_global_offset_y
      - .offset:         3208
        .size:           8
        .value_kind:     hidden_global_offset_z
      - .offset:         3216
        .size:           2
        .value_kind:     hidden_grid_dims
    .group_segment_fixed_size: 0
    .kernarg_segment_align: 8
    .kernarg_segment_size: 3408
    .language:       OpenCL C
    .language_version:
      - 2
      - 0
    .max_flat_workgroup_size: 512
    .name:           _ZN2at6native12_GLOBAL__N_125multi_tensor_apply_kernelINS1_18TensorListMetadataILi2EEENS1_21BinaryOpScalarFunctorIsLi2ELi1ELi1EEEJNS1_21reverse_power_functorIsEEsEEEvT_T0_DpT1_
    .private_segment_fixed_size: 0
    .sgpr_count:     33
    .sgpr_spill_count: 0
    .symbol:         _ZN2at6native12_GLOBAL__N_125multi_tensor_apply_kernelINS1_18TensorListMetadataILi2EEENS1_21BinaryOpScalarFunctorIsLi2ELi1ELi1EEEJNS1_21reverse_power_functorIsEEsEEEvT_T0_DpT1_.kd
    .uniform_work_group_size: 1
    .uses_dynamic_stack: false
    .vgpr_count:     16
    .vgpr_spill_count: 0
    .wavefront_size: 32
    .workgroup_processor_mode: 1
  - .args:
      - .offset:         0
        .size:           3144
        .value_kind:     by_value
      - .offset:         3144
        .size:           1
        .value_kind:     by_value
      - .offset:         3145
        .size:           1
        .value_kind:     by_value
      - .offset:         3152
        .size:           8
        .value_kind:     by_value
      - .offset:         3160
        .size:           4
        .value_kind:     hidden_block_count_x
      - .offset:         3164
        .size:           4
        .value_kind:     hidden_block_count_y
      - .offset:         3168
        .size:           4
        .value_kind:     hidden_block_count_z
      - .offset:         3172
        .size:           2
        .value_kind:     hidden_group_size_x
      - .offset:         3174
        .size:           2
        .value_kind:     hidden_group_size_y
      - .offset:         3176
        .size:           2
        .value_kind:     hidden_group_size_z
      - .offset:         3178
        .size:           2
        .value_kind:     hidden_remainder_x
      - .offset:         3180
        .size:           2
        .value_kind:     hidden_remainder_y
      - .offset:         3182
        .size:           2
        .value_kind:     hidden_remainder_z
      - .offset:         3200
        .size:           8
        .value_kind:     hidden_global_offset_x
      - .offset:         3208
        .size:           8
        .value_kind:     hidden_global_offset_y
      - .offset:         3216
        .size:           8
        .value_kind:     hidden_global_offset_z
      - .offset:         3224
        .size:           2
        .value_kind:     hidden_grid_dims
    .group_segment_fixed_size: 0
    .kernarg_segment_align: 8
    .kernarg_segment_size: 3416
    .language:       OpenCL C
    .language_version:
      - 2
      - 0
    .max_flat_workgroup_size: 512
    .name:           _ZN2at6native12_GLOBAL__N_125multi_tensor_apply_kernelINS1_18TensorListMetadataILi2EEENS1_21BinaryOpScalarFunctorIdLi2ELi1ELi1EEEJNS1_21reverse_power_functorIdEEdEEEvT_T0_DpT1_
    .private_segment_fixed_size: 0
    .sgpr_count:     103
    .sgpr_spill_count: 0
    .symbol:         _ZN2at6native12_GLOBAL__N_125multi_tensor_apply_kernelINS1_18TensorListMetadataILi2EEENS1_21BinaryOpScalarFunctorIdLi2ELi1ELi1EEEJNS1_21reverse_power_functorIdEEdEEEvT_T0_DpT1_.kd
    .uniform_work_group_size: 1
    .uses_dynamic_stack: false
    .vgpr_count:     95
    .vgpr_spill_count: 0
    .wavefront_size: 32
    .workgroup_processor_mode: 1
  - .args:
      - .offset:         0
        .size:           3144
        .value_kind:     by_value
      - .offset:         3144
        .size:           1
        .value_kind:     by_value
      - .offset:         3145
        .size:           1
        .value_kind:     by_value
      - .offset:         3148
        .size:           4
        .value_kind:     by_value
      - .offset:         3152
        .size:           4
        .value_kind:     hidden_block_count_x
      - .offset:         3156
        .size:           4
        .value_kind:     hidden_block_count_y
      - .offset:         3160
        .size:           4
        .value_kind:     hidden_block_count_z
      - .offset:         3164
        .size:           2
        .value_kind:     hidden_group_size_x
      - .offset:         3166
        .size:           2
        .value_kind:     hidden_group_size_y
      - .offset:         3168
        .size:           2
        .value_kind:     hidden_group_size_z
      - .offset:         3170
        .size:           2
        .value_kind:     hidden_remainder_x
      - .offset:         3172
        .size:           2
        .value_kind:     hidden_remainder_y
      - .offset:         3174
        .size:           2
        .value_kind:     hidden_remainder_z
      - .offset:         3192
        .size:           8
        .value_kind:     hidden_global_offset_x
      - .offset:         3200
        .size:           8
        .value_kind:     hidden_global_offset_y
      - .offset:         3208
        .size:           8
        .value_kind:     hidden_global_offset_z
      - .offset:         3216
        .size:           2
        .value_kind:     hidden_grid_dims
    .group_segment_fixed_size: 0
    .kernarg_segment_align: 8
    .kernarg_segment_size: 3408
    .language:       OpenCL C
    .language_version:
      - 2
      - 0
    .max_flat_workgroup_size: 512
    .name:           _ZN2at6native12_GLOBAL__N_125multi_tensor_apply_kernelINS1_18TensorListMetadataILi2EEENS1_21BinaryOpScalarFunctorIfLi2ELi1ELi1EEEJNS1_21reverse_power_functorIfEEfEEEvT_T0_DpT1_
    .private_segment_fixed_size: 0
    .sgpr_count:     42
    .sgpr_spill_count: 0
    .symbol:         _ZN2at6native12_GLOBAL__N_125multi_tensor_apply_kernelINS1_18TensorListMetadataILi2EEENS1_21BinaryOpScalarFunctorIfLi2ELi1ELi1EEEJNS1_21reverse_power_functorIfEEfEEEvT_T0_DpT1_.kd
    .uniform_work_group_size: 1
    .uses_dynamic_stack: false
    .vgpr_count:     70
    .vgpr_spill_count: 0
    .wavefront_size: 32
    .workgroup_processor_mode: 1
  - .args:
      - .offset:         0
        .size:           3144
        .value_kind:     by_value
      - .offset:         3144
        .size:           1
        .value_kind:     by_value
      - .offset:         3145
        .size:           1
        .value_kind:     by_value
      - .offset:         3152
        .size:           16
        .value_kind:     by_value
      - .offset:         3168
        .size:           4
        .value_kind:     hidden_block_count_x
      - .offset:         3172
        .size:           4
        .value_kind:     hidden_block_count_y
      - .offset:         3176
        .size:           4
        .value_kind:     hidden_block_count_z
      - .offset:         3180
        .size:           2
        .value_kind:     hidden_group_size_x
      - .offset:         3182
        .size:           2
        .value_kind:     hidden_group_size_y
      - .offset:         3184
        .size:           2
        .value_kind:     hidden_group_size_z
      - .offset:         3186
        .size:           2
        .value_kind:     hidden_remainder_x
      - .offset:         3188
        .size:           2
        .value_kind:     hidden_remainder_y
      - .offset:         3190
        .size:           2
        .value_kind:     hidden_remainder_z
      - .offset:         3208
        .size:           8
        .value_kind:     hidden_global_offset_x
      - .offset:         3216
        .size:           8
        .value_kind:     hidden_global_offset_y
      - .offset:         3224
        .size:           8
        .value_kind:     hidden_global_offset_z
      - .offset:         3232
        .size:           2
        .value_kind:     hidden_grid_dims
    .group_segment_fixed_size: 0
    .kernarg_segment_align: 16
    .kernarg_segment_size: 3424
    .language:       OpenCL C
    .language_version:
      - 2
      - 0
    .max_flat_workgroup_size: 512
    .name:           _ZN2at6native12_GLOBAL__N_125multi_tensor_apply_kernelINS1_18TensorListMetadataILi2EEENS1_21BinaryOpScalarFunctorIN3c107complexIdEELi2ELi1ELi1EEEJNS1_21reverse_power_functorIS8_EES8_EEEvT_T0_DpT1_
    .private_segment_fixed_size: 0
    .sgpr_count:     50
    .sgpr_spill_count: 0
    .symbol:         _ZN2at6native12_GLOBAL__N_125multi_tensor_apply_kernelINS1_18TensorListMetadataILi2EEENS1_21BinaryOpScalarFunctorIN3c107complexIdEELi2ELi1ELi1EEEJNS1_21reverse_power_functorIS8_EES8_EEEvT_T0_DpT1_.kd
    .uniform_work_group_size: 1
    .uses_dynamic_stack: false
    .vgpr_count:     74
    .vgpr_spill_count: 0
    .wavefront_size: 32
    .workgroup_processor_mode: 1
  - .args:
      - .offset:         0
        .size:           3144
        .value_kind:     by_value
      - .offset:         3144
        .size:           1
        .value_kind:     by_value
      - .offset:         3145
        .size:           1
        .value_kind:     by_value
      - .offset:         3152
        .size:           8
        .value_kind:     by_value
      - .offset:         3160
        .size:           4
        .value_kind:     hidden_block_count_x
      - .offset:         3164
        .size:           4
        .value_kind:     hidden_block_count_y
      - .offset:         3168
        .size:           4
        .value_kind:     hidden_block_count_z
      - .offset:         3172
        .size:           2
        .value_kind:     hidden_group_size_x
      - .offset:         3174
        .size:           2
        .value_kind:     hidden_group_size_y
      - .offset:         3176
        .size:           2
        .value_kind:     hidden_group_size_z
      - .offset:         3178
        .size:           2
        .value_kind:     hidden_remainder_x
      - .offset:         3180
        .size:           2
        .value_kind:     hidden_remainder_y
      - .offset:         3182
        .size:           2
        .value_kind:     hidden_remainder_z
      - .offset:         3200
        .size:           8
        .value_kind:     hidden_global_offset_x
      - .offset:         3208
        .size:           8
        .value_kind:     hidden_global_offset_y
      - .offset:         3216
        .size:           8
        .value_kind:     hidden_global_offset_z
      - .offset:         3224
        .size:           2
        .value_kind:     hidden_grid_dims
    .group_segment_fixed_size: 0
    .kernarg_segment_align: 8
    .kernarg_segment_size: 3416
    .language:       OpenCL C
    .language_version:
      - 2
      - 0
    .max_flat_workgroup_size: 512
    .name:           _ZN2at6native12_GLOBAL__N_125multi_tensor_apply_kernelINS1_18TensorListMetadataILi2EEENS1_21BinaryOpScalarFunctorIN3c107complexIfEELi2ELi1ELi1EEEJNS1_21reverse_power_functorIS8_EES8_EEEvT_T0_DpT1_
    .private_segment_fixed_size: 16
    .sgpr_count:     50
    .sgpr_spill_count: 0
    .symbol:         _ZN2at6native12_GLOBAL__N_125multi_tensor_apply_kernelINS1_18TensorListMetadataILi2EEENS1_21BinaryOpScalarFunctorIN3c107complexIfEELi2ELi1ELi1EEEJNS1_21reverse_power_functorIS8_EES8_EEEvT_T0_DpT1_.kd
    .uniform_work_group_size: 1
    .uses_dynamic_stack: false
    .vgpr_count:     40
    .vgpr_spill_count: 0
    .wavefront_size: 32
    .workgroup_processor_mode: 1
  - .args:
      - .offset:         0
        .size:           3144
        .value_kind:     by_value
      - .offset:         3144
        .size:           1
        .value_kind:     by_value
      - .offset:         3145
        .size:           1
        .value_kind:     by_value
      - .offset:         3148
        .size:           4
        .value_kind:     by_value
      - .offset:         3152
        .size:           4
        .value_kind:     hidden_block_count_x
      - .offset:         3156
        .size:           4
        .value_kind:     hidden_block_count_y
      - .offset:         3160
        .size:           4
        .value_kind:     hidden_block_count_z
      - .offset:         3164
        .size:           2
        .value_kind:     hidden_group_size_x
      - .offset:         3166
        .size:           2
        .value_kind:     hidden_group_size_y
      - .offset:         3168
        .size:           2
        .value_kind:     hidden_group_size_z
      - .offset:         3170
        .size:           2
        .value_kind:     hidden_remainder_x
      - .offset:         3172
        .size:           2
        .value_kind:     hidden_remainder_y
      - .offset:         3174
        .size:           2
        .value_kind:     hidden_remainder_z
      - .offset:         3192
        .size:           8
        .value_kind:     hidden_global_offset_x
      - .offset:         3200
        .size:           8
        .value_kind:     hidden_global_offset_y
      - .offset:         3208
        .size:           8
        .value_kind:     hidden_global_offset_z
      - .offset:         3216
        .size:           2
        .value_kind:     hidden_grid_dims
    .group_segment_fixed_size: 0
    .kernarg_segment_align: 8
    .kernarg_segment_size: 3408
    .language:       OpenCL C
    .language_version:
      - 2
      - 0
    .max_flat_workgroup_size: 512
    .name:           _ZN2at6native12_GLOBAL__N_125multi_tensor_apply_kernelINS1_18TensorListMetadataILi2EEENS1_21BinaryOpScalarFunctorIN3c104HalfELi2ELi1ELi1EEEJNS1_21reverse_power_functorIfEEfEEEvT_T0_DpT1_
    .private_segment_fixed_size: 0
    .sgpr_count:     42
    .sgpr_spill_count: 0
    .symbol:         _ZN2at6native12_GLOBAL__N_125multi_tensor_apply_kernelINS1_18TensorListMetadataILi2EEENS1_21BinaryOpScalarFunctorIN3c104HalfELi2ELi1ELi1EEEJNS1_21reverse_power_functorIfEEfEEEvT_T0_DpT1_.kd
    .uniform_work_group_size: 1
    .uses_dynamic_stack: false
    .vgpr_count:     68
    .vgpr_spill_count: 0
    .wavefront_size: 32
    .workgroup_processor_mode: 1
  - .args:
      - .offset:         0
        .size:           3144
        .value_kind:     by_value
      - .offset:         3144
        .size:           1
        .value_kind:     by_value
      - .offset:         3145
        .size:           1
        .value_kind:     by_value
      - .offset:         3148
        .size:           4
        .value_kind:     by_value
      - .offset:         3152
        .size:           4
        .value_kind:     hidden_block_count_x
      - .offset:         3156
        .size:           4
        .value_kind:     hidden_block_count_y
      - .offset:         3160
        .size:           4
        .value_kind:     hidden_block_count_z
      - .offset:         3164
        .size:           2
        .value_kind:     hidden_group_size_x
      - .offset:         3166
        .size:           2
        .value_kind:     hidden_group_size_y
      - .offset:         3168
        .size:           2
        .value_kind:     hidden_group_size_z
      - .offset:         3170
        .size:           2
        .value_kind:     hidden_remainder_x
      - .offset:         3172
        .size:           2
        .value_kind:     hidden_remainder_y
      - .offset:         3174
        .size:           2
        .value_kind:     hidden_remainder_z
      - .offset:         3192
        .size:           8
        .value_kind:     hidden_global_offset_x
      - .offset:         3200
        .size:           8
        .value_kind:     hidden_global_offset_y
      - .offset:         3208
        .size:           8
        .value_kind:     hidden_global_offset_z
      - .offset:         3216
        .size:           2
        .value_kind:     hidden_grid_dims
    .group_segment_fixed_size: 0
    .kernarg_segment_align: 8
    .kernarg_segment_size: 3408
    .language:       OpenCL C
    .language_version:
      - 2
      - 0
    .max_flat_workgroup_size: 512
    .name:           _ZN2at6native12_GLOBAL__N_125multi_tensor_apply_kernelINS1_18TensorListMetadataILi2EEENS1_21BinaryOpScalarFunctorIN3c108BFloat16ELi2ELi1ELi1EEEJNS1_21reverse_power_functorIfEEfEEEvT_T0_DpT1_
    .private_segment_fixed_size: 0
    .sgpr_count:     40
    .sgpr_spill_count: 0
    .symbol:         _ZN2at6native12_GLOBAL__N_125multi_tensor_apply_kernelINS1_18TensorListMetadataILi2EEENS1_21BinaryOpScalarFunctorIN3c108BFloat16ELi2ELi1ELi1EEEJNS1_21reverse_power_functorIfEEfEEEvT_T0_DpT1_.kd
    .uniform_work_group_size: 1
    .uses_dynamic_stack: false
    .vgpr_count:     72
    .vgpr_spill_count: 0
    .wavefront_size: 32
    .workgroup_processor_mode: 1
  - .args:
      - .offset:         0
        .size:           3368
        .value_kind:     by_value
      - .offset:         3368
        .size:           1
        .value_kind:     by_value
      - .offset:         3369
        .size:           1
        .value_kind:     by_value
      - .offset:         3370
        .size:           1
        .value_kind:     by_value
      - .offset:         3376
        .size:           4
        .value_kind:     hidden_block_count_x
      - .offset:         3380
        .size:           4
        .value_kind:     hidden_block_count_y
      - .offset:         3384
        .size:           4
        .value_kind:     hidden_block_count_z
      - .offset:         3388
        .size:           2
        .value_kind:     hidden_group_size_x
      - .offset:         3390
        .size:           2
        .value_kind:     hidden_group_size_y
      - .offset:         3392
        .size:           2
        .value_kind:     hidden_group_size_z
      - .offset:         3394
        .size:           2
        .value_kind:     hidden_remainder_x
      - .offset:         3396
        .size:           2
        .value_kind:     hidden_remainder_y
      - .offset:         3398
        .size:           2
        .value_kind:     hidden_remainder_z
      - .offset:         3416
        .size:           8
        .value_kind:     hidden_global_offset_x
      - .offset:         3424
        .size:           8
        .value_kind:     hidden_global_offset_y
      - .offset:         3432
        .size:           8
        .value_kind:     hidden_global_offset_z
      - .offset:         3440
        .size:           2
        .value_kind:     hidden_grid_dims
    .group_segment_fixed_size: 0
    .kernarg_segment_align: 8
    .kernarg_segment_size: 3632
    .language:       OpenCL C
    .language_version:
      - 2
      - 0
    .max_flat_workgroup_size: 512
    .name:           _ZN2at6native12_GLOBAL__N_125multi_tensor_apply_kernelINS1_18TensorListMetadataILi1EEENS1_21BinaryOpScalarFunctorIhLi1ELi1ELi0EEEJSt5minusIhEhEEEvT_T0_DpT1_
    .private_segment_fixed_size: 0
    .sgpr_count:     26
    .sgpr_spill_count: 0
    .symbol:         _ZN2at6native12_GLOBAL__N_125multi_tensor_apply_kernelINS1_18TensorListMetadataILi1EEENS1_21BinaryOpScalarFunctorIhLi1ELi1ELi0EEEJSt5minusIhEhEEEvT_T0_DpT1_.kd
    .uniform_work_group_size: 1
    .uses_dynamic_stack: false
    .vgpr_count:     21
    .vgpr_spill_count: 0
    .wavefront_size: 32
    .workgroup_processor_mode: 1
  - .args:
      - .offset:         0
        .size:           3368
        .value_kind:     by_value
      - .offset:         3368
        .size:           1
        .value_kind:     by_value
      - .offset:         3369
        .size:           1
        .value_kind:     by_value
      - .offset:         3370
        .size:           1
        .value_kind:     by_value
      - .offset:         3376
        .size:           4
        .value_kind:     hidden_block_count_x
      - .offset:         3380
        .size:           4
        .value_kind:     hidden_block_count_y
      - .offset:         3384
        .size:           4
        .value_kind:     hidden_block_count_z
      - .offset:         3388
        .size:           2
        .value_kind:     hidden_group_size_x
      - .offset:         3390
        .size:           2
        .value_kind:     hidden_group_size_y
      - .offset:         3392
        .size:           2
        .value_kind:     hidden_group_size_z
      - .offset:         3394
        .size:           2
        .value_kind:     hidden_remainder_x
      - .offset:         3396
        .size:           2
        .value_kind:     hidden_remainder_y
      - .offset:         3398
        .size:           2
        .value_kind:     hidden_remainder_z
      - .offset:         3416
        .size:           8
        .value_kind:     hidden_global_offset_x
      - .offset:         3424
        .size:           8
        .value_kind:     hidden_global_offset_y
      - .offset:         3432
        .size:           8
        .value_kind:     hidden_global_offset_z
      - .offset:         3440
        .size:           2
        .value_kind:     hidden_grid_dims
    .group_segment_fixed_size: 0
    .kernarg_segment_align: 8
    .kernarg_segment_size: 3632
    .language:       OpenCL C
    .language_version:
      - 2
      - 0
    .max_flat_workgroup_size: 512
    .name:           _ZN2at6native12_GLOBAL__N_125multi_tensor_apply_kernelINS1_18TensorListMetadataILi1EEENS1_21BinaryOpScalarFunctorIaLi1ELi1ELi0EEEJSt5minusIaEaEEEvT_T0_DpT1_
    .private_segment_fixed_size: 0
    .sgpr_count:     26
    .sgpr_spill_count: 0
    .symbol:         _ZN2at6native12_GLOBAL__N_125multi_tensor_apply_kernelINS1_18TensorListMetadataILi1EEENS1_21BinaryOpScalarFunctorIaLi1ELi1ELi0EEEJSt5minusIaEaEEEvT_T0_DpT1_.kd
    .uniform_work_group_size: 1
    .uses_dynamic_stack: false
    .vgpr_count:     21
    .vgpr_spill_count: 0
    .wavefront_size: 32
    .workgroup_processor_mode: 1
  - .args:
      - .offset:         0
        .size:           3368
        .value_kind:     by_value
      - .offset:         3368
        .size:           1
        .value_kind:     by_value
      - .offset:         3369
        .size:           1
        .value_kind:     by_value
      - .offset:         3372
        .size:           4
        .value_kind:     by_value
      - .offset:         3376
        .size:           4
        .value_kind:     hidden_block_count_x
      - .offset:         3380
        .size:           4
        .value_kind:     hidden_block_count_y
      - .offset:         3384
        .size:           4
        .value_kind:     hidden_block_count_z
      - .offset:         3388
        .size:           2
        .value_kind:     hidden_group_size_x
      - .offset:         3390
        .size:           2
        .value_kind:     hidden_group_size_y
      - .offset:         3392
        .size:           2
        .value_kind:     hidden_group_size_z
      - .offset:         3394
        .size:           2
        .value_kind:     hidden_remainder_x
      - .offset:         3396
        .size:           2
        .value_kind:     hidden_remainder_y
      - .offset:         3398
        .size:           2
        .value_kind:     hidden_remainder_z
      - .offset:         3416
        .size:           8
        .value_kind:     hidden_global_offset_x
      - .offset:         3424
        .size:           8
        .value_kind:     hidden_global_offset_y
      - .offset:         3432
        .size:           8
        .value_kind:     hidden_global_offset_z
      - .offset:         3440
        .size:           2
        .value_kind:     hidden_grid_dims
    .group_segment_fixed_size: 0
    .kernarg_segment_align: 8
    .kernarg_segment_size: 3632
    .language:       OpenCL C
    .language_version:
      - 2
      - 0
    .max_flat_workgroup_size: 512
    .name:           _ZN2at6native12_GLOBAL__N_125multi_tensor_apply_kernelINS1_18TensorListMetadataILi1EEENS1_21BinaryOpScalarFunctorIiLi1ELi1ELi0EEEJSt5minusIiEiEEEvT_T0_DpT1_
    .private_segment_fixed_size: 0
    .sgpr_count:     28
    .sgpr_spill_count: 0
    .symbol:         _ZN2at6native12_GLOBAL__N_125multi_tensor_apply_kernelINS1_18TensorListMetadataILi1EEENS1_21BinaryOpScalarFunctorIiLi1ELi1ELi0EEEJSt5minusIiEiEEEvT_T0_DpT1_.kd
    .uniform_work_group_size: 1
    .uses_dynamic_stack: false
    .vgpr_count:     16
    .vgpr_spill_count: 0
    .wavefront_size: 32
    .workgroup_processor_mode: 1
  - .args:
      - .offset:         0
        .size:           3368
        .value_kind:     by_value
      - .offset:         3368
        .size:           1
        .value_kind:     by_value
      - .offset:         3369
        .size:           1
        .value_kind:     by_value
      - .offset:         3376
        .size:           8
        .value_kind:     by_value
      - .offset:         3384
        .size:           4
        .value_kind:     hidden_block_count_x
      - .offset:         3388
        .size:           4
        .value_kind:     hidden_block_count_y
      - .offset:         3392
        .size:           4
        .value_kind:     hidden_block_count_z
      - .offset:         3396
        .size:           2
        .value_kind:     hidden_group_size_x
      - .offset:         3398
        .size:           2
        .value_kind:     hidden_group_size_y
      - .offset:         3400
        .size:           2
        .value_kind:     hidden_group_size_z
      - .offset:         3402
        .size:           2
        .value_kind:     hidden_remainder_x
      - .offset:         3404
        .size:           2
        .value_kind:     hidden_remainder_y
      - .offset:         3406
        .size:           2
        .value_kind:     hidden_remainder_z
      - .offset:         3424
        .size:           8
        .value_kind:     hidden_global_offset_x
      - .offset:         3432
        .size:           8
        .value_kind:     hidden_global_offset_y
      - .offset:         3440
        .size:           8
        .value_kind:     hidden_global_offset_z
      - .offset:         3448
        .size:           2
        .value_kind:     hidden_grid_dims
    .group_segment_fixed_size: 0
    .kernarg_segment_align: 8
    .kernarg_segment_size: 3640
    .language:       OpenCL C
    .language_version:
      - 2
      - 0
    .max_flat_workgroup_size: 512
    .name:           _ZN2at6native12_GLOBAL__N_125multi_tensor_apply_kernelINS1_18TensorListMetadataILi1EEENS1_21BinaryOpScalarFunctorIlLi1ELi1ELi0EEEJSt5minusIlElEEEvT_T0_DpT1_
    .private_segment_fixed_size: 0
    .sgpr_count:     29
    .sgpr_spill_count: 0
    .symbol:         _ZN2at6native12_GLOBAL__N_125multi_tensor_apply_kernelINS1_18TensorListMetadataILi1EEENS1_21BinaryOpScalarFunctorIlLi1ELi1ELi0EEEJSt5minusIlElEEEvT_T0_DpT1_.kd
    .uniform_work_group_size: 1
    .uses_dynamic_stack: false
    .vgpr_count:     21
    .vgpr_spill_count: 0
    .wavefront_size: 32
    .workgroup_processor_mode: 1
  - .args:
      - .offset:         0
        .size:           3368
        .value_kind:     by_value
      - .offset:         3368
        .size:           1
        .value_kind:     by_value
      - .offset:         3369
        .size:           1
        .value_kind:     by_value
      - .offset:         3370
        .size:           2
        .value_kind:     by_value
      - .offset:         3376
        .size:           4
        .value_kind:     hidden_block_count_x
      - .offset:         3380
        .size:           4
        .value_kind:     hidden_block_count_y
      - .offset:         3384
        .size:           4
        .value_kind:     hidden_block_count_z
      - .offset:         3388
        .size:           2
        .value_kind:     hidden_group_size_x
      - .offset:         3390
        .size:           2
        .value_kind:     hidden_group_size_y
      - .offset:         3392
        .size:           2
        .value_kind:     hidden_group_size_z
      - .offset:         3394
        .size:           2
        .value_kind:     hidden_remainder_x
      - .offset:         3396
        .size:           2
        .value_kind:     hidden_remainder_y
      - .offset:         3398
        .size:           2
        .value_kind:     hidden_remainder_z
      - .offset:         3416
        .size:           8
        .value_kind:     hidden_global_offset_x
      - .offset:         3424
        .size:           8
        .value_kind:     hidden_global_offset_y
      - .offset:         3432
        .size:           8
        .value_kind:     hidden_global_offset_z
      - .offset:         3440
        .size:           2
        .value_kind:     hidden_grid_dims
    .group_segment_fixed_size: 0
    .kernarg_segment_align: 8
    .kernarg_segment_size: 3632
    .language:       OpenCL C
    .language_version:
      - 2
      - 0
    .max_flat_workgroup_size: 512
    .name:           _ZN2at6native12_GLOBAL__N_125multi_tensor_apply_kernelINS1_18TensorListMetadataILi1EEENS1_21BinaryOpScalarFunctorIsLi1ELi1ELi0EEEJSt5minusIsEsEEEvT_T0_DpT1_
    .private_segment_fixed_size: 0
    .sgpr_count:     27
    .sgpr_spill_count: 0
    .symbol:         _ZN2at6native12_GLOBAL__N_125multi_tensor_apply_kernelINS1_18TensorListMetadataILi1EEENS1_21BinaryOpScalarFunctorIsLi1ELi1ELi0EEEJSt5minusIsEsEEEvT_T0_DpT1_.kd
    .uniform_work_group_size: 1
    .uses_dynamic_stack: false
    .vgpr_count:     16
    .vgpr_spill_count: 0
    .wavefront_size: 32
    .workgroup_processor_mode: 1
  - .args:
      - .offset:         0
        .size:           3368
        .value_kind:     by_value
      - .offset:         3368
        .size:           1
        .value_kind:     by_value
      - .offset:         3369
        .size:           1
        .value_kind:     by_value
      - .offset:         3376
        .size:           8
        .value_kind:     by_value
      - .offset:         3384
        .size:           4
        .value_kind:     hidden_block_count_x
      - .offset:         3388
        .size:           4
        .value_kind:     hidden_block_count_y
      - .offset:         3392
        .size:           4
        .value_kind:     hidden_block_count_z
      - .offset:         3396
        .size:           2
        .value_kind:     hidden_group_size_x
      - .offset:         3398
        .size:           2
        .value_kind:     hidden_group_size_y
      - .offset:         3400
        .size:           2
        .value_kind:     hidden_group_size_z
      - .offset:         3402
        .size:           2
        .value_kind:     hidden_remainder_x
      - .offset:         3404
        .size:           2
        .value_kind:     hidden_remainder_y
      - .offset:         3406
        .size:           2
        .value_kind:     hidden_remainder_z
      - .offset:         3424
        .size:           8
        .value_kind:     hidden_global_offset_x
      - .offset:         3432
        .size:           8
        .value_kind:     hidden_global_offset_y
      - .offset:         3440
        .size:           8
        .value_kind:     hidden_global_offset_z
      - .offset:         3448
        .size:           2
        .value_kind:     hidden_grid_dims
    .group_segment_fixed_size: 0
    .kernarg_segment_align: 8
    .kernarg_segment_size: 3640
    .language:       OpenCL C
    .language_version:
      - 2
      - 0
    .max_flat_workgroup_size: 512
    .name:           _ZN2at6native12_GLOBAL__N_125multi_tensor_apply_kernelINS1_18TensorListMetadataILi1EEENS1_21BinaryOpScalarFunctorIdLi1ELi1ELi0EEEJSt5minusIdEdEEEvT_T0_DpT1_
    .private_segment_fixed_size: 0
    .sgpr_count:     29
    .sgpr_spill_count: 0
    .symbol:         _ZN2at6native12_GLOBAL__N_125multi_tensor_apply_kernelINS1_18TensorListMetadataILi1EEENS1_21BinaryOpScalarFunctorIdLi1ELi1ELi0EEEJSt5minusIdEdEEEvT_T0_DpT1_.kd
    .uniform_work_group_size: 1
    .uses_dynamic_stack: false
    .vgpr_count:     21
    .vgpr_spill_count: 0
    .wavefront_size: 32
    .workgroup_processor_mode: 1
  - .args:
      - .offset:         0
        .size:           3368
        .value_kind:     by_value
      - .offset:         3368
        .size:           1
        .value_kind:     by_value
      - .offset:         3369
        .size:           1
        .value_kind:     by_value
      - .offset:         3372
        .size:           4
        .value_kind:     by_value
      - .offset:         3376
        .size:           4
        .value_kind:     hidden_block_count_x
      - .offset:         3380
        .size:           4
        .value_kind:     hidden_block_count_y
      - .offset:         3384
        .size:           4
        .value_kind:     hidden_block_count_z
      - .offset:         3388
        .size:           2
        .value_kind:     hidden_group_size_x
      - .offset:         3390
        .size:           2
        .value_kind:     hidden_group_size_y
      - .offset:         3392
        .size:           2
        .value_kind:     hidden_group_size_z
      - .offset:         3394
        .size:           2
        .value_kind:     hidden_remainder_x
      - .offset:         3396
        .size:           2
        .value_kind:     hidden_remainder_y
      - .offset:         3398
        .size:           2
        .value_kind:     hidden_remainder_z
      - .offset:         3416
        .size:           8
        .value_kind:     hidden_global_offset_x
      - .offset:         3424
        .size:           8
        .value_kind:     hidden_global_offset_y
      - .offset:         3432
        .size:           8
        .value_kind:     hidden_global_offset_z
      - .offset:         3440
        .size:           2
        .value_kind:     hidden_grid_dims
    .group_segment_fixed_size: 0
    .kernarg_segment_align: 8
    .kernarg_segment_size: 3632
    .language:       OpenCL C
    .language_version:
      - 2
      - 0
    .max_flat_workgroup_size: 512
    .name:           _ZN2at6native12_GLOBAL__N_125multi_tensor_apply_kernelINS1_18TensorListMetadataILi1EEENS1_21BinaryOpScalarFunctorIfLi1ELi1ELi0EEEJSt5minusIfEfEEEvT_T0_DpT1_
    .private_segment_fixed_size: 0
    .sgpr_count:     28
    .sgpr_spill_count: 0
    .symbol:         _ZN2at6native12_GLOBAL__N_125multi_tensor_apply_kernelINS1_18TensorListMetadataILi1EEENS1_21BinaryOpScalarFunctorIfLi1ELi1ELi0EEEJSt5minusIfEfEEEvT_T0_DpT1_.kd
    .uniform_work_group_size: 1
    .uses_dynamic_stack: false
    .vgpr_count:     16
    .vgpr_spill_count: 0
    .wavefront_size: 32
    .workgroup_processor_mode: 1
  - .args:
      - .offset:         0
        .size:           3368
        .value_kind:     by_value
      - .offset:         3368
        .size:           1
        .value_kind:     by_value
      - .offset:         3369
        .size:           1
        .value_kind:     by_value
      - .offset:         3376
        .size:           16
        .value_kind:     by_value
      - .offset:         3392
        .size:           4
        .value_kind:     hidden_block_count_x
      - .offset:         3396
        .size:           4
        .value_kind:     hidden_block_count_y
      - .offset:         3400
        .size:           4
        .value_kind:     hidden_block_count_z
      - .offset:         3404
        .size:           2
        .value_kind:     hidden_group_size_x
      - .offset:         3406
        .size:           2
        .value_kind:     hidden_group_size_y
      - .offset:         3408
        .size:           2
        .value_kind:     hidden_group_size_z
      - .offset:         3410
        .size:           2
        .value_kind:     hidden_remainder_x
      - .offset:         3412
        .size:           2
        .value_kind:     hidden_remainder_y
      - .offset:         3414
        .size:           2
        .value_kind:     hidden_remainder_z
      - .offset:         3432
        .size:           8
        .value_kind:     hidden_global_offset_x
      - .offset:         3440
        .size:           8
        .value_kind:     hidden_global_offset_y
      - .offset:         3448
        .size:           8
        .value_kind:     hidden_global_offset_z
      - .offset:         3456
        .size:           2
        .value_kind:     hidden_grid_dims
    .group_segment_fixed_size: 0
    .kernarg_segment_align: 16
    .kernarg_segment_size: 3648
    .language:       OpenCL C
    .language_version:
      - 2
      - 0
    .max_flat_workgroup_size: 512
    .name:           _ZN2at6native12_GLOBAL__N_125multi_tensor_apply_kernelINS1_18TensorListMetadataILi1EEENS1_21BinaryOpScalarFunctorIN3c107complexIdEELi1ELi1ELi0EEEJSt5minusIS8_ES8_EEEvT_T0_DpT1_
    .private_segment_fixed_size: 0
    .sgpr_count:     31
    .sgpr_spill_count: 0
    .symbol:         _ZN2at6native12_GLOBAL__N_125multi_tensor_apply_kernelINS1_18TensorListMetadataILi1EEENS1_21BinaryOpScalarFunctorIN3c107complexIdEELi1ELi1ELi0EEEJSt5minusIS8_ES8_EEEvT_T0_DpT1_.kd
    .uniform_work_group_size: 1
    .uses_dynamic_stack: false
    .vgpr_count:     31
    .vgpr_spill_count: 0
    .wavefront_size: 32
    .workgroup_processor_mode: 1
  - .args:
      - .offset:         0
        .size:           3368
        .value_kind:     by_value
      - .offset:         3368
        .size:           1
        .value_kind:     by_value
      - .offset:         3369
        .size:           1
        .value_kind:     by_value
      - .offset:         3376
        .size:           8
        .value_kind:     by_value
      - .offset:         3384
        .size:           4
        .value_kind:     hidden_block_count_x
      - .offset:         3388
        .size:           4
        .value_kind:     hidden_block_count_y
      - .offset:         3392
        .size:           4
        .value_kind:     hidden_block_count_z
      - .offset:         3396
        .size:           2
        .value_kind:     hidden_group_size_x
      - .offset:         3398
        .size:           2
        .value_kind:     hidden_group_size_y
      - .offset:         3400
        .size:           2
        .value_kind:     hidden_group_size_z
      - .offset:         3402
        .size:           2
        .value_kind:     hidden_remainder_x
      - .offset:         3404
        .size:           2
        .value_kind:     hidden_remainder_y
      - .offset:         3406
        .size:           2
        .value_kind:     hidden_remainder_z
      - .offset:         3424
        .size:           8
        .value_kind:     hidden_global_offset_x
      - .offset:         3432
        .size:           8
        .value_kind:     hidden_global_offset_y
      - .offset:         3440
        .size:           8
        .value_kind:     hidden_global_offset_z
      - .offset:         3448
        .size:           2
        .value_kind:     hidden_grid_dims
    .group_segment_fixed_size: 0
    .kernarg_segment_align: 8
    .kernarg_segment_size: 3640
    .language:       OpenCL C
    .language_version:
      - 2
      - 0
    .max_flat_workgroup_size: 512
    .name:           _ZN2at6native12_GLOBAL__N_125multi_tensor_apply_kernelINS1_18TensorListMetadataILi1EEENS1_21BinaryOpScalarFunctorIN3c107complexIfEELi1ELi1ELi0EEEJSt5minusIS8_ES8_EEEvT_T0_DpT1_
    .private_segment_fixed_size: 16
    .sgpr_count:     26
    .sgpr_spill_count: 0
    .symbol:         _ZN2at6native12_GLOBAL__N_125multi_tensor_apply_kernelINS1_18TensorListMetadataILi1EEENS1_21BinaryOpScalarFunctorIN3c107complexIfEELi1ELi1ELi0EEEJSt5minusIS8_ES8_EEEvT_T0_DpT1_.kd
    .uniform_work_group_size: 1
    .uses_dynamic_stack: false
    .vgpr_count:     19
    .vgpr_spill_count: 0
    .wavefront_size: 32
    .workgroup_processor_mode: 1
  - .args:
      - .offset:         0
        .size:           3368
        .value_kind:     by_value
      - .offset:         3368
        .size:           1
        .value_kind:     by_value
      - .offset:         3369
        .size:           1
        .value_kind:     by_value
      - .offset:         3370
        .size:           1
        .value_kind:     by_value
      - .offset:         3376
        .size:           4
        .value_kind:     hidden_block_count_x
      - .offset:         3380
        .size:           4
        .value_kind:     hidden_block_count_y
      - .offset:         3384
        .size:           4
        .value_kind:     hidden_block_count_z
      - .offset:         3388
        .size:           2
        .value_kind:     hidden_group_size_x
      - .offset:         3390
        .size:           2
        .value_kind:     hidden_group_size_y
      - .offset:         3392
        .size:           2
        .value_kind:     hidden_group_size_z
      - .offset:         3394
        .size:           2
        .value_kind:     hidden_remainder_x
      - .offset:         3396
        .size:           2
        .value_kind:     hidden_remainder_y
      - .offset:         3398
        .size:           2
        .value_kind:     hidden_remainder_z
      - .offset:         3416
        .size:           8
        .value_kind:     hidden_global_offset_x
      - .offset:         3424
        .size:           8
        .value_kind:     hidden_global_offset_y
      - .offset:         3432
        .size:           8
        .value_kind:     hidden_global_offset_z
      - .offset:         3440
        .size:           2
        .value_kind:     hidden_grid_dims
    .group_segment_fixed_size: 0
    .kernarg_segment_align: 8
    .kernarg_segment_size: 3632
    .language:       OpenCL C
    .language_version:
      - 2
      - 0
    .max_flat_workgroup_size: 512
    .name:           _ZN2at6native12_GLOBAL__N_125multi_tensor_apply_kernelINS1_18TensorListMetadataILi1EEENS1_21BinaryOpScalarFunctorIbLi1ELi1ELi0EEEJSt5minusIbEbEEEvT_T0_DpT1_
    .private_segment_fixed_size: 0
    .sgpr_count:     28
    .sgpr_spill_count: 0
    .symbol:         _ZN2at6native12_GLOBAL__N_125multi_tensor_apply_kernelINS1_18TensorListMetadataILi1EEENS1_21BinaryOpScalarFunctorIbLi1ELi1ELi0EEEJSt5minusIbEbEEEvT_T0_DpT1_.kd
    .uniform_work_group_size: 1
    .uses_dynamic_stack: false
    .vgpr_count:     19
    .vgpr_spill_count: 0
    .wavefront_size: 32
    .workgroup_processor_mode: 1
  - .args:
      - .offset:         0
        .size:           3368
        .value_kind:     by_value
      - .offset:         3368
        .size:           1
        .value_kind:     by_value
      - .offset:         3369
        .size:           1
        .value_kind:     by_value
      - .offset:         3372
        .size:           4
        .value_kind:     by_value
      - .offset:         3376
        .size:           4
        .value_kind:     hidden_block_count_x
      - .offset:         3380
        .size:           4
        .value_kind:     hidden_block_count_y
      - .offset:         3384
        .size:           4
        .value_kind:     hidden_block_count_z
      - .offset:         3388
        .size:           2
        .value_kind:     hidden_group_size_x
      - .offset:         3390
        .size:           2
        .value_kind:     hidden_group_size_y
      - .offset:         3392
        .size:           2
        .value_kind:     hidden_group_size_z
      - .offset:         3394
        .size:           2
        .value_kind:     hidden_remainder_x
      - .offset:         3396
        .size:           2
        .value_kind:     hidden_remainder_y
      - .offset:         3398
        .size:           2
        .value_kind:     hidden_remainder_z
      - .offset:         3416
        .size:           8
        .value_kind:     hidden_global_offset_x
      - .offset:         3424
        .size:           8
        .value_kind:     hidden_global_offset_y
      - .offset:         3432
        .size:           8
        .value_kind:     hidden_global_offset_z
      - .offset:         3440
        .size:           2
        .value_kind:     hidden_grid_dims
    .group_segment_fixed_size: 0
    .kernarg_segment_align: 8
    .kernarg_segment_size: 3632
    .language:       OpenCL C
    .language_version:
      - 2
      - 0
    .max_flat_workgroup_size: 512
    .name:           _ZN2at6native12_GLOBAL__N_125multi_tensor_apply_kernelINS1_18TensorListMetadataILi1EEENS1_21BinaryOpScalarFunctorIN3c104HalfELi1ELi1ELi0EEEJSt5minusIfEfEEEvT_T0_DpT1_
    .private_segment_fixed_size: 0
    .sgpr_count:     27
    .sgpr_spill_count: 0
    .symbol:         _ZN2at6native12_GLOBAL__N_125multi_tensor_apply_kernelINS1_18TensorListMetadataILi1EEENS1_21BinaryOpScalarFunctorIN3c104HalfELi1ELi1ELi0EEEJSt5minusIfEfEEEvT_T0_DpT1_.kd
    .uniform_work_group_size: 1
    .uses_dynamic_stack: false
    .vgpr_count:     16
    .vgpr_spill_count: 0
    .wavefront_size: 32
    .workgroup_processor_mode: 1
  - .args:
      - .offset:         0
        .size:           3368
        .value_kind:     by_value
      - .offset:         3368
        .size:           1
        .value_kind:     by_value
      - .offset:         3369
        .size:           1
        .value_kind:     by_value
      - .offset:         3372
        .size:           4
        .value_kind:     by_value
      - .offset:         3376
        .size:           4
        .value_kind:     hidden_block_count_x
      - .offset:         3380
        .size:           4
        .value_kind:     hidden_block_count_y
      - .offset:         3384
        .size:           4
        .value_kind:     hidden_block_count_z
      - .offset:         3388
        .size:           2
        .value_kind:     hidden_group_size_x
      - .offset:         3390
        .size:           2
        .value_kind:     hidden_group_size_y
      - .offset:         3392
        .size:           2
        .value_kind:     hidden_group_size_z
      - .offset:         3394
        .size:           2
        .value_kind:     hidden_remainder_x
      - .offset:         3396
        .size:           2
        .value_kind:     hidden_remainder_y
      - .offset:         3398
        .size:           2
        .value_kind:     hidden_remainder_z
      - .offset:         3416
        .size:           8
        .value_kind:     hidden_global_offset_x
      - .offset:         3424
        .size:           8
        .value_kind:     hidden_global_offset_y
      - .offset:         3432
        .size:           8
        .value_kind:     hidden_global_offset_z
      - .offset:         3440
        .size:           2
        .value_kind:     hidden_grid_dims
    .group_segment_fixed_size: 0
    .kernarg_segment_align: 8
    .kernarg_segment_size: 3632
    .language:       OpenCL C
    .language_version:
      - 2
      - 0
    .max_flat_workgroup_size: 512
    .name:           _ZN2at6native12_GLOBAL__N_125multi_tensor_apply_kernelINS1_18TensorListMetadataILi1EEENS1_21BinaryOpScalarFunctorIN3c108BFloat16ELi1ELi1ELi0EEEJSt5minusIfEfEEEvT_T0_DpT1_
    .private_segment_fixed_size: 0
    .sgpr_count:     27
    .sgpr_spill_count: 0
    .symbol:         _ZN2at6native12_GLOBAL__N_125multi_tensor_apply_kernelINS1_18TensorListMetadataILi1EEENS1_21BinaryOpScalarFunctorIN3c108BFloat16ELi1ELi1ELi0EEEJSt5minusIfEfEEEvT_T0_DpT1_.kd
    .uniform_work_group_size: 1
    .uses_dynamic_stack: false
    .vgpr_count:     16
    .vgpr_spill_count: 0
    .wavefront_size: 32
    .workgroup_processor_mode: 1
  - .args:
      - .offset:         0
        .size:           3144
        .value_kind:     by_value
      - .offset:         3144
        .size:           1
        .value_kind:     by_value
      - .offset:         3145
        .size:           1
        .value_kind:     by_value
      - .offset:         3146
        .size:           1
        .value_kind:     by_value
      - .offset:         3152
        .size:           4
        .value_kind:     hidden_block_count_x
      - .offset:         3156
        .size:           4
        .value_kind:     hidden_block_count_y
      - .offset:         3160
        .size:           4
        .value_kind:     hidden_block_count_z
      - .offset:         3164
        .size:           2
        .value_kind:     hidden_group_size_x
      - .offset:         3166
        .size:           2
        .value_kind:     hidden_group_size_y
      - .offset:         3168
        .size:           2
        .value_kind:     hidden_group_size_z
      - .offset:         3170
        .size:           2
        .value_kind:     hidden_remainder_x
      - .offset:         3172
        .size:           2
        .value_kind:     hidden_remainder_y
      - .offset:         3174
        .size:           2
        .value_kind:     hidden_remainder_z
      - .offset:         3192
        .size:           8
        .value_kind:     hidden_global_offset_x
      - .offset:         3200
        .size:           8
        .value_kind:     hidden_global_offset_y
      - .offset:         3208
        .size:           8
        .value_kind:     hidden_global_offset_z
      - .offset:         3216
        .size:           2
        .value_kind:     hidden_grid_dims
    .group_segment_fixed_size: 0
    .kernarg_segment_align: 8
    .kernarg_segment_size: 3408
    .language:       OpenCL C
    .language_version:
      - 2
      - 0
    .max_flat_workgroup_size: 512
    .name:           _ZN2at6native12_GLOBAL__N_125multi_tensor_apply_kernelINS1_18TensorListMetadataILi2EEENS1_21BinaryOpScalarFunctorIhLi2ELi1ELi1EEEJSt5minusIhEhEEEvT_T0_DpT1_
    .private_segment_fixed_size: 0
    .sgpr_count:     27
    .sgpr_spill_count: 0
    .symbol:         _ZN2at6native12_GLOBAL__N_125multi_tensor_apply_kernelINS1_18TensorListMetadataILi2EEENS1_21BinaryOpScalarFunctorIhLi2ELi1ELi1EEEJSt5minusIhEhEEEvT_T0_DpT1_.kd
    .uniform_work_group_size: 1
    .uses_dynamic_stack: false
    .vgpr_count:     29
    .vgpr_spill_count: 0
    .wavefront_size: 32
    .workgroup_processor_mode: 1
  - .args:
      - .offset:         0
        .size:           3144
        .value_kind:     by_value
      - .offset:         3144
        .size:           1
        .value_kind:     by_value
      - .offset:         3145
        .size:           1
        .value_kind:     by_value
      - .offset:         3146
        .size:           1
        .value_kind:     by_value
      - .offset:         3152
        .size:           4
        .value_kind:     hidden_block_count_x
      - .offset:         3156
        .size:           4
        .value_kind:     hidden_block_count_y
      - .offset:         3160
        .size:           4
        .value_kind:     hidden_block_count_z
      - .offset:         3164
        .size:           2
        .value_kind:     hidden_group_size_x
      - .offset:         3166
        .size:           2
        .value_kind:     hidden_group_size_y
      - .offset:         3168
        .size:           2
        .value_kind:     hidden_group_size_z
      - .offset:         3170
        .size:           2
        .value_kind:     hidden_remainder_x
      - .offset:         3172
        .size:           2
        .value_kind:     hidden_remainder_y
      - .offset:         3174
        .size:           2
        .value_kind:     hidden_remainder_z
      - .offset:         3192
        .size:           8
        .value_kind:     hidden_global_offset_x
      - .offset:         3200
        .size:           8
        .value_kind:     hidden_global_offset_y
      - .offset:         3208
        .size:           8
        .value_kind:     hidden_global_offset_z
      - .offset:         3216
        .size:           2
        .value_kind:     hidden_grid_dims
    .group_segment_fixed_size: 0
    .kernarg_segment_align: 8
    .kernarg_segment_size: 3408
    .language:       OpenCL C
    .language_version:
      - 2
      - 0
    .max_flat_workgroup_size: 512
    .name:           _ZN2at6native12_GLOBAL__N_125multi_tensor_apply_kernelINS1_18TensorListMetadataILi2EEENS1_21BinaryOpScalarFunctorIaLi2ELi1ELi1EEEJSt5minusIaEaEEEvT_T0_DpT1_
    .private_segment_fixed_size: 0
    .sgpr_count:     27
    .sgpr_spill_count: 0
    .symbol:         _ZN2at6native12_GLOBAL__N_125multi_tensor_apply_kernelINS1_18TensorListMetadataILi2EEENS1_21BinaryOpScalarFunctorIaLi2ELi1ELi1EEEJSt5minusIaEaEEEvT_T0_DpT1_.kd
    .uniform_work_group_size: 1
    .uses_dynamic_stack: false
    .vgpr_count:     29
    .vgpr_spill_count: 0
    .wavefront_size: 32
    .workgroup_processor_mode: 1
  - .args:
      - .offset:         0
        .size:           3144
        .value_kind:     by_value
      - .offset:         3144
        .size:           1
        .value_kind:     by_value
      - .offset:         3145
        .size:           1
        .value_kind:     by_value
      - .offset:         3148
        .size:           4
        .value_kind:     by_value
      - .offset:         3152
        .size:           4
        .value_kind:     hidden_block_count_x
      - .offset:         3156
        .size:           4
        .value_kind:     hidden_block_count_y
      - .offset:         3160
        .size:           4
        .value_kind:     hidden_block_count_z
      - .offset:         3164
        .size:           2
        .value_kind:     hidden_group_size_x
      - .offset:         3166
        .size:           2
        .value_kind:     hidden_group_size_y
      - .offset:         3168
        .size:           2
        .value_kind:     hidden_group_size_z
      - .offset:         3170
        .size:           2
        .value_kind:     hidden_remainder_x
      - .offset:         3172
        .size:           2
        .value_kind:     hidden_remainder_y
      - .offset:         3174
        .size:           2
        .value_kind:     hidden_remainder_z
      - .offset:         3192
        .size:           8
        .value_kind:     hidden_global_offset_x
      - .offset:         3200
        .size:           8
        .value_kind:     hidden_global_offset_y
      - .offset:         3208
        .size:           8
        .value_kind:     hidden_global_offset_z
      - .offset:         3216
        .size:           2
        .value_kind:     hidden_grid_dims
    .group_segment_fixed_size: 0
    .kernarg_segment_align: 8
    .kernarg_segment_size: 3408
    .language:       OpenCL C
    .language_version:
      - 2
      - 0
    .max_flat_workgroup_size: 512
    .name:           _ZN2at6native12_GLOBAL__N_125multi_tensor_apply_kernelINS1_18TensorListMetadataILi2EEENS1_21BinaryOpScalarFunctorIiLi2ELi1ELi1EEEJSt5minusIiEiEEEvT_T0_DpT1_
    .private_segment_fixed_size: 0
    .sgpr_count:     27
    .sgpr_spill_count: 0
    .symbol:         _ZN2at6native12_GLOBAL__N_125multi_tensor_apply_kernelINS1_18TensorListMetadataILi2EEENS1_21BinaryOpScalarFunctorIiLi2ELi1ELi1EEEJSt5minusIiEiEEEvT_T0_DpT1_.kd
    .uniform_work_group_size: 1
    .uses_dynamic_stack: false
    .vgpr_count:     29
    .vgpr_spill_count: 0
    .wavefront_size: 32
    .workgroup_processor_mode: 1
  - .args:
      - .offset:         0
        .size:           3144
        .value_kind:     by_value
      - .offset:         3144
        .size:           1
        .value_kind:     by_value
      - .offset:         3145
        .size:           1
        .value_kind:     by_value
      - .offset:         3152
        .size:           8
        .value_kind:     by_value
      - .offset:         3160
        .size:           4
        .value_kind:     hidden_block_count_x
      - .offset:         3164
        .size:           4
        .value_kind:     hidden_block_count_y
      - .offset:         3168
        .size:           4
        .value_kind:     hidden_block_count_z
      - .offset:         3172
        .size:           2
        .value_kind:     hidden_group_size_x
      - .offset:         3174
        .size:           2
        .value_kind:     hidden_group_size_y
      - .offset:         3176
        .size:           2
        .value_kind:     hidden_group_size_z
      - .offset:         3178
        .size:           2
        .value_kind:     hidden_remainder_x
      - .offset:         3180
        .size:           2
        .value_kind:     hidden_remainder_y
      - .offset:         3182
        .size:           2
        .value_kind:     hidden_remainder_z
      - .offset:         3200
        .size:           8
        .value_kind:     hidden_global_offset_x
      - .offset:         3208
        .size:           8
        .value_kind:     hidden_global_offset_y
      - .offset:         3216
        .size:           8
        .value_kind:     hidden_global_offset_z
      - .offset:         3224
        .size:           2
        .value_kind:     hidden_grid_dims
    .group_segment_fixed_size: 0
    .kernarg_segment_align: 8
    .kernarg_segment_size: 3416
    .language:       OpenCL C
    .language_version:
      - 2
      - 0
    .max_flat_workgroup_size: 512
    .name:           _ZN2at6native12_GLOBAL__N_125multi_tensor_apply_kernelINS1_18TensorListMetadataILi2EEENS1_21BinaryOpScalarFunctorIlLi2ELi1ELi1EEEJSt5minusIlElEEEvT_T0_DpT1_
    .private_segment_fixed_size: 0
    .sgpr_count:     28
    .sgpr_spill_count: 0
    .symbol:         _ZN2at6native12_GLOBAL__N_125multi_tensor_apply_kernelINS1_18TensorListMetadataILi2EEENS1_21BinaryOpScalarFunctorIlLi2ELi1ELi1EEEJSt5minusIlElEEEvT_T0_DpT1_.kd
    .uniform_work_group_size: 1
    .uses_dynamic_stack: false
    .vgpr_count:     33
    .vgpr_spill_count: 0
    .wavefront_size: 32
    .workgroup_processor_mode: 1
  - .args:
      - .offset:         0
        .size:           3144
        .value_kind:     by_value
      - .offset:         3144
        .size:           1
        .value_kind:     by_value
      - .offset:         3145
        .size:           1
        .value_kind:     by_value
      - .offset:         3146
        .size:           2
        .value_kind:     by_value
      - .offset:         3152
        .size:           4
        .value_kind:     hidden_block_count_x
      - .offset:         3156
        .size:           4
        .value_kind:     hidden_block_count_y
      - .offset:         3160
        .size:           4
        .value_kind:     hidden_block_count_z
      - .offset:         3164
        .size:           2
        .value_kind:     hidden_group_size_x
      - .offset:         3166
        .size:           2
        .value_kind:     hidden_group_size_y
      - .offset:         3168
        .size:           2
        .value_kind:     hidden_group_size_z
      - .offset:         3170
        .size:           2
        .value_kind:     hidden_remainder_x
      - .offset:         3172
        .size:           2
        .value_kind:     hidden_remainder_y
      - .offset:         3174
        .size:           2
        .value_kind:     hidden_remainder_z
      - .offset:         3192
        .size:           8
        .value_kind:     hidden_global_offset_x
      - .offset:         3200
        .size:           8
        .value_kind:     hidden_global_offset_y
      - .offset:         3208
        .size:           8
        .value_kind:     hidden_global_offset_z
      - .offset:         3216
        .size:           2
        .value_kind:     hidden_grid_dims
    .group_segment_fixed_size: 0
    .kernarg_segment_align: 8
    .kernarg_segment_size: 3408
    .language:       OpenCL C
    .language_version:
      - 2
      - 0
    .max_flat_workgroup_size: 512
    .name:           _ZN2at6native12_GLOBAL__N_125multi_tensor_apply_kernelINS1_18TensorListMetadataILi2EEENS1_21BinaryOpScalarFunctorIsLi2ELi1ELi1EEEJSt5minusIsEsEEEvT_T0_DpT1_
    .private_segment_fixed_size: 0
    .sgpr_count:     27
    .sgpr_spill_count: 0
    .symbol:         _ZN2at6native12_GLOBAL__N_125multi_tensor_apply_kernelINS1_18TensorListMetadataILi2EEENS1_21BinaryOpScalarFunctorIsLi2ELi1ELi1EEEJSt5minusIsEsEEEvT_T0_DpT1_.kd
    .uniform_work_group_size: 1
    .uses_dynamic_stack: false
    .vgpr_count:     29
    .vgpr_spill_count: 0
    .wavefront_size: 32
    .workgroup_processor_mode: 1
  - .args:
      - .offset:         0
        .size:           3144
        .value_kind:     by_value
      - .offset:         3144
        .size:           1
        .value_kind:     by_value
      - .offset:         3145
        .size:           1
        .value_kind:     by_value
      - .offset:         3152
        .size:           8
        .value_kind:     by_value
      - .offset:         3160
        .size:           4
        .value_kind:     hidden_block_count_x
      - .offset:         3164
        .size:           4
        .value_kind:     hidden_block_count_y
      - .offset:         3168
        .size:           4
        .value_kind:     hidden_block_count_z
      - .offset:         3172
        .size:           2
        .value_kind:     hidden_group_size_x
      - .offset:         3174
        .size:           2
        .value_kind:     hidden_group_size_y
      - .offset:         3176
        .size:           2
        .value_kind:     hidden_group_size_z
      - .offset:         3178
        .size:           2
        .value_kind:     hidden_remainder_x
      - .offset:         3180
        .size:           2
        .value_kind:     hidden_remainder_y
      - .offset:         3182
        .size:           2
        .value_kind:     hidden_remainder_z
      - .offset:         3200
        .size:           8
        .value_kind:     hidden_global_offset_x
      - .offset:         3208
        .size:           8
        .value_kind:     hidden_global_offset_y
      - .offset:         3216
        .size:           8
        .value_kind:     hidden_global_offset_z
      - .offset:         3224
        .size:           2
        .value_kind:     hidden_grid_dims
    .group_segment_fixed_size: 0
    .kernarg_segment_align: 8
    .kernarg_segment_size: 3416
    .language:       OpenCL C
    .language_version:
      - 2
      - 0
    .max_flat_workgroup_size: 512
    .name:           _ZN2at6native12_GLOBAL__N_125multi_tensor_apply_kernelINS1_18TensorListMetadataILi2EEENS1_21BinaryOpScalarFunctorIdLi2ELi1ELi1EEEJSt5minusIdEdEEEvT_T0_DpT1_
    .private_segment_fixed_size: 0
    .sgpr_count:     28
    .sgpr_spill_count: 0
    .symbol:         _ZN2at6native12_GLOBAL__N_125multi_tensor_apply_kernelINS1_18TensorListMetadataILi2EEENS1_21BinaryOpScalarFunctorIdLi2ELi1ELi1EEEJSt5minusIdEdEEEvT_T0_DpT1_.kd
    .uniform_work_group_size: 1
    .uses_dynamic_stack: false
    .vgpr_count:     33
    .vgpr_spill_count: 0
    .wavefront_size: 32
    .workgroup_processor_mode: 1
  - .args:
      - .offset:         0
        .size:           3144
        .value_kind:     by_value
      - .offset:         3144
        .size:           1
        .value_kind:     by_value
      - .offset:         3145
        .size:           1
        .value_kind:     by_value
      - .offset:         3148
        .size:           4
        .value_kind:     by_value
      - .offset:         3152
        .size:           4
        .value_kind:     hidden_block_count_x
      - .offset:         3156
        .size:           4
        .value_kind:     hidden_block_count_y
      - .offset:         3160
        .size:           4
        .value_kind:     hidden_block_count_z
      - .offset:         3164
        .size:           2
        .value_kind:     hidden_group_size_x
      - .offset:         3166
        .size:           2
        .value_kind:     hidden_group_size_y
      - .offset:         3168
        .size:           2
        .value_kind:     hidden_group_size_z
      - .offset:         3170
        .size:           2
        .value_kind:     hidden_remainder_x
      - .offset:         3172
        .size:           2
        .value_kind:     hidden_remainder_y
      - .offset:         3174
        .size:           2
        .value_kind:     hidden_remainder_z
      - .offset:         3192
        .size:           8
        .value_kind:     hidden_global_offset_x
      - .offset:         3200
        .size:           8
        .value_kind:     hidden_global_offset_y
      - .offset:         3208
        .size:           8
        .value_kind:     hidden_global_offset_z
      - .offset:         3216
        .size:           2
        .value_kind:     hidden_grid_dims
    .group_segment_fixed_size: 0
    .kernarg_segment_align: 8
    .kernarg_segment_size: 3408
    .language:       OpenCL C
    .language_version:
      - 2
      - 0
    .max_flat_workgroup_size: 512
    .name:           _ZN2at6native12_GLOBAL__N_125multi_tensor_apply_kernelINS1_18TensorListMetadataILi2EEENS1_21BinaryOpScalarFunctorIfLi2ELi1ELi1EEEJSt5minusIfEfEEEvT_T0_DpT1_
    .private_segment_fixed_size: 0
    .sgpr_count:     27
    .sgpr_spill_count: 0
    .symbol:         _ZN2at6native12_GLOBAL__N_125multi_tensor_apply_kernelINS1_18TensorListMetadataILi2EEENS1_21BinaryOpScalarFunctorIfLi2ELi1ELi1EEEJSt5minusIfEfEEEvT_T0_DpT1_.kd
    .uniform_work_group_size: 1
    .uses_dynamic_stack: false
    .vgpr_count:     29
    .vgpr_spill_count: 0
    .wavefront_size: 32
    .workgroup_processor_mode: 1
  - .args:
      - .offset:         0
        .size:           3144
        .value_kind:     by_value
      - .offset:         3144
        .size:           1
        .value_kind:     by_value
      - .offset:         3145
        .size:           1
        .value_kind:     by_value
      - .offset:         3152
        .size:           16
        .value_kind:     by_value
      - .offset:         3168
        .size:           4
        .value_kind:     hidden_block_count_x
      - .offset:         3172
        .size:           4
        .value_kind:     hidden_block_count_y
      - .offset:         3176
        .size:           4
        .value_kind:     hidden_block_count_z
      - .offset:         3180
        .size:           2
        .value_kind:     hidden_group_size_x
      - .offset:         3182
        .size:           2
        .value_kind:     hidden_group_size_y
      - .offset:         3184
        .size:           2
        .value_kind:     hidden_group_size_z
      - .offset:         3186
        .size:           2
        .value_kind:     hidden_remainder_x
      - .offset:         3188
        .size:           2
        .value_kind:     hidden_remainder_y
      - .offset:         3190
        .size:           2
        .value_kind:     hidden_remainder_z
      - .offset:         3208
        .size:           8
        .value_kind:     hidden_global_offset_x
      - .offset:         3216
        .size:           8
        .value_kind:     hidden_global_offset_y
      - .offset:         3224
        .size:           8
        .value_kind:     hidden_global_offset_z
      - .offset:         3232
        .size:           2
        .value_kind:     hidden_grid_dims
    .group_segment_fixed_size: 0
    .kernarg_segment_align: 16
    .kernarg_segment_size: 3424
    .language:       OpenCL C
    .language_version:
      - 2
      - 0
    .max_flat_workgroup_size: 512
    .name:           _ZN2at6native12_GLOBAL__N_125multi_tensor_apply_kernelINS1_18TensorListMetadataILi2EEENS1_21BinaryOpScalarFunctorIN3c107complexIdEELi2ELi1ELi1EEEJSt5minusIS8_ES8_EEEvT_T0_DpT1_
    .private_segment_fixed_size: 0
    .sgpr_count:     30
    .sgpr_spill_count: 0
    .symbol:         _ZN2at6native12_GLOBAL__N_125multi_tensor_apply_kernelINS1_18TensorListMetadataILi2EEENS1_21BinaryOpScalarFunctorIN3c107complexIdEELi2ELi1ELi1EEEJSt5minusIS8_ES8_EEEvT_T0_DpT1_.kd
    .uniform_work_group_size: 1
    .uses_dynamic_stack: false
    .vgpr_count:     25
    .vgpr_spill_count: 0
    .wavefront_size: 32
    .workgroup_processor_mode: 1
  - .args:
      - .offset:         0
        .size:           3144
        .value_kind:     by_value
      - .offset:         3144
        .size:           1
        .value_kind:     by_value
      - .offset:         3145
        .size:           1
        .value_kind:     by_value
      - .offset:         3152
        .size:           8
        .value_kind:     by_value
      - .offset:         3160
        .size:           4
        .value_kind:     hidden_block_count_x
      - .offset:         3164
        .size:           4
        .value_kind:     hidden_block_count_y
      - .offset:         3168
        .size:           4
        .value_kind:     hidden_block_count_z
      - .offset:         3172
        .size:           2
        .value_kind:     hidden_group_size_x
      - .offset:         3174
        .size:           2
        .value_kind:     hidden_group_size_y
      - .offset:         3176
        .size:           2
        .value_kind:     hidden_group_size_z
      - .offset:         3178
        .size:           2
        .value_kind:     hidden_remainder_x
      - .offset:         3180
        .size:           2
        .value_kind:     hidden_remainder_y
      - .offset:         3182
        .size:           2
        .value_kind:     hidden_remainder_z
      - .offset:         3200
        .size:           8
        .value_kind:     hidden_global_offset_x
      - .offset:         3208
        .size:           8
        .value_kind:     hidden_global_offset_y
      - .offset:         3216
        .size:           8
        .value_kind:     hidden_global_offset_z
      - .offset:         3224
        .size:           2
        .value_kind:     hidden_grid_dims
    .group_segment_fixed_size: 0
    .kernarg_segment_align: 8
    .kernarg_segment_size: 3416
    .language:       OpenCL C
    .language_version:
      - 2
      - 0
    .max_flat_workgroup_size: 512
    .name:           _ZN2at6native12_GLOBAL__N_125multi_tensor_apply_kernelINS1_18TensorListMetadataILi2EEENS1_21BinaryOpScalarFunctorIN3c107complexIfEELi2ELi1ELi1EEEJSt5minusIS8_ES8_EEEvT_T0_DpT1_
    .private_segment_fixed_size: 16
    .sgpr_count:     28
    .sgpr_spill_count: 0
    .symbol:         _ZN2at6native12_GLOBAL__N_125multi_tensor_apply_kernelINS1_18TensorListMetadataILi2EEENS1_21BinaryOpScalarFunctorIN3c107complexIfEELi2ELi1ELi1EEEJSt5minusIS8_ES8_EEEvT_T0_DpT1_.kd
    .uniform_work_group_size: 1
    .uses_dynamic_stack: false
    .vgpr_count:     21
    .vgpr_spill_count: 0
    .wavefront_size: 32
    .workgroup_processor_mode: 1
  - .args:
      - .offset:         0
        .size:           3144
        .value_kind:     by_value
      - .offset:         3144
        .size:           1
        .value_kind:     by_value
      - .offset:         3145
        .size:           1
        .value_kind:     by_value
      - .offset:         3146
        .size:           1
        .value_kind:     by_value
      - .offset:         3152
        .size:           4
        .value_kind:     hidden_block_count_x
      - .offset:         3156
        .size:           4
        .value_kind:     hidden_block_count_y
      - .offset:         3160
        .size:           4
        .value_kind:     hidden_block_count_z
      - .offset:         3164
        .size:           2
        .value_kind:     hidden_group_size_x
      - .offset:         3166
        .size:           2
        .value_kind:     hidden_group_size_y
      - .offset:         3168
        .size:           2
        .value_kind:     hidden_group_size_z
      - .offset:         3170
        .size:           2
        .value_kind:     hidden_remainder_x
      - .offset:         3172
        .size:           2
        .value_kind:     hidden_remainder_y
      - .offset:         3174
        .size:           2
        .value_kind:     hidden_remainder_z
      - .offset:         3192
        .size:           8
        .value_kind:     hidden_global_offset_x
      - .offset:         3200
        .size:           8
        .value_kind:     hidden_global_offset_y
      - .offset:         3208
        .size:           8
        .value_kind:     hidden_global_offset_z
      - .offset:         3216
        .size:           2
        .value_kind:     hidden_grid_dims
    .group_segment_fixed_size: 0
    .kernarg_segment_align: 8
    .kernarg_segment_size: 3408
    .language:       OpenCL C
    .language_version:
      - 2
      - 0
    .max_flat_workgroup_size: 512
    .name:           _ZN2at6native12_GLOBAL__N_125multi_tensor_apply_kernelINS1_18TensorListMetadataILi2EEENS1_21BinaryOpScalarFunctorIbLi2ELi1ELi1EEEJSt5minusIbEbEEEvT_T0_DpT1_
    .private_segment_fixed_size: 0
    .sgpr_count:     30
    .sgpr_spill_count: 0
    .symbol:         _ZN2at6native12_GLOBAL__N_125multi_tensor_apply_kernelINS1_18TensorListMetadataILi2EEENS1_21BinaryOpScalarFunctorIbLi2ELi1ELi1EEEJSt5minusIbEbEEEvT_T0_DpT1_.kd
    .uniform_work_group_size: 1
    .uses_dynamic_stack: false
    .vgpr_count:     27
    .vgpr_spill_count: 0
    .wavefront_size: 32
    .workgroup_processor_mode: 1
  - .args:
      - .offset:         0
        .size:           3144
        .value_kind:     by_value
      - .offset:         3144
        .size:           1
        .value_kind:     by_value
      - .offset:         3145
        .size:           1
        .value_kind:     by_value
      - .offset:         3148
        .size:           4
        .value_kind:     by_value
      - .offset:         3152
        .size:           4
        .value_kind:     hidden_block_count_x
      - .offset:         3156
        .size:           4
        .value_kind:     hidden_block_count_y
      - .offset:         3160
        .size:           4
        .value_kind:     hidden_block_count_z
      - .offset:         3164
        .size:           2
        .value_kind:     hidden_group_size_x
      - .offset:         3166
        .size:           2
        .value_kind:     hidden_group_size_y
      - .offset:         3168
        .size:           2
        .value_kind:     hidden_group_size_z
      - .offset:         3170
        .size:           2
        .value_kind:     hidden_remainder_x
      - .offset:         3172
        .size:           2
        .value_kind:     hidden_remainder_y
      - .offset:         3174
        .size:           2
        .value_kind:     hidden_remainder_z
      - .offset:         3192
        .size:           8
        .value_kind:     hidden_global_offset_x
      - .offset:         3200
        .size:           8
        .value_kind:     hidden_global_offset_y
      - .offset:         3208
        .size:           8
        .value_kind:     hidden_global_offset_z
      - .offset:         3216
        .size:           2
        .value_kind:     hidden_grid_dims
    .group_segment_fixed_size: 0
    .kernarg_segment_align: 8
    .kernarg_segment_size: 3408
    .language:       OpenCL C
    .language_version:
      - 2
      - 0
    .max_flat_workgroup_size: 512
    .name:           _ZN2at6native12_GLOBAL__N_125multi_tensor_apply_kernelINS1_18TensorListMetadataILi2EEENS1_21BinaryOpScalarFunctorIN3c104HalfELi2ELi1ELi1EEEJSt5minusIfEfEEEvT_T0_DpT1_
    .private_segment_fixed_size: 0
    .sgpr_count:     27
    .sgpr_spill_count: 0
    .symbol:         _ZN2at6native12_GLOBAL__N_125multi_tensor_apply_kernelINS1_18TensorListMetadataILi2EEENS1_21BinaryOpScalarFunctorIN3c104HalfELi2ELi1ELi1EEEJSt5minusIfEfEEEvT_T0_DpT1_.kd
    .uniform_work_group_size: 1
    .uses_dynamic_stack: false
    .vgpr_count:     29
    .vgpr_spill_count: 0
    .wavefront_size: 32
    .workgroup_processor_mode: 1
  - .args:
      - .offset:         0
        .size:           3144
        .value_kind:     by_value
      - .offset:         3144
        .size:           1
        .value_kind:     by_value
      - .offset:         3145
        .size:           1
        .value_kind:     by_value
      - .offset:         3148
        .size:           4
        .value_kind:     by_value
      - .offset:         3152
        .size:           4
        .value_kind:     hidden_block_count_x
      - .offset:         3156
        .size:           4
        .value_kind:     hidden_block_count_y
      - .offset:         3160
        .size:           4
        .value_kind:     hidden_block_count_z
      - .offset:         3164
        .size:           2
        .value_kind:     hidden_group_size_x
      - .offset:         3166
        .size:           2
        .value_kind:     hidden_group_size_y
      - .offset:         3168
        .size:           2
        .value_kind:     hidden_group_size_z
      - .offset:         3170
        .size:           2
        .value_kind:     hidden_remainder_x
      - .offset:         3172
        .size:           2
        .value_kind:     hidden_remainder_y
      - .offset:         3174
        .size:           2
        .value_kind:     hidden_remainder_z
      - .offset:         3192
        .size:           8
        .value_kind:     hidden_global_offset_x
      - .offset:         3200
        .size:           8
        .value_kind:     hidden_global_offset_y
      - .offset:         3208
        .size:           8
        .value_kind:     hidden_global_offset_z
      - .offset:         3216
        .size:           2
        .value_kind:     hidden_grid_dims
    .group_segment_fixed_size: 0
    .kernarg_segment_align: 8
    .kernarg_segment_size: 3408
    .language:       OpenCL C
    .language_version:
      - 2
      - 0
    .max_flat_workgroup_size: 512
    .name:           _ZN2at6native12_GLOBAL__N_125multi_tensor_apply_kernelINS1_18TensorListMetadataILi2EEENS1_21BinaryOpScalarFunctorIN3c108BFloat16ELi2ELi1ELi1EEEJSt5minusIfEfEEEvT_T0_DpT1_
    .private_segment_fixed_size: 0
    .sgpr_count:     27
    .sgpr_spill_count: 0
    .symbol:         _ZN2at6native12_GLOBAL__N_125multi_tensor_apply_kernelINS1_18TensorListMetadataILi2EEENS1_21BinaryOpScalarFunctorIN3c108BFloat16ELi2ELi1ELi1EEEJSt5minusIfEfEEEvT_T0_DpT1_.kd
    .uniform_work_group_size: 1
    .uses_dynamic_stack: false
    .vgpr_count:     30
    .vgpr_spill_count: 0
    .wavefront_size: 32
    .workgroup_processor_mode: 1
  - .args:
      - .offset:         0
        .size:           3368
        .value_kind:     by_value
      - .offset:         3368
        .size:           1
        .value_kind:     by_value
      - .offset:         3369
        .size:           1
        .value_kind:     by_value
      - .offset:         3370
        .size:           1
        .value_kind:     by_value
      - .offset:         3376
        .size:           4
        .value_kind:     hidden_block_count_x
      - .offset:         3380
        .size:           4
        .value_kind:     hidden_block_count_y
      - .offset:         3384
        .size:           4
        .value_kind:     hidden_block_count_z
      - .offset:         3388
        .size:           2
        .value_kind:     hidden_group_size_x
      - .offset:         3390
        .size:           2
        .value_kind:     hidden_group_size_y
      - .offset:         3392
        .size:           2
        .value_kind:     hidden_group_size_z
      - .offset:         3394
        .size:           2
        .value_kind:     hidden_remainder_x
      - .offset:         3396
        .size:           2
        .value_kind:     hidden_remainder_y
      - .offset:         3398
        .size:           2
        .value_kind:     hidden_remainder_z
      - .offset:         3416
        .size:           8
        .value_kind:     hidden_global_offset_x
      - .offset:         3424
        .size:           8
        .value_kind:     hidden_global_offset_y
      - .offset:         3432
        .size:           8
        .value_kind:     hidden_global_offset_z
      - .offset:         3440
        .size:           2
        .value_kind:     hidden_grid_dims
    .group_segment_fixed_size: 0
    .kernarg_segment_align: 8
    .kernarg_segment_size: 3632
    .language:       OpenCL C
    .language_version:
      - 2
      - 0
    .max_flat_workgroup_size: 512
    .name:           _ZN2at6native12_GLOBAL__N_125multi_tensor_apply_kernelINS1_18TensorListMetadataILi1EEENS1_21BinaryOpScalarFunctorIhLi1ELi1ELi0EEEJNS0_7minimumIhEEhEEEvT_T0_DpT1_
    .private_segment_fixed_size: 0
    .sgpr_count:     26
    .sgpr_spill_count: 0
    .symbol:         _ZN2at6native12_GLOBAL__N_125multi_tensor_apply_kernelINS1_18TensorListMetadataILi1EEENS1_21BinaryOpScalarFunctorIhLi1ELi1ELi0EEEJNS0_7minimumIhEEhEEEvT_T0_DpT1_.kd
    .uniform_work_group_size: 1
    .uses_dynamic_stack: false
    .vgpr_count:     21
    .vgpr_spill_count: 0
    .wavefront_size: 32
    .workgroup_processor_mode: 1
  - .args:
      - .offset:         0
        .size:           3368
        .value_kind:     by_value
      - .offset:         3368
        .size:           1
        .value_kind:     by_value
      - .offset:         3369
        .size:           1
        .value_kind:     by_value
      - .offset:         3370
        .size:           1
        .value_kind:     by_value
      - .offset:         3376
        .size:           4
        .value_kind:     hidden_block_count_x
      - .offset:         3380
        .size:           4
        .value_kind:     hidden_block_count_y
      - .offset:         3384
        .size:           4
        .value_kind:     hidden_block_count_z
      - .offset:         3388
        .size:           2
        .value_kind:     hidden_group_size_x
      - .offset:         3390
        .size:           2
        .value_kind:     hidden_group_size_y
      - .offset:         3392
        .size:           2
        .value_kind:     hidden_group_size_z
      - .offset:         3394
        .size:           2
        .value_kind:     hidden_remainder_x
      - .offset:         3396
        .size:           2
        .value_kind:     hidden_remainder_y
      - .offset:         3398
        .size:           2
        .value_kind:     hidden_remainder_z
      - .offset:         3416
        .size:           8
        .value_kind:     hidden_global_offset_x
      - .offset:         3424
        .size:           8
        .value_kind:     hidden_global_offset_y
      - .offset:         3432
        .size:           8
        .value_kind:     hidden_global_offset_z
      - .offset:         3440
        .size:           2
        .value_kind:     hidden_grid_dims
    .group_segment_fixed_size: 0
    .kernarg_segment_align: 8
    .kernarg_segment_size: 3632
    .language:       OpenCL C
    .language_version:
      - 2
      - 0
    .max_flat_workgroup_size: 512
    .name:           _ZN2at6native12_GLOBAL__N_125multi_tensor_apply_kernelINS1_18TensorListMetadataILi1EEENS1_21BinaryOpScalarFunctorIaLi1ELi1ELi0EEEJNS0_7minimumIaEEaEEEvT_T0_DpT1_
    .private_segment_fixed_size: 0
    .sgpr_count:     26
    .sgpr_spill_count: 0
    .symbol:         _ZN2at6native12_GLOBAL__N_125multi_tensor_apply_kernelINS1_18TensorListMetadataILi1EEENS1_21BinaryOpScalarFunctorIaLi1ELi1ELi0EEEJNS0_7minimumIaEEaEEEvT_T0_DpT1_.kd
    .uniform_work_group_size: 1
    .uses_dynamic_stack: false
    .vgpr_count:     21
    .vgpr_spill_count: 0
    .wavefront_size: 32
    .workgroup_processor_mode: 1
  - .args:
      - .offset:         0
        .size:           3368
        .value_kind:     by_value
      - .offset:         3368
        .size:           1
        .value_kind:     by_value
      - .offset:         3369
        .size:           1
        .value_kind:     by_value
      - .offset:         3372
        .size:           4
        .value_kind:     by_value
      - .offset:         3376
        .size:           4
        .value_kind:     hidden_block_count_x
      - .offset:         3380
        .size:           4
        .value_kind:     hidden_block_count_y
      - .offset:         3384
        .size:           4
        .value_kind:     hidden_block_count_z
      - .offset:         3388
        .size:           2
        .value_kind:     hidden_group_size_x
      - .offset:         3390
        .size:           2
        .value_kind:     hidden_group_size_y
      - .offset:         3392
        .size:           2
        .value_kind:     hidden_group_size_z
      - .offset:         3394
        .size:           2
        .value_kind:     hidden_remainder_x
      - .offset:         3396
        .size:           2
        .value_kind:     hidden_remainder_y
      - .offset:         3398
        .size:           2
        .value_kind:     hidden_remainder_z
      - .offset:         3416
        .size:           8
        .value_kind:     hidden_global_offset_x
      - .offset:         3424
        .size:           8
        .value_kind:     hidden_global_offset_y
      - .offset:         3432
        .size:           8
        .value_kind:     hidden_global_offset_z
      - .offset:         3440
        .size:           2
        .value_kind:     hidden_grid_dims
    .group_segment_fixed_size: 0
    .kernarg_segment_align: 8
    .kernarg_segment_size: 3632
    .language:       OpenCL C
    .language_version:
      - 2
      - 0
    .max_flat_workgroup_size: 512
    .name:           _ZN2at6native12_GLOBAL__N_125multi_tensor_apply_kernelINS1_18TensorListMetadataILi1EEENS1_21BinaryOpScalarFunctorIiLi1ELi1ELi0EEEJNS0_7minimumIiEEiEEEvT_T0_DpT1_
    .private_segment_fixed_size: 0
    .sgpr_count:     28
    .sgpr_spill_count: 0
    .symbol:         _ZN2at6native12_GLOBAL__N_125multi_tensor_apply_kernelINS1_18TensorListMetadataILi1EEENS1_21BinaryOpScalarFunctorIiLi1ELi1ELi0EEEJNS0_7minimumIiEEiEEEvT_T0_DpT1_.kd
    .uniform_work_group_size: 1
    .uses_dynamic_stack: false
    .vgpr_count:     16
    .vgpr_spill_count: 0
    .wavefront_size: 32
    .workgroup_processor_mode: 1
  - .args:
      - .offset:         0
        .size:           3368
        .value_kind:     by_value
      - .offset:         3368
        .size:           1
        .value_kind:     by_value
      - .offset:         3369
        .size:           1
        .value_kind:     by_value
      - .offset:         3376
        .size:           8
        .value_kind:     by_value
      - .offset:         3384
        .size:           4
        .value_kind:     hidden_block_count_x
      - .offset:         3388
        .size:           4
        .value_kind:     hidden_block_count_y
      - .offset:         3392
        .size:           4
        .value_kind:     hidden_block_count_z
      - .offset:         3396
        .size:           2
        .value_kind:     hidden_group_size_x
      - .offset:         3398
        .size:           2
        .value_kind:     hidden_group_size_y
      - .offset:         3400
        .size:           2
        .value_kind:     hidden_group_size_z
      - .offset:         3402
        .size:           2
        .value_kind:     hidden_remainder_x
      - .offset:         3404
        .size:           2
        .value_kind:     hidden_remainder_y
      - .offset:         3406
        .size:           2
        .value_kind:     hidden_remainder_z
      - .offset:         3424
        .size:           8
        .value_kind:     hidden_global_offset_x
      - .offset:         3432
        .size:           8
        .value_kind:     hidden_global_offset_y
      - .offset:         3440
        .size:           8
        .value_kind:     hidden_global_offset_z
      - .offset:         3448
        .size:           2
        .value_kind:     hidden_grid_dims
    .group_segment_fixed_size: 0
    .kernarg_segment_align: 8
    .kernarg_segment_size: 3640
    .language:       OpenCL C
    .language_version:
      - 2
      - 0
    .max_flat_workgroup_size: 512
    .name:           _ZN2at6native12_GLOBAL__N_125multi_tensor_apply_kernelINS1_18TensorListMetadataILi1EEENS1_21BinaryOpScalarFunctorIlLi1ELi1ELi0EEEJNS0_7minimumIlEElEEEvT_T0_DpT1_
    .private_segment_fixed_size: 0
    .sgpr_count:     29
    .sgpr_spill_count: 0
    .symbol:         _ZN2at6native12_GLOBAL__N_125multi_tensor_apply_kernelINS1_18TensorListMetadataILi1EEENS1_21BinaryOpScalarFunctorIlLi1ELi1ELi0EEEJNS0_7minimumIlEElEEEvT_T0_DpT1_.kd
    .uniform_work_group_size: 1
    .uses_dynamic_stack: false
    .vgpr_count:     21
    .vgpr_spill_count: 0
    .wavefront_size: 32
    .workgroup_processor_mode: 1
  - .args:
      - .offset:         0
        .size:           3368
        .value_kind:     by_value
      - .offset:         3368
        .size:           1
        .value_kind:     by_value
      - .offset:         3369
        .size:           1
        .value_kind:     by_value
      - .offset:         3370
        .size:           2
        .value_kind:     by_value
      - .offset:         3376
        .size:           4
        .value_kind:     hidden_block_count_x
      - .offset:         3380
        .size:           4
        .value_kind:     hidden_block_count_y
      - .offset:         3384
        .size:           4
        .value_kind:     hidden_block_count_z
      - .offset:         3388
        .size:           2
        .value_kind:     hidden_group_size_x
      - .offset:         3390
        .size:           2
        .value_kind:     hidden_group_size_y
      - .offset:         3392
        .size:           2
        .value_kind:     hidden_group_size_z
      - .offset:         3394
        .size:           2
        .value_kind:     hidden_remainder_x
      - .offset:         3396
        .size:           2
        .value_kind:     hidden_remainder_y
      - .offset:         3398
        .size:           2
        .value_kind:     hidden_remainder_z
      - .offset:         3416
        .size:           8
        .value_kind:     hidden_global_offset_x
      - .offset:         3424
        .size:           8
        .value_kind:     hidden_global_offset_y
      - .offset:         3432
        .size:           8
        .value_kind:     hidden_global_offset_z
      - .offset:         3440
        .size:           2
        .value_kind:     hidden_grid_dims
    .group_segment_fixed_size: 0
    .kernarg_segment_align: 8
    .kernarg_segment_size: 3632
    .language:       OpenCL C
    .language_version:
      - 2
      - 0
    .max_flat_workgroup_size: 512
    .name:           _ZN2at6native12_GLOBAL__N_125multi_tensor_apply_kernelINS1_18TensorListMetadataILi1EEENS1_21BinaryOpScalarFunctorIsLi1ELi1ELi0EEEJNS0_7minimumIsEEsEEEvT_T0_DpT1_
    .private_segment_fixed_size: 0
    .sgpr_count:     27
    .sgpr_spill_count: 0
    .symbol:         _ZN2at6native12_GLOBAL__N_125multi_tensor_apply_kernelINS1_18TensorListMetadataILi1EEENS1_21BinaryOpScalarFunctorIsLi1ELi1ELi0EEEJNS0_7minimumIsEEsEEEvT_T0_DpT1_.kd
    .uniform_work_group_size: 1
    .uses_dynamic_stack: false
    .vgpr_count:     16
    .vgpr_spill_count: 0
    .wavefront_size: 32
    .workgroup_processor_mode: 1
  - .args:
      - .offset:         0
        .size:           3368
        .value_kind:     by_value
      - .offset:         3368
        .size:           1
        .value_kind:     by_value
      - .offset:         3369
        .size:           1
        .value_kind:     by_value
      - .offset:         3376
        .size:           8
        .value_kind:     by_value
      - .offset:         3384
        .size:           4
        .value_kind:     hidden_block_count_x
      - .offset:         3388
        .size:           4
        .value_kind:     hidden_block_count_y
      - .offset:         3392
        .size:           4
        .value_kind:     hidden_block_count_z
      - .offset:         3396
        .size:           2
        .value_kind:     hidden_group_size_x
      - .offset:         3398
        .size:           2
        .value_kind:     hidden_group_size_y
      - .offset:         3400
        .size:           2
        .value_kind:     hidden_group_size_z
      - .offset:         3402
        .size:           2
        .value_kind:     hidden_remainder_x
      - .offset:         3404
        .size:           2
        .value_kind:     hidden_remainder_y
      - .offset:         3406
        .size:           2
        .value_kind:     hidden_remainder_z
      - .offset:         3424
        .size:           8
        .value_kind:     hidden_global_offset_x
      - .offset:         3432
        .size:           8
        .value_kind:     hidden_global_offset_y
      - .offset:         3440
        .size:           8
        .value_kind:     hidden_global_offset_z
      - .offset:         3448
        .size:           2
        .value_kind:     hidden_grid_dims
    .group_segment_fixed_size: 0
    .kernarg_segment_align: 8
    .kernarg_segment_size: 3640
    .language:       OpenCL C
    .language_version:
      - 2
      - 0
    .max_flat_workgroup_size: 512
    .name:           _ZN2at6native12_GLOBAL__N_125multi_tensor_apply_kernelINS1_18TensorListMetadataILi1EEENS1_21BinaryOpScalarFunctorIdLi1ELi1ELi0EEEJNS0_7minimumIdEEdEEEvT_T0_DpT1_
    .private_segment_fixed_size: 0
    .sgpr_count:     29
    .sgpr_spill_count: 0
    .symbol:         _ZN2at6native12_GLOBAL__N_125multi_tensor_apply_kernelINS1_18TensorListMetadataILi1EEENS1_21BinaryOpScalarFunctorIdLi1ELi1ELi0EEEJNS0_7minimumIdEEdEEEvT_T0_DpT1_.kd
    .uniform_work_group_size: 1
    .uses_dynamic_stack: false
    .vgpr_count:     21
    .vgpr_spill_count: 0
    .wavefront_size: 32
    .workgroup_processor_mode: 1
  - .args:
      - .offset:         0
        .size:           3368
        .value_kind:     by_value
      - .offset:         3368
        .size:           1
        .value_kind:     by_value
      - .offset:         3369
        .size:           1
        .value_kind:     by_value
      - .offset:         3372
        .size:           4
        .value_kind:     by_value
      - .offset:         3376
        .size:           4
        .value_kind:     hidden_block_count_x
      - .offset:         3380
        .size:           4
        .value_kind:     hidden_block_count_y
      - .offset:         3384
        .size:           4
        .value_kind:     hidden_block_count_z
      - .offset:         3388
        .size:           2
        .value_kind:     hidden_group_size_x
      - .offset:         3390
        .size:           2
        .value_kind:     hidden_group_size_y
      - .offset:         3392
        .size:           2
        .value_kind:     hidden_group_size_z
      - .offset:         3394
        .size:           2
        .value_kind:     hidden_remainder_x
      - .offset:         3396
        .size:           2
        .value_kind:     hidden_remainder_y
      - .offset:         3398
        .size:           2
        .value_kind:     hidden_remainder_z
      - .offset:         3416
        .size:           8
        .value_kind:     hidden_global_offset_x
      - .offset:         3424
        .size:           8
        .value_kind:     hidden_global_offset_y
      - .offset:         3432
        .size:           8
        .value_kind:     hidden_global_offset_z
      - .offset:         3440
        .size:           2
        .value_kind:     hidden_grid_dims
    .group_segment_fixed_size: 0
    .kernarg_segment_align: 8
    .kernarg_segment_size: 3632
    .language:       OpenCL C
    .language_version:
      - 2
      - 0
    .max_flat_workgroup_size: 512
    .name:           _ZN2at6native12_GLOBAL__N_125multi_tensor_apply_kernelINS1_18TensorListMetadataILi1EEENS1_21BinaryOpScalarFunctorIfLi1ELi1ELi0EEEJNS0_7minimumIfEEfEEEvT_T0_DpT1_
    .private_segment_fixed_size: 0
    .sgpr_count:     28
    .sgpr_spill_count: 0
    .symbol:         _ZN2at6native12_GLOBAL__N_125multi_tensor_apply_kernelINS1_18TensorListMetadataILi1EEENS1_21BinaryOpScalarFunctorIfLi1ELi1ELi0EEEJNS0_7minimumIfEEfEEEvT_T0_DpT1_.kd
    .uniform_work_group_size: 1
    .uses_dynamic_stack: false
    .vgpr_count:     16
    .vgpr_spill_count: 0
    .wavefront_size: 32
    .workgroup_processor_mode: 1
  - .args:
      - .offset:         0
        .size:           3368
        .value_kind:     by_value
      - .offset:         3368
        .size:           1
        .value_kind:     by_value
      - .offset:         3369
        .size:           1
        .value_kind:     by_value
      - .offset:         3372
        .size:           4
        .value_kind:     by_value
      - .offset:         3376
        .size:           4
        .value_kind:     hidden_block_count_x
      - .offset:         3380
        .size:           4
        .value_kind:     hidden_block_count_y
      - .offset:         3384
        .size:           4
        .value_kind:     hidden_block_count_z
      - .offset:         3388
        .size:           2
        .value_kind:     hidden_group_size_x
      - .offset:         3390
        .size:           2
        .value_kind:     hidden_group_size_y
      - .offset:         3392
        .size:           2
        .value_kind:     hidden_group_size_z
      - .offset:         3394
        .size:           2
        .value_kind:     hidden_remainder_x
      - .offset:         3396
        .size:           2
        .value_kind:     hidden_remainder_y
      - .offset:         3398
        .size:           2
        .value_kind:     hidden_remainder_z
      - .offset:         3416
        .size:           8
        .value_kind:     hidden_global_offset_x
      - .offset:         3424
        .size:           8
        .value_kind:     hidden_global_offset_y
      - .offset:         3432
        .size:           8
        .value_kind:     hidden_global_offset_z
      - .offset:         3440
        .size:           2
        .value_kind:     hidden_grid_dims
    .group_segment_fixed_size: 0
    .kernarg_segment_align: 8
    .kernarg_segment_size: 3632
    .language:       OpenCL C
    .language_version:
      - 2
      - 0
    .max_flat_workgroup_size: 512
    .name:           _ZN2at6native12_GLOBAL__N_125multi_tensor_apply_kernelINS1_18TensorListMetadataILi1EEENS1_21BinaryOpScalarFunctorIN3c104HalfELi1ELi1ELi0EEEJNS0_7minimumIfEEfEEEvT_T0_DpT1_
    .private_segment_fixed_size: 0
    .sgpr_count:     28
    .sgpr_spill_count: 0
    .symbol:         _ZN2at6native12_GLOBAL__N_125multi_tensor_apply_kernelINS1_18TensorListMetadataILi1EEENS1_21BinaryOpScalarFunctorIN3c104HalfELi1ELi1ELi0EEEJNS0_7minimumIfEEfEEEvT_T0_DpT1_.kd
    .uniform_work_group_size: 1
    .uses_dynamic_stack: false
    .vgpr_count:     16
    .vgpr_spill_count: 0
    .wavefront_size: 32
    .workgroup_processor_mode: 1
  - .args:
      - .offset:         0
        .size:           3368
        .value_kind:     by_value
      - .offset:         3368
        .size:           1
        .value_kind:     by_value
      - .offset:         3369
        .size:           1
        .value_kind:     by_value
      - .offset:         3372
        .size:           4
        .value_kind:     by_value
      - .offset:         3376
        .size:           4
        .value_kind:     hidden_block_count_x
      - .offset:         3380
        .size:           4
        .value_kind:     hidden_block_count_y
      - .offset:         3384
        .size:           4
        .value_kind:     hidden_block_count_z
      - .offset:         3388
        .size:           2
        .value_kind:     hidden_group_size_x
      - .offset:         3390
        .size:           2
        .value_kind:     hidden_group_size_y
      - .offset:         3392
        .size:           2
        .value_kind:     hidden_group_size_z
      - .offset:         3394
        .size:           2
        .value_kind:     hidden_remainder_x
      - .offset:         3396
        .size:           2
        .value_kind:     hidden_remainder_y
      - .offset:         3398
        .size:           2
        .value_kind:     hidden_remainder_z
      - .offset:         3416
        .size:           8
        .value_kind:     hidden_global_offset_x
      - .offset:         3424
        .size:           8
        .value_kind:     hidden_global_offset_y
      - .offset:         3432
        .size:           8
        .value_kind:     hidden_global_offset_z
      - .offset:         3440
        .size:           2
        .value_kind:     hidden_grid_dims
    .group_segment_fixed_size: 0
    .kernarg_segment_align: 8
    .kernarg_segment_size: 3632
    .language:       OpenCL C
    .language_version:
      - 2
      - 0
    .max_flat_workgroup_size: 512
    .name:           _ZN2at6native12_GLOBAL__N_125multi_tensor_apply_kernelINS1_18TensorListMetadataILi1EEENS1_21BinaryOpScalarFunctorIN3c108BFloat16ELi1ELi1ELi0EEEJNS0_7minimumIfEEfEEEvT_T0_DpT1_
    .private_segment_fixed_size: 0
    .sgpr_count:     27
    .sgpr_spill_count: 0
    .symbol:         _ZN2at6native12_GLOBAL__N_125multi_tensor_apply_kernelINS1_18TensorListMetadataILi1EEENS1_21BinaryOpScalarFunctorIN3c108BFloat16ELi1ELi1ELi0EEEJNS0_7minimumIfEEfEEEvT_T0_DpT1_.kd
    .uniform_work_group_size: 1
    .uses_dynamic_stack: false
    .vgpr_count:     16
    .vgpr_spill_count: 0
    .wavefront_size: 32
    .workgroup_processor_mode: 1
  - .args:
      - .offset:         0
        .size:           3144
        .value_kind:     by_value
      - .offset:         3144
        .size:           1
        .value_kind:     by_value
      - .offset:         3145
        .size:           1
        .value_kind:     by_value
      - .offset:         3146
        .size:           1
        .value_kind:     by_value
      - .offset:         3152
        .size:           4
        .value_kind:     hidden_block_count_x
      - .offset:         3156
        .size:           4
        .value_kind:     hidden_block_count_y
      - .offset:         3160
        .size:           4
        .value_kind:     hidden_block_count_z
      - .offset:         3164
        .size:           2
        .value_kind:     hidden_group_size_x
      - .offset:         3166
        .size:           2
        .value_kind:     hidden_group_size_y
      - .offset:         3168
        .size:           2
        .value_kind:     hidden_group_size_z
      - .offset:         3170
        .size:           2
        .value_kind:     hidden_remainder_x
      - .offset:         3172
        .size:           2
        .value_kind:     hidden_remainder_y
      - .offset:         3174
        .size:           2
        .value_kind:     hidden_remainder_z
      - .offset:         3192
        .size:           8
        .value_kind:     hidden_global_offset_x
      - .offset:         3200
        .size:           8
        .value_kind:     hidden_global_offset_y
      - .offset:         3208
        .size:           8
        .value_kind:     hidden_global_offset_z
      - .offset:         3216
        .size:           2
        .value_kind:     hidden_grid_dims
    .group_segment_fixed_size: 0
    .kernarg_segment_align: 8
    .kernarg_segment_size: 3408
    .language:       OpenCL C
    .language_version:
      - 2
      - 0
    .max_flat_workgroup_size: 512
    .name:           _ZN2at6native12_GLOBAL__N_125multi_tensor_apply_kernelINS1_18TensorListMetadataILi2EEENS1_21BinaryOpScalarFunctorIhLi2ELi1ELi1EEEJNS0_7minimumIhEEhEEEvT_T0_DpT1_
    .private_segment_fixed_size: 0
    .sgpr_count:     27
    .sgpr_spill_count: 0
    .symbol:         _ZN2at6native12_GLOBAL__N_125multi_tensor_apply_kernelINS1_18TensorListMetadataILi2EEENS1_21BinaryOpScalarFunctorIhLi2ELi1ELi1EEEJNS0_7minimumIhEEhEEEvT_T0_DpT1_.kd
    .uniform_work_group_size: 1
    .uses_dynamic_stack: false
    .vgpr_count:     29
    .vgpr_spill_count: 0
    .wavefront_size: 32
    .workgroup_processor_mode: 1
  - .args:
      - .offset:         0
        .size:           3144
        .value_kind:     by_value
      - .offset:         3144
        .size:           1
        .value_kind:     by_value
      - .offset:         3145
        .size:           1
        .value_kind:     by_value
      - .offset:         3146
        .size:           1
        .value_kind:     by_value
      - .offset:         3152
        .size:           4
        .value_kind:     hidden_block_count_x
      - .offset:         3156
        .size:           4
        .value_kind:     hidden_block_count_y
      - .offset:         3160
        .size:           4
        .value_kind:     hidden_block_count_z
      - .offset:         3164
        .size:           2
        .value_kind:     hidden_group_size_x
      - .offset:         3166
        .size:           2
        .value_kind:     hidden_group_size_y
      - .offset:         3168
        .size:           2
        .value_kind:     hidden_group_size_z
      - .offset:         3170
        .size:           2
        .value_kind:     hidden_remainder_x
      - .offset:         3172
        .size:           2
        .value_kind:     hidden_remainder_y
      - .offset:         3174
        .size:           2
        .value_kind:     hidden_remainder_z
      - .offset:         3192
        .size:           8
        .value_kind:     hidden_global_offset_x
      - .offset:         3200
        .size:           8
        .value_kind:     hidden_global_offset_y
      - .offset:         3208
        .size:           8
        .value_kind:     hidden_global_offset_z
      - .offset:         3216
        .size:           2
        .value_kind:     hidden_grid_dims
    .group_segment_fixed_size: 0
    .kernarg_segment_align: 8
    .kernarg_segment_size: 3408
    .language:       OpenCL C
    .language_version:
      - 2
      - 0
    .max_flat_workgroup_size: 512
    .name:           _ZN2at6native12_GLOBAL__N_125multi_tensor_apply_kernelINS1_18TensorListMetadataILi2EEENS1_21BinaryOpScalarFunctorIaLi2ELi1ELi1EEEJNS0_7minimumIaEEaEEEvT_T0_DpT1_
    .private_segment_fixed_size: 0
    .sgpr_count:     27
    .sgpr_spill_count: 0
    .symbol:         _ZN2at6native12_GLOBAL__N_125multi_tensor_apply_kernelINS1_18TensorListMetadataILi2EEENS1_21BinaryOpScalarFunctorIaLi2ELi1ELi1EEEJNS0_7minimumIaEEaEEEvT_T0_DpT1_.kd
    .uniform_work_group_size: 1
    .uses_dynamic_stack: false
    .vgpr_count:     29
    .vgpr_spill_count: 0
    .wavefront_size: 32
    .workgroup_processor_mode: 1
  - .args:
      - .offset:         0
        .size:           3144
        .value_kind:     by_value
      - .offset:         3144
        .size:           1
        .value_kind:     by_value
      - .offset:         3145
        .size:           1
        .value_kind:     by_value
      - .offset:         3148
        .size:           4
        .value_kind:     by_value
      - .offset:         3152
        .size:           4
        .value_kind:     hidden_block_count_x
      - .offset:         3156
        .size:           4
        .value_kind:     hidden_block_count_y
      - .offset:         3160
        .size:           4
        .value_kind:     hidden_block_count_z
      - .offset:         3164
        .size:           2
        .value_kind:     hidden_group_size_x
      - .offset:         3166
        .size:           2
        .value_kind:     hidden_group_size_y
      - .offset:         3168
        .size:           2
        .value_kind:     hidden_group_size_z
      - .offset:         3170
        .size:           2
        .value_kind:     hidden_remainder_x
      - .offset:         3172
        .size:           2
        .value_kind:     hidden_remainder_y
      - .offset:         3174
        .size:           2
        .value_kind:     hidden_remainder_z
      - .offset:         3192
        .size:           8
        .value_kind:     hidden_global_offset_x
      - .offset:         3200
        .size:           8
        .value_kind:     hidden_global_offset_y
      - .offset:         3208
        .size:           8
        .value_kind:     hidden_global_offset_z
      - .offset:         3216
        .size:           2
        .value_kind:     hidden_grid_dims
    .group_segment_fixed_size: 0
    .kernarg_segment_align: 8
    .kernarg_segment_size: 3408
    .language:       OpenCL C
    .language_version:
      - 2
      - 0
    .max_flat_workgroup_size: 512
    .name:           _ZN2at6native12_GLOBAL__N_125multi_tensor_apply_kernelINS1_18TensorListMetadataILi2EEENS1_21BinaryOpScalarFunctorIiLi2ELi1ELi1EEEJNS0_7minimumIiEEiEEEvT_T0_DpT1_
    .private_segment_fixed_size: 0
    .sgpr_count:     27
    .sgpr_spill_count: 0
    .symbol:         _ZN2at6native12_GLOBAL__N_125multi_tensor_apply_kernelINS1_18TensorListMetadataILi2EEENS1_21BinaryOpScalarFunctorIiLi2ELi1ELi1EEEJNS0_7minimumIiEEiEEEvT_T0_DpT1_.kd
    .uniform_work_group_size: 1
    .uses_dynamic_stack: false
    .vgpr_count:     29
    .vgpr_spill_count: 0
    .wavefront_size: 32
    .workgroup_processor_mode: 1
  - .args:
      - .offset:         0
        .size:           3144
        .value_kind:     by_value
      - .offset:         3144
        .size:           1
        .value_kind:     by_value
      - .offset:         3145
        .size:           1
        .value_kind:     by_value
      - .offset:         3152
        .size:           8
        .value_kind:     by_value
      - .offset:         3160
        .size:           4
        .value_kind:     hidden_block_count_x
      - .offset:         3164
        .size:           4
        .value_kind:     hidden_block_count_y
      - .offset:         3168
        .size:           4
        .value_kind:     hidden_block_count_z
      - .offset:         3172
        .size:           2
        .value_kind:     hidden_group_size_x
      - .offset:         3174
        .size:           2
        .value_kind:     hidden_group_size_y
      - .offset:         3176
        .size:           2
        .value_kind:     hidden_group_size_z
      - .offset:         3178
        .size:           2
        .value_kind:     hidden_remainder_x
      - .offset:         3180
        .size:           2
        .value_kind:     hidden_remainder_y
      - .offset:         3182
        .size:           2
        .value_kind:     hidden_remainder_z
      - .offset:         3200
        .size:           8
        .value_kind:     hidden_global_offset_x
      - .offset:         3208
        .size:           8
        .value_kind:     hidden_global_offset_y
      - .offset:         3216
        .size:           8
        .value_kind:     hidden_global_offset_z
      - .offset:         3224
        .size:           2
        .value_kind:     hidden_grid_dims
    .group_segment_fixed_size: 0
    .kernarg_segment_align: 8
    .kernarg_segment_size: 3416
    .language:       OpenCL C
    .language_version:
      - 2
      - 0
    .max_flat_workgroup_size: 512
    .name:           _ZN2at6native12_GLOBAL__N_125multi_tensor_apply_kernelINS1_18TensorListMetadataILi2EEENS1_21BinaryOpScalarFunctorIlLi2ELi1ELi1EEEJNS0_7minimumIlEElEEEvT_T0_DpT1_
    .private_segment_fixed_size: 0
    .sgpr_count:     28
    .sgpr_spill_count: 0
    .symbol:         _ZN2at6native12_GLOBAL__N_125multi_tensor_apply_kernelINS1_18TensorListMetadataILi2EEENS1_21BinaryOpScalarFunctorIlLi2ELi1ELi1EEEJNS0_7minimumIlEElEEEvT_T0_DpT1_.kd
    .uniform_work_group_size: 1
    .uses_dynamic_stack: false
    .vgpr_count:     33
    .vgpr_spill_count: 0
    .wavefront_size: 32
    .workgroup_processor_mode: 1
  - .args:
      - .offset:         0
        .size:           3144
        .value_kind:     by_value
      - .offset:         3144
        .size:           1
        .value_kind:     by_value
      - .offset:         3145
        .size:           1
        .value_kind:     by_value
      - .offset:         3146
        .size:           2
        .value_kind:     by_value
      - .offset:         3152
        .size:           4
        .value_kind:     hidden_block_count_x
      - .offset:         3156
        .size:           4
        .value_kind:     hidden_block_count_y
      - .offset:         3160
        .size:           4
        .value_kind:     hidden_block_count_z
      - .offset:         3164
        .size:           2
        .value_kind:     hidden_group_size_x
      - .offset:         3166
        .size:           2
        .value_kind:     hidden_group_size_y
      - .offset:         3168
        .size:           2
        .value_kind:     hidden_group_size_z
      - .offset:         3170
        .size:           2
        .value_kind:     hidden_remainder_x
      - .offset:         3172
        .size:           2
        .value_kind:     hidden_remainder_y
      - .offset:         3174
        .size:           2
        .value_kind:     hidden_remainder_z
      - .offset:         3192
        .size:           8
        .value_kind:     hidden_global_offset_x
      - .offset:         3200
        .size:           8
        .value_kind:     hidden_global_offset_y
      - .offset:         3208
        .size:           8
        .value_kind:     hidden_global_offset_z
      - .offset:         3216
        .size:           2
        .value_kind:     hidden_grid_dims
    .group_segment_fixed_size: 0
    .kernarg_segment_align: 8
    .kernarg_segment_size: 3408
    .language:       OpenCL C
    .language_version:
      - 2
      - 0
    .max_flat_workgroup_size: 512
    .name:           _ZN2at6native12_GLOBAL__N_125multi_tensor_apply_kernelINS1_18TensorListMetadataILi2EEENS1_21BinaryOpScalarFunctorIsLi2ELi1ELi1EEEJNS0_7minimumIsEEsEEEvT_T0_DpT1_
    .private_segment_fixed_size: 0
    .sgpr_count:     27
    .sgpr_spill_count: 0
    .symbol:         _ZN2at6native12_GLOBAL__N_125multi_tensor_apply_kernelINS1_18TensorListMetadataILi2EEENS1_21BinaryOpScalarFunctorIsLi2ELi1ELi1EEEJNS0_7minimumIsEEsEEEvT_T0_DpT1_.kd
    .uniform_work_group_size: 1
    .uses_dynamic_stack: false
    .vgpr_count:     29
    .vgpr_spill_count: 0
    .wavefront_size: 32
    .workgroup_processor_mode: 1
  - .args:
      - .offset:         0
        .size:           3144
        .value_kind:     by_value
      - .offset:         3144
        .size:           1
        .value_kind:     by_value
      - .offset:         3145
        .size:           1
        .value_kind:     by_value
      - .offset:         3152
        .size:           8
        .value_kind:     by_value
      - .offset:         3160
        .size:           4
        .value_kind:     hidden_block_count_x
      - .offset:         3164
        .size:           4
        .value_kind:     hidden_block_count_y
      - .offset:         3168
        .size:           4
        .value_kind:     hidden_block_count_z
      - .offset:         3172
        .size:           2
        .value_kind:     hidden_group_size_x
      - .offset:         3174
        .size:           2
        .value_kind:     hidden_group_size_y
      - .offset:         3176
        .size:           2
        .value_kind:     hidden_group_size_z
      - .offset:         3178
        .size:           2
        .value_kind:     hidden_remainder_x
      - .offset:         3180
        .size:           2
        .value_kind:     hidden_remainder_y
      - .offset:         3182
        .size:           2
        .value_kind:     hidden_remainder_z
      - .offset:         3200
        .size:           8
        .value_kind:     hidden_global_offset_x
      - .offset:         3208
        .size:           8
        .value_kind:     hidden_global_offset_y
      - .offset:         3216
        .size:           8
        .value_kind:     hidden_global_offset_z
      - .offset:         3224
        .size:           2
        .value_kind:     hidden_grid_dims
    .group_segment_fixed_size: 0
    .kernarg_segment_align: 8
    .kernarg_segment_size: 3416
    .language:       OpenCL C
    .language_version:
      - 2
      - 0
    .max_flat_workgroup_size: 512
    .name:           _ZN2at6native12_GLOBAL__N_125multi_tensor_apply_kernelINS1_18TensorListMetadataILi2EEENS1_21BinaryOpScalarFunctorIdLi2ELi1ELi1EEEJNS0_7minimumIdEEdEEEvT_T0_DpT1_
    .private_segment_fixed_size: 0
    .sgpr_count:     28
    .sgpr_spill_count: 0
    .symbol:         _ZN2at6native12_GLOBAL__N_125multi_tensor_apply_kernelINS1_18TensorListMetadataILi2EEENS1_21BinaryOpScalarFunctorIdLi2ELi1ELi1EEEJNS0_7minimumIdEEdEEEvT_T0_DpT1_.kd
    .uniform_work_group_size: 1
    .uses_dynamic_stack: false
    .vgpr_count:     33
    .vgpr_spill_count: 0
    .wavefront_size: 32
    .workgroup_processor_mode: 1
  - .args:
      - .offset:         0
        .size:           3144
        .value_kind:     by_value
      - .offset:         3144
        .size:           1
        .value_kind:     by_value
      - .offset:         3145
        .size:           1
        .value_kind:     by_value
      - .offset:         3148
        .size:           4
        .value_kind:     by_value
      - .offset:         3152
        .size:           4
        .value_kind:     hidden_block_count_x
      - .offset:         3156
        .size:           4
        .value_kind:     hidden_block_count_y
      - .offset:         3160
        .size:           4
        .value_kind:     hidden_block_count_z
      - .offset:         3164
        .size:           2
        .value_kind:     hidden_group_size_x
      - .offset:         3166
        .size:           2
        .value_kind:     hidden_group_size_y
      - .offset:         3168
        .size:           2
        .value_kind:     hidden_group_size_z
      - .offset:         3170
        .size:           2
        .value_kind:     hidden_remainder_x
      - .offset:         3172
        .size:           2
        .value_kind:     hidden_remainder_y
      - .offset:         3174
        .size:           2
        .value_kind:     hidden_remainder_z
      - .offset:         3192
        .size:           8
        .value_kind:     hidden_global_offset_x
      - .offset:         3200
        .size:           8
        .value_kind:     hidden_global_offset_y
      - .offset:         3208
        .size:           8
        .value_kind:     hidden_global_offset_z
      - .offset:         3216
        .size:           2
        .value_kind:     hidden_grid_dims
    .group_segment_fixed_size: 0
    .kernarg_segment_align: 8
    .kernarg_segment_size: 3408
    .language:       OpenCL C
    .language_version:
      - 2
      - 0
    .max_flat_workgroup_size: 512
    .name:           _ZN2at6native12_GLOBAL__N_125multi_tensor_apply_kernelINS1_18TensorListMetadataILi2EEENS1_21BinaryOpScalarFunctorIfLi2ELi1ELi1EEEJNS0_7minimumIfEEfEEEvT_T0_DpT1_
    .private_segment_fixed_size: 0
    .sgpr_count:     27
    .sgpr_spill_count: 0
    .symbol:         _ZN2at6native12_GLOBAL__N_125multi_tensor_apply_kernelINS1_18TensorListMetadataILi2EEENS1_21BinaryOpScalarFunctorIfLi2ELi1ELi1EEEJNS0_7minimumIfEEfEEEvT_T0_DpT1_.kd
    .uniform_work_group_size: 1
    .uses_dynamic_stack: false
    .vgpr_count:     29
    .vgpr_spill_count: 0
    .wavefront_size: 32
    .workgroup_processor_mode: 1
  - .args:
      - .offset:         0
        .size:           3144
        .value_kind:     by_value
      - .offset:         3144
        .size:           1
        .value_kind:     by_value
      - .offset:         3145
        .size:           1
        .value_kind:     by_value
      - .offset:         3148
        .size:           4
        .value_kind:     by_value
      - .offset:         3152
        .size:           4
        .value_kind:     hidden_block_count_x
      - .offset:         3156
        .size:           4
        .value_kind:     hidden_block_count_y
      - .offset:         3160
        .size:           4
        .value_kind:     hidden_block_count_z
      - .offset:         3164
        .size:           2
        .value_kind:     hidden_group_size_x
      - .offset:         3166
        .size:           2
        .value_kind:     hidden_group_size_y
      - .offset:         3168
        .size:           2
        .value_kind:     hidden_group_size_z
      - .offset:         3170
        .size:           2
        .value_kind:     hidden_remainder_x
      - .offset:         3172
        .size:           2
        .value_kind:     hidden_remainder_y
      - .offset:         3174
        .size:           2
        .value_kind:     hidden_remainder_z
      - .offset:         3192
        .size:           8
        .value_kind:     hidden_global_offset_x
      - .offset:         3200
        .size:           8
        .value_kind:     hidden_global_offset_y
      - .offset:         3208
        .size:           8
        .value_kind:     hidden_global_offset_z
      - .offset:         3216
        .size:           2
        .value_kind:     hidden_grid_dims
    .group_segment_fixed_size: 0
    .kernarg_segment_align: 8
    .kernarg_segment_size: 3408
    .language:       OpenCL C
    .language_version:
      - 2
      - 0
    .max_flat_workgroup_size: 512
    .name:           _ZN2at6native12_GLOBAL__N_125multi_tensor_apply_kernelINS1_18TensorListMetadataILi2EEENS1_21BinaryOpScalarFunctorIN3c104HalfELi2ELi1ELi1EEEJNS0_7minimumIfEEfEEEvT_T0_DpT1_
    .private_segment_fixed_size: 0
    .sgpr_count:     28
    .sgpr_spill_count: 0
    .symbol:         _ZN2at6native12_GLOBAL__N_125multi_tensor_apply_kernelINS1_18TensorListMetadataILi2EEENS1_21BinaryOpScalarFunctorIN3c104HalfELi2ELi1ELi1EEEJNS0_7minimumIfEEfEEEvT_T0_DpT1_.kd
    .uniform_work_group_size: 1
    .uses_dynamic_stack: false
    .vgpr_count:     29
    .vgpr_spill_count: 0
    .wavefront_size: 32
    .workgroup_processor_mode: 1
  - .args:
      - .offset:         0
        .size:           3144
        .value_kind:     by_value
      - .offset:         3144
        .size:           1
        .value_kind:     by_value
      - .offset:         3145
        .size:           1
        .value_kind:     by_value
      - .offset:         3148
        .size:           4
        .value_kind:     by_value
      - .offset:         3152
        .size:           4
        .value_kind:     hidden_block_count_x
      - .offset:         3156
        .size:           4
        .value_kind:     hidden_block_count_y
      - .offset:         3160
        .size:           4
        .value_kind:     hidden_block_count_z
      - .offset:         3164
        .size:           2
        .value_kind:     hidden_group_size_x
      - .offset:         3166
        .size:           2
        .value_kind:     hidden_group_size_y
      - .offset:         3168
        .size:           2
        .value_kind:     hidden_group_size_z
      - .offset:         3170
        .size:           2
        .value_kind:     hidden_remainder_x
      - .offset:         3172
        .size:           2
        .value_kind:     hidden_remainder_y
      - .offset:         3174
        .size:           2
        .value_kind:     hidden_remainder_z
      - .offset:         3192
        .size:           8
        .value_kind:     hidden_global_offset_x
      - .offset:         3200
        .size:           8
        .value_kind:     hidden_global_offset_y
      - .offset:         3208
        .size:           8
        .value_kind:     hidden_global_offset_z
      - .offset:         3216
        .size:           2
        .value_kind:     hidden_grid_dims
    .group_segment_fixed_size: 0
    .kernarg_segment_align: 8
    .kernarg_segment_size: 3408
    .language:       OpenCL C
    .language_version:
      - 2
      - 0
    .max_flat_workgroup_size: 512
    .name:           _ZN2at6native12_GLOBAL__N_125multi_tensor_apply_kernelINS1_18TensorListMetadataILi2EEENS1_21BinaryOpScalarFunctorIN3c108BFloat16ELi2ELi1ELi1EEEJNS0_7minimumIfEEfEEEvT_T0_DpT1_
    .private_segment_fixed_size: 0
    .sgpr_count:     27
    .sgpr_spill_count: 0
    .symbol:         _ZN2at6native12_GLOBAL__N_125multi_tensor_apply_kernelINS1_18TensorListMetadataILi2EEENS1_21BinaryOpScalarFunctorIN3c108BFloat16ELi2ELi1ELi1EEEJNS0_7minimumIfEEfEEEvT_T0_DpT1_.kd
    .uniform_work_group_size: 1
    .uses_dynamic_stack: false
    .vgpr_count:     30
    .vgpr_spill_count: 0
    .wavefront_size: 32
    .workgroup_processor_mode: 1
  - .args:
      - .offset:         0
        .size:           3368
        .value_kind:     by_value
      - .offset:         3368
        .size:           1
        .value_kind:     by_value
      - .offset:         3369
        .size:           1
        .value_kind:     by_value
      - .offset:         3370
        .size:           1
        .value_kind:     by_value
      - .offset:         3376
        .size:           4
        .value_kind:     hidden_block_count_x
      - .offset:         3380
        .size:           4
        .value_kind:     hidden_block_count_y
      - .offset:         3384
        .size:           4
        .value_kind:     hidden_block_count_z
      - .offset:         3388
        .size:           2
        .value_kind:     hidden_group_size_x
      - .offset:         3390
        .size:           2
        .value_kind:     hidden_group_size_y
      - .offset:         3392
        .size:           2
        .value_kind:     hidden_group_size_z
      - .offset:         3394
        .size:           2
        .value_kind:     hidden_remainder_x
      - .offset:         3396
        .size:           2
        .value_kind:     hidden_remainder_y
      - .offset:         3398
        .size:           2
        .value_kind:     hidden_remainder_z
      - .offset:         3416
        .size:           8
        .value_kind:     hidden_global_offset_x
      - .offset:         3424
        .size:           8
        .value_kind:     hidden_global_offset_y
      - .offset:         3432
        .size:           8
        .value_kind:     hidden_global_offset_z
      - .offset:         3440
        .size:           2
        .value_kind:     hidden_grid_dims
    .group_segment_fixed_size: 0
    .kernarg_segment_align: 8
    .kernarg_segment_size: 3632
    .language:       OpenCL C
    .language_version:
      - 2
      - 0
    .max_flat_workgroup_size: 512
    .name:           _ZN2at6native12_GLOBAL__N_125multi_tensor_apply_kernelINS1_18TensorListMetadataILi1EEENS1_21BinaryOpScalarFunctorIhLi1ELi1ELi0EEEJNS0_7maximumIhEEhEEEvT_T0_DpT1_
    .private_segment_fixed_size: 0
    .sgpr_count:     26
    .sgpr_spill_count: 0
    .symbol:         _ZN2at6native12_GLOBAL__N_125multi_tensor_apply_kernelINS1_18TensorListMetadataILi1EEENS1_21BinaryOpScalarFunctorIhLi1ELi1ELi0EEEJNS0_7maximumIhEEhEEEvT_T0_DpT1_.kd
    .uniform_work_group_size: 1
    .uses_dynamic_stack: false
    .vgpr_count:     21
    .vgpr_spill_count: 0
    .wavefront_size: 32
    .workgroup_processor_mode: 1
  - .args:
      - .offset:         0
        .size:           3368
        .value_kind:     by_value
      - .offset:         3368
        .size:           1
        .value_kind:     by_value
      - .offset:         3369
        .size:           1
        .value_kind:     by_value
      - .offset:         3370
        .size:           1
        .value_kind:     by_value
      - .offset:         3376
        .size:           4
        .value_kind:     hidden_block_count_x
      - .offset:         3380
        .size:           4
        .value_kind:     hidden_block_count_y
      - .offset:         3384
        .size:           4
        .value_kind:     hidden_block_count_z
      - .offset:         3388
        .size:           2
        .value_kind:     hidden_group_size_x
      - .offset:         3390
        .size:           2
        .value_kind:     hidden_group_size_y
      - .offset:         3392
        .size:           2
        .value_kind:     hidden_group_size_z
      - .offset:         3394
        .size:           2
        .value_kind:     hidden_remainder_x
      - .offset:         3396
        .size:           2
        .value_kind:     hidden_remainder_y
      - .offset:         3398
        .size:           2
        .value_kind:     hidden_remainder_z
      - .offset:         3416
        .size:           8
        .value_kind:     hidden_global_offset_x
      - .offset:         3424
        .size:           8
        .value_kind:     hidden_global_offset_y
      - .offset:         3432
        .size:           8
        .value_kind:     hidden_global_offset_z
      - .offset:         3440
        .size:           2
        .value_kind:     hidden_grid_dims
    .group_segment_fixed_size: 0
    .kernarg_segment_align: 8
    .kernarg_segment_size: 3632
    .language:       OpenCL C
    .language_version:
      - 2
      - 0
    .max_flat_workgroup_size: 512
    .name:           _ZN2at6native12_GLOBAL__N_125multi_tensor_apply_kernelINS1_18TensorListMetadataILi1EEENS1_21BinaryOpScalarFunctorIaLi1ELi1ELi0EEEJNS0_7maximumIaEEaEEEvT_T0_DpT1_
    .private_segment_fixed_size: 0
    .sgpr_count:     26
    .sgpr_spill_count: 0
    .symbol:         _ZN2at6native12_GLOBAL__N_125multi_tensor_apply_kernelINS1_18TensorListMetadataILi1EEENS1_21BinaryOpScalarFunctorIaLi1ELi1ELi0EEEJNS0_7maximumIaEEaEEEvT_T0_DpT1_.kd
    .uniform_work_group_size: 1
    .uses_dynamic_stack: false
    .vgpr_count:     21
    .vgpr_spill_count: 0
    .wavefront_size: 32
    .workgroup_processor_mode: 1
  - .args:
      - .offset:         0
        .size:           3368
        .value_kind:     by_value
      - .offset:         3368
        .size:           1
        .value_kind:     by_value
      - .offset:         3369
        .size:           1
        .value_kind:     by_value
      - .offset:         3372
        .size:           4
        .value_kind:     by_value
      - .offset:         3376
        .size:           4
        .value_kind:     hidden_block_count_x
      - .offset:         3380
        .size:           4
        .value_kind:     hidden_block_count_y
      - .offset:         3384
        .size:           4
        .value_kind:     hidden_block_count_z
      - .offset:         3388
        .size:           2
        .value_kind:     hidden_group_size_x
      - .offset:         3390
        .size:           2
        .value_kind:     hidden_group_size_y
      - .offset:         3392
        .size:           2
        .value_kind:     hidden_group_size_z
      - .offset:         3394
        .size:           2
        .value_kind:     hidden_remainder_x
      - .offset:         3396
        .size:           2
        .value_kind:     hidden_remainder_y
      - .offset:         3398
        .size:           2
        .value_kind:     hidden_remainder_z
      - .offset:         3416
        .size:           8
        .value_kind:     hidden_global_offset_x
      - .offset:         3424
        .size:           8
        .value_kind:     hidden_global_offset_y
      - .offset:         3432
        .size:           8
        .value_kind:     hidden_global_offset_z
      - .offset:         3440
        .size:           2
        .value_kind:     hidden_grid_dims
    .group_segment_fixed_size: 0
    .kernarg_segment_align: 8
    .kernarg_segment_size: 3632
    .language:       OpenCL C
    .language_version:
      - 2
      - 0
    .max_flat_workgroup_size: 512
    .name:           _ZN2at6native12_GLOBAL__N_125multi_tensor_apply_kernelINS1_18TensorListMetadataILi1EEENS1_21BinaryOpScalarFunctorIiLi1ELi1ELi0EEEJNS0_7maximumIiEEiEEEvT_T0_DpT1_
    .private_segment_fixed_size: 0
    .sgpr_count:     28
    .sgpr_spill_count: 0
    .symbol:         _ZN2at6native12_GLOBAL__N_125multi_tensor_apply_kernelINS1_18TensorListMetadataILi1EEENS1_21BinaryOpScalarFunctorIiLi1ELi1ELi0EEEJNS0_7maximumIiEEiEEEvT_T0_DpT1_.kd
    .uniform_work_group_size: 1
    .uses_dynamic_stack: false
    .vgpr_count:     16
    .vgpr_spill_count: 0
    .wavefront_size: 32
    .workgroup_processor_mode: 1
  - .args:
      - .offset:         0
        .size:           3368
        .value_kind:     by_value
      - .offset:         3368
        .size:           1
        .value_kind:     by_value
      - .offset:         3369
        .size:           1
        .value_kind:     by_value
      - .offset:         3376
        .size:           8
        .value_kind:     by_value
      - .offset:         3384
        .size:           4
        .value_kind:     hidden_block_count_x
      - .offset:         3388
        .size:           4
        .value_kind:     hidden_block_count_y
      - .offset:         3392
        .size:           4
        .value_kind:     hidden_block_count_z
      - .offset:         3396
        .size:           2
        .value_kind:     hidden_group_size_x
      - .offset:         3398
        .size:           2
        .value_kind:     hidden_group_size_y
      - .offset:         3400
        .size:           2
        .value_kind:     hidden_group_size_z
      - .offset:         3402
        .size:           2
        .value_kind:     hidden_remainder_x
      - .offset:         3404
        .size:           2
        .value_kind:     hidden_remainder_y
      - .offset:         3406
        .size:           2
        .value_kind:     hidden_remainder_z
      - .offset:         3424
        .size:           8
        .value_kind:     hidden_global_offset_x
      - .offset:         3432
        .size:           8
        .value_kind:     hidden_global_offset_y
      - .offset:         3440
        .size:           8
        .value_kind:     hidden_global_offset_z
      - .offset:         3448
        .size:           2
        .value_kind:     hidden_grid_dims
    .group_segment_fixed_size: 0
    .kernarg_segment_align: 8
    .kernarg_segment_size: 3640
    .language:       OpenCL C
    .language_version:
      - 2
      - 0
    .max_flat_workgroup_size: 512
    .name:           _ZN2at6native12_GLOBAL__N_125multi_tensor_apply_kernelINS1_18TensorListMetadataILi1EEENS1_21BinaryOpScalarFunctorIlLi1ELi1ELi0EEEJNS0_7maximumIlEElEEEvT_T0_DpT1_
    .private_segment_fixed_size: 0
    .sgpr_count:     29
    .sgpr_spill_count: 0
    .symbol:         _ZN2at6native12_GLOBAL__N_125multi_tensor_apply_kernelINS1_18TensorListMetadataILi1EEENS1_21BinaryOpScalarFunctorIlLi1ELi1ELi0EEEJNS0_7maximumIlEElEEEvT_T0_DpT1_.kd
    .uniform_work_group_size: 1
    .uses_dynamic_stack: false
    .vgpr_count:     21
    .vgpr_spill_count: 0
    .wavefront_size: 32
    .workgroup_processor_mode: 1
  - .args:
      - .offset:         0
        .size:           3368
        .value_kind:     by_value
      - .offset:         3368
        .size:           1
        .value_kind:     by_value
      - .offset:         3369
        .size:           1
        .value_kind:     by_value
      - .offset:         3370
        .size:           2
        .value_kind:     by_value
      - .offset:         3376
        .size:           4
        .value_kind:     hidden_block_count_x
      - .offset:         3380
        .size:           4
        .value_kind:     hidden_block_count_y
      - .offset:         3384
        .size:           4
        .value_kind:     hidden_block_count_z
      - .offset:         3388
        .size:           2
        .value_kind:     hidden_group_size_x
      - .offset:         3390
        .size:           2
        .value_kind:     hidden_group_size_y
      - .offset:         3392
        .size:           2
        .value_kind:     hidden_group_size_z
      - .offset:         3394
        .size:           2
        .value_kind:     hidden_remainder_x
      - .offset:         3396
        .size:           2
        .value_kind:     hidden_remainder_y
      - .offset:         3398
        .size:           2
        .value_kind:     hidden_remainder_z
      - .offset:         3416
        .size:           8
        .value_kind:     hidden_global_offset_x
      - .offset:         3424
        .size:           8
        .value_kind:     hidden_global_offset_y
      - .offset:         3432
        .size:           8
        .value_kind:     hidden_global_offset_z
      - .offset:         3440
        .size:           2
        .value_kind:     hidden_grid_dims
    .group_segment_fixed_size: 0
    .kernarg_segment_align: 8
    .kernarg_segment_size: 3632
    .language:       OpenCL C
    .language_version:
      - 2
      - 0
    .max_flat_workgroup_size: 512
    .name:           _ZN2at6native12_GLOBAL__N_125multi_tensor_apply_kernelINS1_18TensorListMetadataILi1EEENS1_21BinaryOpScalarFunctorIsLi1ELi1ELi0EEEJNS0_7maximumIsEEsEEEvT_T0_DpT1_
    .private_segment_fixed_size: 0
    .sgpr_count:     27
    .sgpr_spill_count: 0
    .symbol:         _ZN2at6native12_GLOBAL__N_125multi_tensor_apply_kernelINS1_18TensorListMetadataILi1EEENS1_21BinaryOpScalarFunctorIsLi1ELi1ELi0EEEJNS0_7maximumIsEEsEEEvT_T0_DpT1_.kd
    .uniform_work_group_size: 1
    .uses_dynamic_stack: false
    .vgpr_count:     16
    .vgpr_spill_count: 0
    .wavefront_size: 32
    .workgroup_processor_mode: 1
  - .args:
      - .offset:         0
        .size:           3368
        .value_kind:     by_value
      - .offset:         3368
        .size:           1
        .value_kind:     by_value
      - .offset:         3369
        .size:           1
        .value_kind:     by_value
      - .offset:         3376
        .size:           8
        .value_kind:     by_value
      - .offset:         3384
        .size:           4
        .value_kind:     hidden_block_count_x
      - .offset:         3388
        .size:           4
        .value_kind:     hidden_block_count_y
      - .offset:         3392
        .size:           4
        .value_kind:     hidden_block_count_z
      - .offset:         3396
        .size:           2
        .value_kind:     hidden_group_size_x
      - .offset:         3398
        .size:           2
        .value_kind:     hidden_group_size_y
      - .offset:         3400
        .size:           2
        .value_kind:     hidden_group_size_z
      - .offset:         3402
        .size:           2
        .value_kind:     hidden_remainder_x
      - .offset:         3404
        .size:           2
        .value_kind:     hidden_remainder_y
      - .offset:         3406
        .size:           2
        .value_kind:     hidden_remainder_z
      - .offset:         3424
        .size:           8
        .value_kind:     hidden_global_offset_x
      - .offset:         3432
        .size:           8
        .value_kind:     hidden_global_offset_y
      - .offset:         3440
        .size:           8
        .value_kind:     hidden_global_offset_z
      - .offset:         3448
        .size:           2
        .value_kind:     hidden_grid_dims
    .group_segment_fixed_size: 0
    .kernarg_segment_align: 8
    .kernarg_segment_size: 3640
    .language:       OpenCL C
    .language_version:
      - 2
      - 0
    .max_flat_workgroup_size: 512
    .name:           _ZN2at6native12_GLOBAL__N_125multi_tensor_apply_kernelINS1_18TensorListMetadataILi1EEENS1_21BinaryOpScalarFunctorIdLi1ELi1ELi0EEEJNS0_7maximumIdEEdEEEvT_T0_DpT1_
    .private_segment_fixed_size: 0
    .sgpr_count:     29
    .sgpr_spill_count: 0
    .symbol:         _ZN2at6native12_GLOBAL__N_125multi_tensor_apply_kernelINS1_18TensorListMetadataILi1EEENS1_21BinaryOpScalarFunctorIdLi1ELi1ELi0EEEJNS0_7maximumIdEEdEEEvT_T0_DpT1_.kd
    .uniform_work_group_size: 1
    .uses_dynamic_stack: false
    .vgpr_count:     21
    .vgpr_spill_count: 0
    .wavefront_size: 32
    .workgroup_processor_mode: 1
  - .args:
      - .offset:         0
        .size:           3368
        .value_kind:     by_value
      - .offset:         3368
        .size:           1
        .value_kind:     by_value
      - .offset:         3369
        .size:           1
        .value_kind:     by_value
      - .offset:         3372
        .size:           4
        .value_kind:     by_value
      - .offset:         3376
        .size:           4
        .value_kind:     hidden_block_count_x
      - .offset:         3380
        .size:           4
        .value_kind:     hidden_block_count_y
      - .offset:         3384
        .size:           4
        .value_kind:     hidden_block_count_z
      - .offset:         3388
        .size:           2
        .value_kind:     hidden_group_size_x
      - .offset:         3390
        .size:           2
        .value_kind:     hidden_group_size_y
      - .offset:         3392
        .size:           2
        .value_kind:     hidden_group_size_z
      - .offset:         3394
        .size:           2
        .value_kind:     hidden_remainder_x
      - .offset:         3396
        .size:           2
        .value_kind:     hidden_remainder_y
      - .offset:         3398
        .size:           2
        .value_kind:     hidden_remainder_z
      - .offset:         3416
        .size:           8
        .value_kind:     hidden_global_offset_x
      - .offset:         3424
        .size:           8
        .value_kind:     hidden_global_offset_y
      - .offset:         3432
        .size:           8
        .value_kind:     hidden_global_offset_z
      - .offset:         3440
        .size:           2
        .value_kind:     hidden_grid_dims
    .group_segment_fixed_size: 0
    .kernarg_segment_align: 8
    .kernarg_segment_size: 3632
    .language:       OpenCL C
    .language_version:
      - 2
      - 0
    .max_flat_workgroup_size: 512
    .name:           _ZN2at6native12_GLOBAL__N_125multi_tensor_apply_kernelINS1_18TensorListMetadataILi1EEENS1_21BinaryOpScalarFunctorIfLi1ELi1ELi0EEEJNS0_7maximumIfEEfEEEvT_T0_DpT1_
    .private_segment_fixed_size: 0
    .sgpr_count:     28
    .sgpr_spill_count: 0
    .symbol:         _ZN2at6native12_GLOBAL__N_125multi_tensor_apply_kernelINS1_18TensorListMetadataILi1EEENS1_21BinaryOpScalarFunctorIfLi1ELi1ELi0EEEJNS0_7maximumIfEEfEEEvT_T0_DpT1_.kd
    .uniform_work_group_size: 1
    .uses_dynamic_stack: false
    .vgpr_count:     16
    .vgpr_spill_count: 0
    .wavefront_size: 32
    .workgroup_processor_mode: 1
  - .args:
      - .offset:         0
        .size:           3368
        .value_kind:     by_value
      - .offset:         3368
        .size:           1
        .value_kind:     by_value
      - .offset:         3369
        .size:           1
        .value_kind:     by_value
      - .offset:         3372
        .size:           4
        .value_kind:     by_value
      - .offset:         3376
        .size:           4
        .value_kind:     hidden_block_count_x
      - .offset:         3380
        .size:           4
        .value_kind:     hidden_block_count_y
      - .offset:         3384
        .size:           4
        .value_kind:     hidden_block_count_z
      - .offset:         3388
        .size:           2
        .value_kind:     hidden_group_size_x
      - .offset:         3390
        .size:           2
        .value_kind:     hidden_group_size_y
      - .offset:         3392
        .size:           2
        .value_kind:     hidden_group_size_z
      - .offset:         3394
        .size:           2
        .value_kind:     hidden_remainder_x
      - .offset:         3396
        .size:           2
        .value_kind:     hidden_remainder_y
      - .offset:         3398
        .size:           2
        .value_kind:     hidden_remainder_z
      - .offset:         3416
        .size:           8
        .value_kind:     hidden_global_offset_x
      - .offset:         3424
        .size:           8
        .value_kind:     hidden_global_offset_y
      - .offset:         3432
        .size:           8
        .value_kind:     hidden_global_offset_z
      - .offset:         3440
        .size:           2
        .value_kind:     hidden_grid_dims
    .group_segment_fixed_size: 0
    .kernarg_segment_align: 8
    .kernarg_segment_size: 3632
    .language:       OpenCL C
    .language_version:
      - 2
      - 0
    .max_flat_workgroup_size: 512
    .name:           _ZN2at6native12_GLOBAL__N_125multi_tensor_apply_kernelINS1_18TensorListMetadataILi1EEENS1_21BinaryOpScalarFunctorIN3c104HalfELi1ELi1ELi0EEEJNS0_7maximumIfEEfEEEvT_T0_DpT1_
    .private_segment_fixed_size: 0
    .sgpr_count:     28
    .sgpr_spill_count: 0
    .symbol:         _ZN2at6native12_GLOBAL__N_125multi_tensor_apply_kernelINS1_18TensorListMetadataILi1EEENS1_21BinaryOpScalarFunctorIN3c104HalfELi1ELi1ELi0EEEJNS0_7maximumIfEEfEEEvT_T0_DpT1_.kd
    .uniform_work_group_size: 1
    .uses_dynamic_stack: false
    .vgpr_count:     16
    .vgpr_spill_count: 0
    .wavefront_size: 32
    .workgroup_processor_mode: 1
  - .args:
      - .offset:         0
        .size:           3368
        .value_kind:     by_value
      - .offset:         3368
        .size:           1
        .value_kind:     by_value
      - .offset:         3369
        .size:           1
        .value_kind:     by_value
      - .offset:         3372
        .size:           4
        .value_kind:     by_value
      - .offset:         3376
        .size:           4
        .value_kind:     hidden_block_count_x
      - .offset:         3380
        .size:           4
        .value_kind:     hidden_block_count_y
      - .offset:         3384
        .size:           4
        .value_kind:     hidden_block_count_z
      - .offset:         3388
        .size:           2
        .value_kind:     hidden_group_size_x
      - .offset:         3390
        .size:           2
        .value_kind:     hidden_group_size_y
      - .offset:         3392
        .size:           2
        .value_kind:     hidden_group_size_z
      - .offset:         3394
        .size:           2
        .value_kind:     hidden_remainder_x
      - .offset:         3396
        .size:           2
        .value_kind:     hidden_remainder_y
      - .offset:         3398
        .size:           2
        .value_kind:     hidden_remainder_z
      - .offset:         3416
        .size:           8
        .value_kind:     hidden_global_offset_x
      - .offset:         3424
        .size:           8
        .value_kind:     hidden_global_offset_y
      - .offset:         3432
        .size:           8
        .value_kind:     hidden_global_offset_z
      - .offset:         3440
        .size:           2
        .value_kind:     hidden_grid_dims
    .group_segment_fixed_size: 0
    .kernarg_segment_align: 8
    .kernarg_segment_size: 3632
    .language:       OpenCL C
    .language_version:
      - 2
      - 0
    .max_flat_workgroup_size: 512
    .name:           _ZN2at6native12_GLOBAL__N_125multi_tensor_apply_kernelINS1_18TensorListMetadataILi1EEENS1_21BinaryOpScalarFunctorIN3c108BFloat16ELi1ELi1ELi0EEEJNS0_7maximumIfEEfEEEvT_T0_DpT1_
    .private_segment_fixed_size: 0
    .sgpr_count:     27
    .sgpr_spill_count: 0
    .symbol:         _ZN2at6native12_GLOBAL__N_125multi_tensor_apply_kernelINS1_18TensorListMetadataILi1EEENS1_21BinaryOpScalarFunctorIN3c108BFloat16ELi1ELi1ELi0EEEJNS0_7maximumIfEEfEEEvT_T0_DpT1_.kd
    .uniform_work_group_size: 1
    .uses_dynamic_stack: false
    .vgpr_count:     16
    .vgpr_spill_count: 0
    .wavefront_size: 32
    .workgroup_processor_mode: 1
  - .args:
      - .offset:         0
        .size:           3144
        .value_kind:     by_value
      - .offset:         3144
        .size:           1
        .value_kind:     by_value
      - .offset:         3145
        .size:           1
        .value_kind:     by_value
      - .offset:         3146
        .size:           1
        .value_kind:     by_value
      - .offset:         3152
        .size:           4
        .value_kind:     hidden_block_count_x
      - .offset:         3156
        .size:           4
        .value_kind:     hidden_block_count_y
      - .offset:         3160
        .size:           4
        .value_kind:     hidden_block_count_z
      - .offset:         3164
        .size:           2
        .value_kind:     hidden_group_size_x
      - .offset:         3166
        .size:           2
        .value_kind:     hidden_group_size_y
      - .offset:         3168
        .size:           2
        .value_kind:     hidden_group_size_z
      - .offset:         3170
        .size:           2
        .value_kind:     hidden_remainder_x
      - .offset:         3172
        .size:           2
        .value_kind:     hidden_remainder_y
      - .offset:         3174
        .size:           2
        .value_kind:     hidden_remainder_z
      - .offset:         3192
        .size:           8
        .value_kind:     hidden_global_offset_x
      - .offset:         3200
        .size:           8
        .value_kind:     hidden_global_offset_y
      - .offset:         3208
        .size:           8
        .value_kind:     hidden_global_offset_z
      - .offset:         3216
        .size:           2
        .value_kind:     hidden_grid_dims
    .group_segment_fixed_size: 0
    .kernarg_segment_align: 8
    .kernarg_segment_size: 3408
    .language:       OpenCL C
    .language_version:
      - 2
      - 0
    .max_flat_workgroup_size: 512
    .name:           _ZN2at6native12_GLOBAL__N_125multi_tensor_apply_kernelINS1_18TensorListMetadataILi2EEENS1_21BinaryOpScalarFunctorIhLi2ELi1ELi1EEEJNS0_7maximumIhEEhEEEvT_T0_DpT1_
    .private_segment_fixed_size: 0
    .sgpr_count:     27
    .sgpr_spill_count: 0
    .symbol:         _ZN2at6native12_GLOBAL__N_125multi_tensor_apply_kernelINS1_18TensorListMetadataILi2EEENS1_21BinaryOpScalarFunctorIhLi2ELi1ELi1EEEJNS0_7maximumIhEEhEEEvT_T0_DpT1_.kd
    .uniform_work_group_size: 1
    .uses_dynamic_stack: false
    .vgpr_count:     29
    .vgpr_spill_count: 0
    .wavefront_size: 32
    .workgroup_processor_mode: 1
  - .args:
      - .offset:         0
        .size:           3144
        .value_kind:     by_value
      - .offset:         3144
        .size:           1
        .value_kind:     by_value
      - .offset:         3145
        .size:           1
        .value_kind:     by_value
      - .offset:         3146
        .size:           1
        .value_kind:     by_value
      - .offset:         3152
        .size:           4
        .value_kind:     hidden_block_count_x
      - .offset:         3156
        .size:           4
        .value_kind:     hidden_block_count_y
      - .offset:         3160
        .size:           4
        .value_kind:     hidden_block_count_z
      - .offset:         3164
        .size:           2
        .value_kind:     hidden_group_size_x
      - .offset:         3166
        .size:           2
        .value_kind:     hidden_group_size_y
      - .offset:         3168
        .size:           2
        .value_kind:     hidden_group_size_z
      - .offset:         3170
        .size:           2
        .value_kind:     hidden_remainder_x
      - .offset:         3172
        .size:           2
        .value_kind:     hidden_remainder_y
      - .offset:         3174
        .size:           2
        .value_kind:     hidden_remainder_z
      - .offset:         3192
        .size:           8
        .value_kind:     hidden_global_offset_x
      - .offset:         3200
        .size:           8
        .value_kind:     hidden_global_offset_y
      - .offset:         3208
        .size:           8
        .value_kind:     hidden_global_offset_z
      - .offset:         3216
        .size:           2
        .value_kind:     hidden_grid_dims
    .group_segment_fixed_size: 0
    .kernarg_segment_align: 8
    .kernarg_segment_size: 3408
    .language:       OpenCL C
    .language_version:
      - 2
      - 0
    .max_flat_workgroup_size: 512
    .name:           _ZN2at6native12_GLOBAL__N_125multi_tensor_apply_kernelINS1_18TensorListMetadataILi2EEENS1_21BinaryOpScalarFunctorIaLi2ELi1ELi1EEEJNS0_7maximumIaEEaEEEvT_T0_DpT1_
    .private_segment_fixed_size: 0
    .sgpr_count:     27
    .sgpr_spill_count: 0
    .symbol:         _ZN2at6native12_GLOBAL__N_125multi_tensor_apply_kernelINS1_18TensorListMetadataILi2EEENS1_21BinaryOpScalarFunctorIaLi2ELi1ELi1EEEJNS0_7maximumIaEEaEEEvT_T0_DpT1_.kd
    .uniform_work_group_size: 1
    .uses_dynamic_stack: false
    .vgpr_count:     29
    .vgpr_spill_count: 0
    .wavefront_size: 32
    .workgroup_processor_mode: 1
  - .args:
      - .offset:         0
        .size:           3144
        .value_kind:     by_value
      - .offset:         3144
        .size:           1
        .value_kind:     by_value
      - .offset:         3145
        .size:           1
        .value_kind:     by_value
      - .offset:         3148
        .size:           4
        .value_kind:     by_value
      - .offset:         3152
        .size:           4
        .value_kind:     hidden_block_count_x
      - .offset:         3156
        .size:           4
        .value_kind:     hidden_block_count_y
      - .offset:         3160
        .size:           4
        .value_kind:     hidden_block_count_z
      - .offset:         3164
        .size:           2
        .value_kind:     hidden_group_size_x
      - .offset:         3166
        .size:           2
        .value_kind:     hidden_group_size_y
      - .offset:         3168
        .size:           2
        .value_kind:     hidden_group_size_z
      - .offset:         3170
        .size:           2
        .value_kind:     hidden_remainder_x
      - .offset:         3172
        .size:           2
        .value_kind:     hidden_remainder_y
      - .offset:         3174
        .size:           2
        .value_kind:     hidden_remainder_z
      - .offset:         3192
        .size:           8
        .value_kind:     hidden_global_offset_x
      - .offset:         3200
        .size:           8
        .value_kind:     hidden_global_offset_y
      - .offset:         3208
        .size:           8
        .value_kind:     hidden_global_offset_z
      - .offset:         3216
        .size:           2
        .value_kind:     hidden_grid_dims
    .group_segment_fixed_size: 0
    .kernarg_segment_align: 8
    .kernarg_segment_size: 3408
    .language:       OpenCL C
    .language_version:
      - 2
      - 0
    .max_flat_workgroup_size: 512
    .name:           _ZN2at6native12_GLOBAL__N_125multi_tensor_apply_kernelINS1_18TensorListMetadataILi2EEENS1_21BinaryOpScalarFunctorIiLi2ELi1ELi1EEEJNS0_7maximumIiEEiEEEvT_T0_DpT1_
    .private_segment_fixed_size: 0
    .sgpr_count:     27
    .sgpr_spill_count: 0
    .symbol:         _ZN2at6native12_GLOBAL__N_125multi_tensor_apply_kernelINS1_18TensorListMetadataILi2EEENS1_21BinaryOpScalarFunctorIiLi2ELi1ELi1EEEJNS0_7maximumIiEEiEEEvT_T0_DpT1_.kd
    .uniform_work_group_size: 1
    .uses_dynamic_stack: false
    .vgpr_count:     29
    .vgpr_spill_count: 0
    .wavefront_size: 32
    .workgroup_processor_mode: 1
  - .args:
      - .offset:         0
        .size:           3144
        .value_kind:     by_value
      - .offset:         3144
        .size:           1
        .value_kind:     by_value
      - .offset:         3145
        .size:           1
        .value_kind:     by_value
      - .offset:         3152
        .size:           8
        .value_kind:     by_value
      - .offset:         3160
        .size:           4
        .value_kind:     hidden_block_count_x
      - .offset:         3164
        .size:           4
        .value_kind:     hidden_block_count_y
      - .offset:         3168
        .size:           4
        .value_kind:     hidden_block_count_z
      - .offset:         3172
        .size:           2
        .value_kind:     hidden_group_size_x
      - .offset:         3174
        .size:           2
        .value_kind:     hidden_group_size_y
      - .offset:         3176
        .size:           2
        .value_kind:     hidden_group_size_z
      - .offset:         3178
        .size:           2
        .value_kind:     hidden_remainder_x
      - .offset:         3180
        .size:           2
        .value_kind:     hidden_remainder_y
      - .offset:         3182
        .size:           2
        .value_kind:     hidden_remainder_z
      - .offset:         3200
        .size:           8
        .value_kind:     hidden_global_offset_x
      - .offset:         3208
        .size:           8
        .value_kind:     hidden_global_offset_y
      - .offset:         3216
        .size:           8
        .value_kind:     hidden_global_offset_z
      - .offset:         3224
        .size:           2
        .value_kind:     hidden_grid_dims
    .group_segment_fixed_size: 0
    .kernarg_segment_align: 8
    .kernarg_segment_size: 3416
    .language:       OpenCL C
    .language_version:
      - 2
      - 0
    .max_flat_workgroup_size: 512
    .name:           _ZN2at6native12_GLOBAL__N_125multi_tensor_apply_kernelINS1_18TensorListMetadataILi2EEENS1_21BinaryOpScalarFunctorIlLi2ELi1ELi1EEEJNS0_7maximumIlEElEEEvT_T0_DpT1_
    .private_segment_fixed_size: 0
    .sgpr_count:     28
    .sgpr_spill_count: 0
    .symbol:         _ZN2at6native12_GLOBAL__N_125multi_tensor_apply_kernelINS1_18TensorListMetadataILi2EEENS1_21BinaryOpScalarFunctorIlLi2ELi1ELi1EEEJNS0_7maximumIlEElEEEvT_T0_DpT1_.kd
    .uniform_work_group_size: 1
    .uses_dynamic_stack: false
    .vgpr_count:     33
    .vgpr_spill_count: 0
    .wavefront_size: 32
    .workgroup_processor_mode: 1
  - .args:
      - .offset:         0
        .size:           3144
        .value_kind:     by_value
      - .offset:         3144
        .size:           1
        .value_kind:     by_value
      - .offset:         3145
        .size:           1
        .value_kind:     by_value
      - .offset:         3146
        .size:           2
        .value_kind:     by_value
      - .offset:         3152
        .size:           4
        .value_kind:     hidden_block_count_x
      - .offset:         3156
        .size:           4
        .value_kind:     hidden_block_count_y
      - .offset:         3160
        .size:           4
        .value_kind:     hidden_block_count_z
      - .offset:         3164
        .size:           2
        .value_kind:     hidden_group_size_x
      - .offset:         3166
        .size:           2
        .value_kind:     hidden_group_size_y
      - .offset:         3168
        .size:           2
        .value_kind:     hidden_group_size_z
      - .offset:         3170
        .size:           2
        .value_kind:     hidden_remainder_x
      - .offset:         3172
        .size:           2
        .value_kind:     hidden_remainder_y
      - .offset:         3174
        .size:           2
        .value_kind:     hidden_remainder_z
      - .offset:         3192
        .size:           8
        .value_kind:     hidden_global_offset_x
      - .offset:         3200
        .size:           8
        .value_kind:     hidden_global_offset_y
      - .offset:         3208
        .size:           8
        .value_kind:     hidden_global_offset_z
      - .offset:         3216
        .size:           2
        .value_kind:     hidden_grid_dims
    .group_segment_fixed_size: 0
    .kernarg_segment_align: 8
    .kernarg_segment_size: 3408
    .language:       OpenCL C
    .language_version:
      - 2
      - 0
    .max_flat_workgroup_size: 512
    .name:           _ZN2at6native12_GLOBAL__N_125multi_tensor_apply_kernelINS1_18TensorListMetadataILi2EEENS1_21BinaryOpScalarFunctorIsLi2ELi1ELi1EEEJNS0_7maximumIsEEsEEEvT_T0_DpT1_
    .private_segment_fixed_size: 0
    .sgpr_count:     27
    .sgpr_spill_count: 0
    .symbol:         _ZN2at6native12_GLOBAL__N_125multi_tensor_apply_kernelINS1_18TensorListMetadataILi2EEENS1_21BinaryOpScalarFunctorIsLi2ELi1ELi1EEEJNS0_7maximumIsEEsEEEvT_T0_DpT1_.kd
    .uniform_work_group_size: 1
    .uses_dynamic_stack: false
    .vgpr_count:     29
    .vgpr_spill_count: 0
    .wavefront_size: 32
    .workgroup_processor_mode: 1
  - .args:
      - .offset:         0
        .size:           3144
        .value_kind:     by_value
      - .offset:         3144
        .size:           1
        .value_kind:     by_value
      - .offset:         3145
        .size:           1
        .value_kind:     by_value
      - .offset:         3152
        .size:           8
        .value_kind:     by_value
      - .offset:         3160
        .size:           4
        .value_kind:     hidden_block_count_x
      - .offset:         3164
        .size:           4
        .value_kind:     hidden_block_count_y
      - .offset:         3168
        .size:           4
        .value_kind:     hidden_block_count_z
      - .offset:         3172
        .size:           2
        .value_kind:     hidden_group_size_x
      - .offset:         3174
        .size:           2
        .value_kind:     hidden_group_size_y
      - .offset:         3176
        .size:           2
        .value_kind:     hidden_group_size_z
      - .offset:         3178
        .size:           2
        .value_kind:     hidden_remainder_x
      - .offset:         3180
        .size:           2
        .value_kind:     hidden_remainder_y
      - .offset:         3182
        .size:           2
        .value_kind:     hidden_remainder_z
      - .offset:         3200
        .size:           8
        .value_kind:     hidden_global_offset_x
      - .offset:         3208
        .size:           8
        .value_kind:     hidden_global_offset_y
      - .offset:         3216
        .size:           8
        .value_kind:     hidden_global_offset_z
      - .offset:         3224
        .size:           2
        .value_kind:     hidden_grid_dims
    .group_segment_fixed_size: 0
    .kernarg_segment_align: 8
    .kernarg_segment_size: 3416
    .language:       OpenCL C
    .language_version:
      - 2
      - 0
    .max_flat_workgroup_size: 512
    .name:           _ZN2at6native12_GLOBAL__N_125multi_tensor_apply_kernelINS1_18TensorListMetadataILi2EEENS1_21BinaryOpScalarFunctorIdLi2ELi1ELi1EEEJNS0_7maximumIdEEdEEEvT_T0_DpT1_
    .private_segment_fixed_size: 0
    .sgpr_count:     28
    .sgpr_spill_count: 0
    .symbol:         _ZN2at6native12_GLOBAL__N_125multi_tensor_apply_kernelINS1_18TensorListMetadataILi2EEENS1_21BinaryOpScalarFunctorIdLi2ELi1ELi1EEEJNS0_7maximumIdEEdEEEvT_T0_DpT1_.kd
    .uniform_work_group_size: 1
    .uses_dynamic_stack: false
    .vgpr_count:     33
    .vgpr_spill_count: 0
    .wavefront_size: 32
    .workgroup_processor_mode: 1
  - .args:
      - .offset:         0
        .size:           3144
        .value_kind:     by_value
      - .offset:         3144
        .size:           1
        .value_kind:     by_value
      - .offset:         3145
        .size:           1
        .value_kind:     by_value
      - .offset:         3148
        .size:           4
        .value_kind:     by_value
      - .offset:         3152
        .size:           4
        .value_kind:     hidden_block_count_x
      - .offset:         3156
        .size:           4
        .value_kind:     hidden_block_count_y
      - .offset:         3160
        .size:           4
        .value_kind:     hidden_block_count_z
      - .offset:         3164
        .size:           2
        .value_kind:     hidden_group_size_x
      - .offset:         3166
        .size:           2
        .value_kind:     hidden_group_size_y
      - .offset:         3168
        .size:           2
        .value_kind:     hidden_group_size_z
      - .offset:         3170
        .size:           2
        .value_kind:     hidden_remainder_x
      - .offset:         3172
        .size:           2
        .value_kind:     hidden_remainder_y
      - .offset:         3174
        .size:           2
        .value_kind:     hidden_remainder_z
      - .offset:         3192
        .size:           8
        .value_kind:     hidden_global_offset_x
      - .offset:         3200
        .size:           8
        .value_kind:     hidden_global_offset_y
      - .offset:         3208
        .size:           8
        .value_kind:     hidden_global_offset_z
      - .offset:         3216
        .size:           2
        .value_kind:     hidden_grid_dims
    .group_segment_fixed_size: 0
    .kernarg_segment_align: 8
    .kernarg_segment_size: 3408
    .language:       OpenCL C
    .language_version:
      - 2
      - 0
    .max_flat_workgroup_size: 512
    .name:           _ZN2at6native12_GLOBAL__N_125multi_tensor_apply_kernelINS1_18TensorListMetadataILi2EEENS1_21BinaryOpScalarFunctorIfLi2ELi1ELi1EEEJNS0_7maximumIfEEfEEEvT_T0_DpT1_
    .private_segment_fixed_size: 0
    .sgpr_count:     27
    .sgpr_spill_count: 0
    .symbol:         _ZN2at6native12_GLOBAL__N_125multi_tensor_apply_kernelINS1_18TensorListMetadataILi2EEENS1_21BinaryOpScalarFunctorIfLi2ELi1ELi1EEEJNS0_7maximumIfEEfEEEvT_T0_DpT1_.kd
    .uniform_work_group_size: 1
    .uses_dynamic_stack: false
    .vgpr_count:     29
    .vgpr_spill_count: 0
    .wavefront_size: 32
    .workgroup_processor_mode: 1
  - .args:
      - .offset:         0
        .size:           3144
        .value_kind:     by_value
      - .offset:         3144
        .size:           1
        .value_kind:     by_value
      - .offset:         3145
        .size:           1
        .value_kind:     by_value
      - .offset:         3148
        .size:           4
        .value_kind:     by_value
      - .offset:         3152
        .size:           4
        .value_kind:     hidden_block_count_x
      - .offset:         3156
        .size:           4
        .value_kind:     hidden_block_count_y
      - .offset:         3160
        .size:           4
        .value_kind:     hidden_block_count_z
      - .offset:         3164
        .size:           2
        .value_kind:     hidden_group_size_x
      - .offset:         3166
        .size:           2
        .value_kind:     hidden_group_size_y
      - .offset:         3168
        .size:           2
        .value_kind:     hidden_group_size_z
      - .offset:         3170
        .size:           2
        .value_kind:     hidden_remainder_x
      - .offset:         3172
        .size:           2
        .value_kind:     hidden_remainder_y
      - .offset:         3174
        .size:           2
        .value_kind:     hidden_remainder_z
      - .offset:         3192
        .size:           8
        .value_kind:     hidden_global_offset_x
      - .offset:         3200
        .size:           8
        .value_kind:     hidden_global_offset_y
      - .offset:         3208
        .size:           8
        .value_kind:     hidden_global_offset_z
      - .offset:         3216
        .size:           2
        .value_kind:     hidden_grid_dims
    .group_segment_fixed_size: 0
    .kernarg_segment_align: 8
    .kernarg_segment_size: 3408
    .language:       OpenCL C
    .language_version:
      - 2
      - 0
    .max_flat_workgroup_size: 512
    .name:           _ZN2at6native12_GLOBAL__N_125multi_tensor_apply_kernelINS1_18TensorListMetadataILi2EEENS1_21BinaryOpScalarFunctorIN3c104HalfELi2ELi1ELi1EEEJNS0_7maximumIfEEfEEEvT_T0_DpT1_
    .private_segment_fixed_size: 0
    .sgpr_count:     28
    .sgpr_spill_count: 0
    .symbol:         _ZN2at6native12_GLOBAL__N_125multi_tensor_apply_kernelINS1_18TensorListMetadataILi2EEENS1_21BinaryOpScalarFunctorIN3c104HalfELi2ELi1ELi1EEEJNS0_7maximumIfEEfEEEvT_T0_DpT1_.kd
    .uniform_work_group_size: 1
    .uses_dynamic_stack: false
    .vgpr_count:     29
    .vgpr_spill_count: 0
    .wavefront_size: 32
    .workgroup_processor_mode: 1
  - .args:
      - .offset:         0
        .size:           3144
        .value_kind:     by_value
      - .offset:         3144
        .size:           1
        .value_kind:     by_value
      - .offset:         3145
        .size:           1
        .value_kind:     by_value
      - .offset:         3148
        .size:           4
        .value_kind:     by_value
      - .offset:         3152
        .size:           4
        .value_kind:     hidden_block_count_x
      - .offset:         3156
        .size:           4
        .value_kind:     hidden_block_count_y
      - .offset:         3160
        .size:           4
        .value_kind:     hidden_block_count_z
      - .offset:         3164
        .size:           2
        .value_kind:     hidden_group_size_x
      - .offset:         3166
        .size:           2
        .value_kind:     hidden_group_size_y
      - .offset:         3168
        .size:           2
        .value_kind:     hidden_group_size_z
      - .offset:         3170
        .size:           2
        .value_kind:     hidden_remainder_x
      - .offset:         3172
        .size:           2
        .value_kind:     hidden_remainder_y
      - .offset:         3174
        .size:           2
        .value_kind:     hidden_remainder_z
      - .offset:         3192
        .size:           8
        .value_kind:     hidden_global_offset_x
      - .offset:         3200
        .size:           8
        .value_kind:     hidden_global_offset_y
      - .offset:         3208
        .size:           8
        .value_kind:     hidden_global_offset_z
      - .offset:         3216
        .size:           2
        .value_kind:     hidden_grid_dims
    .group_segment_fixed_size: 0
    .kernarg_segment_align: 8
    .kernarg_segment_size: 3408
    .language:       OpenCL C
    .language_version:
      - 2
      - 0
    .max_flat_workgroup_size: 512
    .name:           _ZN2at6native12_GLOBAL__N_125multi_tensor_apply_kernelINS1_18TensorListMetadataILi2EEENS1_21BinaryOpScalarFunctorIN3c108BFloat16ELi2ELi1ELi1EEEJNS0_7maximumIfEEfEEEvT_T0_DpT1_
    .private_segment_fixed_size: 0
    .sgpr_count:     27
    .sgpr_spill_count: 0
    .symbol:         _ZN2at6native12_GLOBAL__N_125multi_tensor_apply_kernelINS1_18TensorListMetadataILi2EEENS1_21BinaryOpScalarFunctorIN3c108BFloat16ELi2ELi1ELi1EEEJNS0_7maximumIfEEfEEEvT_T0_DpT1_.kd
    .uniform_work_group_size: 1
    .uses_dynamic_stack: false
    .vgpr_count:     30
    .vgpr_spill_count: 0
    .wavefront_size: 32
    .workgroup_processor_mode: 1
amdhsa.target:   amdgcn-amd-amdhsa--gfx1201
amdhsa.version:
  - 1
  - 2
...

	.end_amdgpu_metadata
